;; amdgpu-corpus repo=ROCm/rccl kind=compiled arch=gfx1100 opt=O3
	.text
	.amdgcn_target "amdgcn-amd-amdhsa--gfx1100"
	.amdhsa_code_object_version 6
	.p2align	2                               ; -- Begin function __ockl_fprintf_append_string_n
	.type	__ockl_fprintf_append_string_n,@function
__ockl_fprintf_append_string_n:         ; @__ockl_fprintf_append_string_n
; %bb.0:
	s_waitcnt vmcnt(0) expcnt(0) lgkmcnt(0)
	v_dual_mov_b32 v8, v3 :: v_dual_mov_b32 v7, v2
	v_or_b32_e32 v2, 2, v0
	v_cmp_eq_u32_e32 vcc_lo, 0, v6
	v_mbcnt_lo_u32_b32 v33, -1, 0
	s_mov_b32 s11, 0
	s_mov_b32 s0, exec_lo
	v_cndmask_b32_e32 v0, v2, v0, vcc_lo
	v_cmpx_ne_u64_e32 0, v[7:8]
	s_xor_b32 s10, exec_lo, s0
	s_cbranch_execz .LBB0_86
; %bb.1:
	s_load_b64 s[2:3], s[8:9], 0x50
	v_dual_mov_b32 v11, 2 :: v_dual_and_b32 v6, 2, v0
	v_mov_b32_e32 v10, 0
	v_and_b32_e32 v0, -3, v0
	v_mov_b32_e32 v12, 1
	s_mov_b32 s12, 0
	s_branch .LBB0_3
.LBB0_2:                                ;   in Loop: Header=BB0_3 Depth=1
	s_or_b32 exec_lo, exec_lo, s1
	v_sub_co_u32 v4, vcc_lo, v4, v29
	v_sub_co_ci_u32_e32 v5, vcc_lo, v5, v30, vcc_lo
	v_add_co_u32 v7, s0, v7, v29
	s_delay_alu instid0(VALU_DEP_1) | instskip(NEXT) | instid1(VALU_DEP_3)
	v_add_co_ci_u32_e64 v8, s0, v8, v30, s0
	v_cmp_eq_u64_e32 vcc_lo, 0, v[4:5]
	s_or_b32 s12, vcc_lo, s12
	s_delay_alu instid0(SALU_CYCLE_1)
	s_and_not1_b32 exec_lo, exec_lo, s12
	s_cbranch_execz .LBB0_85
.LBB0_3:                                ; =>This Loop Header: Depth=1
                                        ;     Child Loop BB0_6 Depth 2
                                        ;     Child Loop BB0_14 Depth 2
	;; [unrolled: 1-line block ×11, first 2 shown]
	v_cmp_gt_u64_e32 vcc_lo, 56, v[4:5]
	s_mov_b32 s1, exec_lo
                                        ; implicit-def: $vgpr2_vgpr3
                                        ; implicit-def: $sgpr4
	v_dual_cndmask_b32 v30, 0, v5 :: v_dual_cndmask_b32 v29, 56, v4
	v_cmpx_gt_u64_e32 8, v[4:5]
	s_xor_b32 s1, exec_lo, s1
	s_cbranch_execz .LBB0_9
; %bb.4:                                ;   in Loop: Header=BB0_3 Depth=1
	s_waitcnt vmcnt(0)
	v_mov_b32_e32 v2, 0
	v_mov_b32_e32 v3, 0
	s_mov_b64 s[4:5], 0
	s_mov_b32 s6, exec_lo
	v_cmpx_ne_u64_e32 0, v[4:5]
	s_cbranch_execz .LBB0_8
; %bb.5:                                ;   in Loop: Header=BB0_3 Depth=1
	v_lshlrev_b64 v[13:14], 3, v[29:30]
	v_dual_mov_b32 v2, 0 :: v_dual_mov_b32 v15, v8
	v_dual_mov_b32 v3, 0 :: v_dual_mov_b32 v14, v7
	s_mov_b32 s7, 0
	.p2align	6
.LBB0_6:                                ;   Parent Loop BB0_3 Depth=1
                                        ; =>  This Inner Loop Header: Depth=2
	flat_load_u8 v9, v[14:15]
	v_mov_b32_e32 v17, s11
	v_add_co_u32 v14, vcc_lo, v14, 1
	v_add_co_ci_u32_e32 v15, vcc_lo, 0, v15, vcc_lo
	s_waitcnt vmcnt(0) lgkmcnt(0)
	v_and_b32_e32 v16, 0xffff, v9
	s_delay_alu instid0(VALU_DEP_1) | instskip(SKIP_3) | instid1(VALU_DEP_2)
	v_lshlrev_b64 v[16:17], s4, v[16:17]
	s_add_u32 s4, s4, 8
	s_addc_u32 s5, s5, 0
	v_cmp_eq_u32_e64 s0, s4, v13
	v_or_b32_e32 v3, v17, v3
	s_delay_alu instid0(VALU_DEP_3) | instskip(NEXT) | instid1(VALU_DEP_3)
	v_or_b32_e32 v2, v16, v2
	s_or_b32 s7, s0, s7
	s_delay_alu instid0(SALU_CYCLE_1)
	s_and_not1_b32 exec_lo, exec_lo, s7
	s_cbranch_execnz .LBB0_6
; %bb.7:                                ;   in Loop: Header=BB0_3 Depth=1
	s_or_b32 exec_lo, exec_lo, s7
.LBB0_8:                                ;   in Loop: Header=BB0_3 Depth=1
	s_delay_alu instid0(SALU_CYCLE_1)
	s_or_b32 exec_lo, exec_lo, s6
	s_mov_b32 s4, 0
.LBB0_9:                                ;   in Loop: Header=BB0_3 Depth=1
	s_or_saveexec_b32 s0, s1
	v_dual_mov_b32 v9, s4 :: v_dual_mov_b32 v26, v8
	v_mov_b32_e32 v25, v7
	s_xor_b32 exec_lo, exec_lo, s0
	s_cbranch_execz .LBB0_11
; %bb.10:                               ;   in Loop: Header=BB0_3 Depth=1
	s_waitcnt vmcnt(0)
	flat_load_b64 v[2:3], v[7:8]
	v_add_co_u32 v25, vcc_lo, v7, 8
	v_add_co_ci_u32_e32 v26, vcc_lo, 0, v8, vcc_lo
	s_waitcnt vmcnt(0) lgkmcnt(0)
	v_and_b32_e32 v9, 0xff, v3
	v_and_b32_e32 v13, 0xff00, v3
	;; [unrolled: 1-line block ×4, first 2 shown]
	v_or3_b32 v2, v2, 0, 0
	s_delay_alu instid0(VALU_DEP_4) | instskip(SKIP_1) | instid1(VALU_DEP_2)
	v_or_b32_e32 v13, v9, v13
	v_add_nc_u32_e32 v9, -8, v29
	v_or3_b32 v3, v13, v14, v3
.LBB0_11:                               ;   in Loop: Header=BB0_3 Depth=1
	s_or_b32 exec_lo, exec_lo, s0
                                        ; implicit-def: $vgpr13_vgpr14
                                        ; implicit-def: $sgpr1
	s_delay_alu instid0(SALU_CYCLE_1) | instskip(NEXT) | instid1(VALU_DEP_2)
	s_mov_b32 s0, exec_lo
	v_cmpx_gt_u32_e32 8, v9
	s_xor_b32 s6, exec_lo, s0
	s_cbranch_execz .LBB0_17
; %bb.12:                               ;   in Loop: Header=BB0_3 Depth=1
	v_mov_b32_e32 v13, 0
	v_mov_b32_e32 v14, 0
	s_mov_b32 s7, exec_lo
	v_cmpx_ne_u32_e32 0, v9
	s_cbranch_execz .LBB0_16
; %bb.13:                               ;   in Loop: Header=BB0_3 Depth=1
	v_mov_b32_e32 v13, 0
	v_mov_b32_e32 v14, 0
	s_mov_b64 s[0:1], 0
	s_mov_b32 s13, 0
	s_mov_b64 s[4:5], 0
	.p2align	6
.LBB0_14:                               ;   Parent Loop BB0_3 Depth=1
                                        ; =>  This Inner Loop Header: Depth=2
	s_delay_alu instid0(SALU_CYCLE_1)
	v_add_co_u32 v15, vcc_lo, v25, s4
	v_add_co_ci_u32_e32 v16, vcc_lo, s5, v26, vcc_lo
	s_add_u32 s4, s4, 1
	s_addc_u32 s5, s5, 0
	v_cmp_eq_u32_e32 vcc_lo, s4, v9
	flat_load_u8 v15, v[15:16]
	s_waitcnt vmcnt(0) lgkmcnt(0)
	v_dual_mov_b32 v16, s11 :: v_dual_and_b32 v15, 0xffff, v15
	s_delay_alu instid0(VALU_DEP_1) | instskip(SKIP_3) | instid1(VALU_DEP_1)
	v_lshlrev_b64 v[15:16], s0, v[15:16]
	s_add_u32 s0, s0, 8
	s_addc_u32 s1, s1, 0
	s_or_b32 s13, vcc_lo, s13
	v_or_b32_e32 v14, v16, v14
	s_delay_alu instid0(VALU_DEP_2)
	v_or_b32_e32 v13, v15, v13
	s_and_not1_b32 exec_lo, exec_lo, s13
	s_cbranch_execnz .LBB0_14
; %bb.15:                               ;   in Loop: Header=BB0_3 Depth=1
	s_or_b32 exec_lo, exec_lo, s13
.LBB0_16:                               ;   in Loop: Header=BB0_3 Depth=1
	s_delay_alu instid0(SALU_CYCLE_1)
	s_or_b32 exec_lo, exec_lo, s7
	s_mov_b32 s1, 0
                                        ; implicit-def: $vgpr9
.LBB0_17:                               ;   in Loop: Header=BB0_3 Depth=1
	s_or_saveexec_b32 s0, s6
	v_mov_b32_e32 v17, s1
	s_xor_b32 exec_lo, exec_lo, s0
	s_cbranch_execz .LBB0_19
; %bb.18:                               ;   in Loop: Header=BB0_3 Depth=1
	flat_load_b64 v[13:14], v[25:26]
	v_add_co_u32 v25, vcc_lo, v25, 8
	v_add_nc_u32_e32 v17, -8, v9
	v_add_co_ci_u32_e32 v26, vcc_lo, 0, v26, vcc_lo
	s_waitcnt vmcnt(0) lgkmcnt(0)
	v_and_b32_e32 v15, 0xff, v14
	v_and_b32_e32 v16, 0xff00, v14
	;; [unrolled: 1-line block ×4, first 2 shown]
	v_or3_b32 v13, v13, 0, 0
	s_delay_alu instid0(VALU_DEP_4) | instskip(NEXT) | instid1(VALU_DEP_1)
	v_or_b32_e32 v15, v15, v16
	v_or3_b32 v14, v15, v18, v14
.LBB0_19:                               ;   in Loop: Header=BB0_3 Depth=1
	s_or_b32 exec_lo, exec_lo, s0
                                        ; implicit-def: $sgpr1
	s_delay_alu instid0(SALU_CYCLE_1)
	s_mov_b32 s0, exec_lo
	v_cmpx_gt_u32_e32 8, v17
	s_xor_b32 s6, exec_lo, s0
	s_cbranch_execz .LBB0_25
; %bb.20:                               ;   in Loop: Header=BB0_3 Depth=1
	v_mov_b32_e32 v15, 0
	v_mov_b32_e32 v16, 0
	s_mov_b32 s7, exec_lo
	v_cmpx_ne_u32_e32 0, v17
	s_cbranch_execz .LBB0_24
; %bb.21:                               ;   in Loop: Header=BB0_3 Depth=1
	v_mov_b32_e32 v15, 0
	v_mov_b32_e32 v16, 0
	s_mov_b64 s[0:1], 0
	s_mov_b32 s13, 0
	s_mov_b64 s[4:5], 0
	.p2align	6
.LBB0_22:                               ;   Parent Loop BB0_3 Depth=1
                                        ; =>  This Inner Loop Header: Depth=2
	s_delay_alu instid0(SALU_CYCLE_1)
	v_add_co_u32 v18, vcc_lo, v25, s4
	v_add_co_ci_u32_e32 v19, vcc_lo, s5, v26, vcc_lo
	s_add_u32 s4, s4, 1
	s_addc_u32 s5, s5, 0
	v_cmp_eq_u32_e32 vcc_lo, s4, v17
	flat_load_u8 v9, v[18:19]
	s_waitcnt vmcnt(0) lgkmcnt(0)
	v_dual_mov_b32 v19, s11 :: v_dual_and_b32 v18, 0xffff, v9
	s_delay_alu instid0(VALU_DEP_1) | instskip(SKIP_3) | instid1(VALU_DEP_1)
	v_lshlrev_b64 v[18:19], s0, v[18:19]
	s_add_u32 s0, s0, 8
	s_addc_u32 s1, s1, 0
	s_or_b32 s13, vcc_lo, s13
	v_or_b32_e32 v16, v19, v16
	s_delay_alu instid0(VALU_DEP_2)
	v_or_b32_e32 v15, v18, v15
	s_and_not1_b32 exec_lo, exec_lo, s13
	s_cbranch_execnz .LBB0_22
; %bb.23:                               ;   in Loop: Header=BB0_3 Depth=1
	s_or_b32 exec_lo, exec_lo, s13
.LBB0_24:                               ;   in Loop: Header=BB0_3 Depth=1
	s_delay_alu instid0(SALU_CYCLE_1)
	s_or_b32 exec_lo, exec_lo, s7
	s_mov_b32 s1, 0
                                        ; implicit-def: $vgpr17
.LBB0_25:                               ;   in Loop: Header=BB0_3 Depth=1
	s_or_saveexec_b32 s0, s6
	v_mov_b32_e32 v9, s1
	s_xor_b32 exec_lo, exec_lo, s0
	s_cbranch_execz .LBB0_27
; %bb.26:                               ;   in Loop: Header=BB0_3 Depth=1
	flat_load_b64 v[15:16], v[25:26]
	v_add_co_u32 v25, vcc_lo, v25, 8
	v_add_co_ci_u32_e32 v26, vcc_lo, 0, v26, vcc_lo
	s_waitcnt vmcnt(0) lgkmcnt(0)
	v_and_b32_e32 v9, 0xff, v16
	v_and_b32_e32 v18, 0xff00, v16
	;; [unrolled: 1-line block ×4, first 2 shown]
	v_or3_b32 v15, v15, 0, 0
	s_delay_alu instid0(VALU_DEP_4) | instskip(SKIP_1) | instid1(VALU_DEP_2)
	v_or_b32_e32 v18, v9, v18
	v_add_nc_u32_e32 v9, -8, v17
	v_or3_b32 v16, v18, v19, v16
.LBB0_27:                               ;   in Loop: Header=BB0_3 Depth=1
	s_or_b32 exec_lo, exec_lo, s0
                                        ; implicit-def: $vgpr17_vgpr18
                                        ; implicit-def: $sgpr1
	s_delay_alu instid0(SALU_CYCLE_1) | instskip(NEXT) | instid1(VALU_DEP_1)
	s_mov_b32 s0, exec_lo
	v_cmpx_gt_u32_e32 8, v9
	s_xor_b32 s6, exec_lo, s0
	s_cbranch_execz .LBB0_33
; %bb.28:                               ;   in Loop: Header=BB0_3 Depth=1
	v_mov_b32_e32 v17, 0
	v_mov_b32_e32 v18, 0
	s_mov_b32 s7, exec_lo
	v_cmpx_ne_u32_e32 0, v9
	s_cbranch_execz .LBB0_32
; %bb.29:                               ;   in Loop: Header=BB0_3 Depth=1
	v_mov_b32_e32 v17, 0
	v_mov_b32_e32 v18, 0
	s_mov_b64 s[0:1], 0
	s_mov_b32 s13, 0
	s_mov_b64 s[4:5], 0
	.p2align	6
.LBB0_30:                               ;   Parent Loop BB0_3 Depth=1
                                        ; =>  This Inner Loop Header: Depth=2
	s_delay_alu instid0(SALU_CYCLE_1)
	v_add_co_u32 v19, vcc_lo, v25, s4
	v_add_co_ci_u32_e32 v20, vcc_lo, s5, v26, vcc_lo
	s_add_u32 s4, s4, 1
	s_addc_u32 s5, s5, 0
	v_cmp_eq_u32_e32 vcc_lo, s4, v9
	flat_load_u8 v19, v[19:20]
	s_waitcnt vmcnt(0) lgkmcnt(0)
	v_dual_mov_b32 v20, s11 :: v_dual_and_b32 v19, 0xffff, v19
	s_delay_alu instid0(VALU_DEP_1) | instskip(SKIP_3) | instid1(VALU_DEP_1)
	v_lshlrev_b64 v[19:20], s0, v[19:20]
	s_add_u32 s0, s0, 8
	s_addc_u32 s1, s1, 0
	s_or_b32 s13, vcc_lo, s13
	v_or_b32_e32 v18, v20, v18
	s_delay_alu instid0(VALU_DEP_2)
	v_or_b32_e32 v17, v19, v17
	s_and_not1_b32 exec_lo, exec_lo, s13
	s_cbranch_execnz .LBB0_30
; %bb.31:                               ;   in Loop: Header=BB0_3 Depth=1
	s_or_b32 exec_lo, exec_lo, s13
.LBB0_32:                               ;   in Loop: Header=BB0_3 Depth=1
	s_delay_alu instid0(SALU_CYCLE_1)
	s_or_b32 exec_lo, exec_lo, s7
	s_mov_b32 s1, 0
                                        ; implicit-def: $vgpr9
.LBB0_33:                               ;   in Loop: Header=BB0_3 Depth=1
	s_or_saveexec_b32 s0, s6
	v_mov_b32_e32 v21, s1
	s_xor_b32 exec_lo, exec_lo, s0
	s_cbranch_execz .LBB0_35
; %bb.34:                               ;   in Loop: Header=BB0_3 Depth=1
	flat_load_b64 v[17:18], v[25:26]
	v_add_co_u32 v25, vcc_lo, v25, 8
	v_add_nc_u32_e32 v21, -8, v9
	v_add_co_ci_u32_e32 v26, vcc_lo, 0, v26, vcc_lo
	s_waitcnt vmcnt(0) lgkmcnt(0)
	v_and_b32_e32 v19, 0xff, v18
	v_and_b32_e32 v20, 0xff00, v18
	;; [unrolled: 1-line block ×4, first 2 shown]
	v_or3_b32 v17, v17, 0, 0
	s_delay_alu instid0(VALU_DEP_4) | instskip(NEXT) | instid1(VALU_DEP_1)
	v_or_b32_e32 v19, v19, v20
	v_or3_b32 v18, v19, v22, v18
.LBB0_35:                               ;   in Loop: Header=BB0_3 Depth=1
	s_or_b32 exec_lo, exec_lo, s0
                                        ; implicit-def: $sgpr1
	s_delay_alu instid0(SALU_CYCLE_1)
	s_mov_b32 s0, exec_lo
	v_cmpx_gt_u32_e32 8, v21
	s_xor_b32 s6, exec_lo, s0
	s_cbranch_execz .LBB0_41
; %bb.36:                               ;   in Loop: Header=BB0_3 Depth=1
	v_mov_b32_e32 v19, 0
	v_mov_b32_e32 v20, 0
	s_mov_b32 s7, exec_lo
	v_cmpx_ne_u32_e32 0, v21
	s_cbranch_execz .LBB0_40
; %bb.37:                               ;   in Loop: Header=BB0_3 Depth=1
	v_mov_b32_e32 v19, 0
	v_mov_b32_e32 v20, 0
	s_mov_b64 s[0:1], 0
	s_mov_b32 s13, 0
	s_mov_b64 s[4:5], 0
	.p2align	6
.LBB0_38:                               ;   Parent Loop BB0_3 Depth=1
                                        ; =>  This Inner Loop Header: Depth=2
	s_delay_alu instid0(SALU_CYCLE_1)
	v_add_co_u32 v22, vcc_lo, v25, s4
	v_add_co_ci_u32_e32 v23, vcc_lo, s5, v26, vcc_lo
	s_add_u32 s4, s4, 1
	s_addc_u32 s5, s5, 0
	v_cmp_eq_u32_e32 vcc_lo, s4, v21
	flat_load_u8 v9, v[22:23]
	s_waitcnt vmcnt(0) lgkmcnt(0)
	v_dual_mov_b32 v23, s11 :: v_dual_and_b32 v22, 0xffff, v9
	s_delay_alu instid0(VALU_DEP_1) | instskip(SKIP_3) | instid1(VALU_DEP_1)
	v_lshlrev_b64 v[22:23], s0, v[22:23]
	s_add_u32 s0, s0, 8
	s_addc_u32 s1, s1, 0
	s_or_b32 s13, vcc_lo, s13
	v_or_b32_e32 v20, v23, v20
	s_delay_alu instid0(VALU_DEP_2)
	v_or_b32_e32 v19, v22, v19
	s_and_not1_b32 exec_lo, exec_lo, s13
	s_cbranch_execnz .LBB0_38
; %bb.39:                               ;   in Loop: Header=BB0_3 Depth=1
	s_or_b32 exec_lo, exec_lo, s13
.LBB0_40:                               ;   in Loop: Header=BB0_3 Depth=1
	s_delay_alu instid0(SALU_CYCLE_1)
	s_or_b32 exec_lo, exec_lo, s7
	s_mov_b32 s1, 0
                                        ; implicit-def: $vgpr21
.LBB0_41:                               ;   in Loop: Header=BB0_3 Depth=1
	s_or_saveexec_b32 s0, s6
	v_mov_b32_e32 v9, s1
	s_xor_b32 exec_lo, exec_lo, s0
	s_cbranch_execz .LBB0_43
; %bb.42:                               ;   in Loop: Header=BB0_3 Depth=1
	flat_load_b64 v[19:20], v[25:26]
	v_add_co_u32 v25, vcc_lo, v25, 8
	v_add_co_ci_u32_e32 v26, vcc_lo, 0, v26, vcc_lo
	s_waitcnt vmcnt(0) lgkmcnt(0)
	v_and_b32_e32 v9, 0xff, v20
	v_and_b32_e32 v22, 0xff00, v20
	;; [unrolled: 1-line block ×4, first 2 shown]
	v_or3_b32 v19, v19, 0, 0
	s_delay_alu instid0(VALU_DEP_4) | instskip(SKIP_1) | instid1(VALU_DEP_2)
	v_or_b32_e32 v22, v9, v22
	v_add_nc_u32_e32 v9, -8, v21
	v_or3_b32 v20, v22, v23, v20
.LBB0_43:                               ;   in Loop: Header=BB0_3 Depth=1
	s_or_b32 exec_lo, exec_lo, s0
                                        ; implicit-def: $vgpr21_vgpr22
                                        ; implicit-def: $sgpr1
	s_delay_alu instid0(SALU_CYCLE_1) | instskip(NEXT) | instid1(VALU_DEP_1)
	s_mov_b32 s0, exec_lo
	v_cmpx_gt_u32_e32 8, v9
	s_xor_b32 s6, exec_lo, s0
	s_cbranch_execz .LBB0_49
; %bb.44:                               ;   in Loop: Header=BB0_3 Depth=1
	v_mov_b32_e32 v21, 0
	v_mov_b32_e32 v22, 0
	s_mov_b32 s7, exec_lo
	v_cmpx_ne_u32_e32 0, v9
	s_cbranch_execz .LBB0_48
; %bb.45:                               ;   in Loop: Header=BB0_3 Depth=1
	v_mov_b32_e32 v21, 0
	v_mov_b32_e32 v22, 0
	s_mov_b64 s[0:1], 0
	s_mov_b32 s13, 0
	s_mov_b64 s[4:5], 0
	.p2align	6
.LBB0_46:                               ;   Parent Loop BB0_3 Depth=1
                                        ; =>  This Inner Loop Header: Depth=2
	s_delay_alu instid0(SALU_CYCLE_1)
	v_add_co_u32 v23, vcc_lo, v25, s4
	v_add_co_ci_u32_e32 v24, vcc_lo, s5, v26, vcc_lo
	s_add_u32 s4, s4, 1
	s_addc_u32 s5, s5, 0
	v_cmp_eq_u32_e32 vcc_lo, s4, v9
	flat_load_u8 v23, v[23:24]
	s_waitcnt vmcnt(0) lgkmcnt(0)
	v_dual_mov_b32 v24, s11 :: v_dual_and_b32 v23, 0xffff, v23
	s_delay_alu instid0(VALU_DEP_1) | instskip(SKIP_3) | instid1(VALU_DEP_1)
	v_lshlrev_b64 v[23:24], s0, v[23:24]
	s_add_u32 s0, s0, 8
	s_addc_u32 s1, s1, 0
	s_or_b32 s13, vcc_lo, s13
	v_or_b32_e32 v22, v24, v22
	s_delay_alu instid0(VALU_DEP_2)
	v_or_b32_e32 v21, v23, v21
	s_and_not1_b32 exec_lo, exec_lo, s13
	s_cbranch_execnz .LBB0_46
; %bb.47:                               ;   in Loop: Header=BB0_3 Depth=1
	s_or_b32 exec_lo, exec_lo, s13
.LBB0_48:                               ;   in Loop: Header=BB0_3 Depth=1
	s_delay_alu instid0(SALU_CYCLE_1)
	s_or_b32 exec_lo, exec_lo, s7
	s_mov_b32 s1, 0
                                        ; implicit-def: $vgpr9
.LBB0_49:                               ;   in Loop: Header=BB0_3 Depth=1
	s_or_saveexec_b32 s0, s6
	v_mov_b32_e32 v27, s1
	s_xor_b32 exec_lo, exec_lo, s0
	s_cbranch_execz .LBB0_51
; %bb.50:                               ;   in Loop: Header=BB0_3 Depth=1
	flat_load_b64 v[21:22], v[25:26]
	v_add_co_u32 v25, vcc_lo, v25, 8
	v_add_nc_u32_e32 v27, -8, v9
	v_add_co_ci_u32_e32 v26, vcc_lo, 0, v26, vcc_lo
	s_waitcnt vmcnt(0) lgkmcnt(0)
	v_and_b32_e32 v23, 0xff, v22
	v_and_b32_e32 v24, 0xff00, v22
	;; [unrolled: 1-line block ×4, first 2 shown]
	v_or3_b32 v21, v21, 0, 0
	s_delay_alu instid0(VALU_DEP_4) | instskip(NEXT) | instid1(VALU_DEP_1)
	v_or_b32_e32 v23, v23, v24
	v_or3_b32 v22, v23, v28, v22
.LBB0_51:                               ;   in Loop: Header=BB0_3 Depth=1
	s_or_b32 exec_lo, exec_lo, s0
	s_delay_alu instid0(SALU_CYCLE_1)
	s_mov_b32 s0, exec_lo
	v_cmpx_gt_u32_e32 8, v27
	s_xor_b32 s4, exec_lo, s0
	s_cbranch_execz .LBB0_57
; %bb.52:                               ;   in Loop: Header=BB0_3 Depth=1
	v_mov_b32_e32 v23, 0
	v_mov_b32_e32 v24, 0
	s_mov_b32 s5, exec_lo
	v_cmpx_ne_u32_e32 0, v27
	s_cbranch_execz .LBB0_56
; %bb.53:                               ;   in Loop: Header=BB0_3 Depth=1
	v_mov_b32_e32 v23, 0
	v_mov_b32_e32 v24, 0
	s_mov_b64 s[0:1], 0
	s_mov_b32 s6, 0
	.p2align	6
.LBB0_54:                               ;   Parent Loop BB0_3 Depth=1
                                        ; =>  This Inner Loop Header: Depth=2
	flat_load_u8 v9, v[25:26]
	v_dual_mov_b32 v32, s11 :: v_dual_add_nc_u32 v27, -1, v27
	v_add_co_u32 v25, vcc_lo, v25, 1
	v_add_co_ci_u32_e32 v26, vcc_lo, 0, v26, vcc_lo
	s_delay_alu instid0(VALU_DEP_3) | instskip(SKIP_2) | instid1(VALU_DEP_1)
	v_cmp_eq_u32_e32 vcc_lo, 0, v27
	s_waitcnt vmcnt(0) lgkmcnt(0)
	v_and_b32_e32 v31, 0xffff, v9
	v_lshlrev_b64 v[31:32], s0, v[31:32]
	s_add_u32 s0, s0, 8
	s_addc_u32 s1, s1, 0
	s_or_b32 s6, vcc_lo, s6
	s_delay_alu instid0(VALU_DEP_1) | instskip(NEXT) | instid1(VALU_DEP_2)
	v_or_b32_e32 v24, v32, v24
	v_or_b32_e32 v23, v31, v23
	s_and_not1_b32 exec_lo, exec_lo, s6
	s_cbranch_execnz .LBB0_54
; %bb.55:                               ;   in Loop: Header=BB0_3 Depth=1
	s_or_b32 exec_lo, exec_lo, s6
.LBB0_56:                               ;   in Loop: Header=BB0_3 Depth=1
	s_delay_alu instid0(SALU_CYCLE_1)
	s_or_b32 exec_lo, exec_lo, s5
                                        ; implicit-def: $vgpr25_vgpr26
.LBB0_57:                               ;   in Loop: Header=BB0_3 Depth=1
	s_and_not1_saveexec_b32 s0, s4
	s_cbranch_execz .LBB0_59
; %bb.58:                               ;   in Loop: Header=BB0_3 Depth=1
	flat_load_b64 v[23:24], v[25:26]
	s_waitcnt vmcnt(0) lgkmcnt(0)
	v_and_b32_e32 v9, 0xff, v24
	v_and_b32_e32 v25, 0xff00, v24
	;; [unrolled: 1-line block ×4, first 2 shown]
	v_or3_b32 v23, v23, 0, 0
	s_delay_alu instid0(VALU_DEP_4) | instskip(NEXT) | instid1(VALU_DEP_1)
	v_or_b32_e32 v9, v9, v25
	v_or3_b32 v24, v9, v26, v24
.LBB0_59:                               ;   in Loop: Header=BB0_3 Depth=1
	s_or_b32 exec_lo, exec_lo, s0
	v_readfirstlane_b32 s0, v33
	v_mov_b32_e32 v31, 0
	v_mov_b32_e32 v32, 0
	s_delay_alu instid0(VALU_DEP_3) | instskip(NEXT) | instid1(VALU_DEP_1)
	v_cmp_eq_u32_e64 s0, s0, v33
	s_and_saveexec_b32 s1, s0
	s_cbranch_execz .LBB0_65
; %bb.60:                               ;   in Loop: Header=BB0_3 Depth=1
	s_waitcnt lgkmcnt(0)
	global_load_b64 v[27:28], v10, s[2:3] offset:24 glc
	s_waitcnt vmcnt(0)
	buffer_gl1_inv
	buffer_gl0_inv
	s_clause 0x1
	global_load_b64 v[25:26], v10, s[2:3] offset:40
	global_load_b64 v[31:32], v10, s[2:3]
	s_mov_b32 s4, exec_lo
	s_waitcnt vmcnt(1)
	v_and_b32_e32 v9, v26, v28
	v_and_b32_e32 v25, v25, v27
	s_delay_alu instid0(VALU_DEP_2) | instskip(NEXT) | instid1(VALU_DEP_2)
	v_mul_lo_u32 v9, v9, 24
	v_mul_hi_u32 v26, v25, 24
	v_mul_lo_u32 v25, v25, 24
	s_delay_alu instid0(VALU_DEP_2) | instskip(SKIP_1) | instid1(VALU_DEP_2)
	v_add_nc_u32_e32 v9, v26, v9
	s_waitcnt vmcnt(0)
	v_add_co_u32 v25, vcc_lo, v31, v25
	s_delay_alu instid0(VALU_DEP_2)
	v_add_co_ci_u32_e32 v26, vcc_lo, v32, v9, vcc_lo
	global_load_b64 v[25:26], v[25:26], off glc
	s_waitcnt vmcnt(0)
	global_atomic_cmpswap_b64 v[31:32], v10, v[25:28], s[2:3] offset:24 glc
	s_waitcnt vmcnt(0)
	buffer_gl1_inv
	buffer_gl0_inv
	v_cmpx_ne_u64_e64 v[31:32], v[27:28]
	s_cbranch_execz .LBB0_64
; %bb.61:                               ;   in Loop: Header=BB0_3 Depth=1
	s_mov_b32 s5, 0
	.p2align	6
.LBB0_62:                               ;   Parent Loop BB0_3 Depth=1
                                        ; =>  This Inner Loop Header: Depth=2
	s_sleep 1
	s_clause 0x1
	global_load_b64 v[25:26], v10, s[2:3] offset:40
	global_load_b64 v[34:35], v10, s[2:3]
	v_dual_mov_b32 v27, v31 :: v_dual_mov_b32 v28, v32
	s_waitcnt vmcnt(1)
	s_delay_alu instid0(VALU_DEP_1) | instskip(SKIP_1) | instid1(VALU_DEP_1)
	v_and_b32_e32 v9, v25, v27
	s_waitcnt vmcnt(0)
	v_mad_u64_u32 v[31:32], null, v9, 24, v[34:35]
	s_delay_alu instid0(VALU_DEP_1) | instskip(NEXT) | instid1(VALU_DEP_1)
	v_dual_mov_b32 v9, v32 :: v_dual_and_b32 v34, v26, v28
	v_mad_u64_u32 v[25:26], null, v34, 24, v[9:10]
	s_delay_alu instid0(VALU_DEP_1)
	v_mov_b32_e32 v32, v25
	global_load_b64 v[25:26], v[31:32], off glc
	s_waitcnt vmcnt(0)
	global_atomic_cmpswap_b64 v[31:32], v10, v[25:28], s[2:3] offset:24 glc
	s_waitcnt vmcnt(0)
	buffer_gl1_inv
	buffer_gl0_inv
	v_cmp_eq_u64_e32 vcc_lo, v[31:32], v[27:28]
	s_or_b32 s5, vcc_lo, s5
	s_delay_alu instid0(SALU_CYCLE_1)
	s_and_not1_b32 exec_lo, exec_lo, s5
	s_cbranch_execnz .LBB0_62
; %bb.63:                               ;   in Loop: Header=BB0_3 Depth=1
	s_or_b32 exec_lo, exec_lo, s5
.LBB0_64:                               ;   in Loop: Header=BB0_3 Depth=1
	s_delay_alu instid0(SALU_CYCLE_1)
	s_or_b32 exec_lo, exec_lo, s4
.LBB0_65:                               ;   in Loop: Header=BB0_3 Depth=1
	s_delay_alu instid0(SALU_CYCLE_1)
	s_or_b32 exec_lo, exec_lo, s1
	s_waitcnt lgkmcnt(0)
	s_clause 0x1
	global_load_b64 v[34:35], v10, s[2:3] offset:40
	global_load_b128 v[25:28], v10, s[2:3]
	v_readfirstlane_b32 s4, v31
	v_readfirstlane_b32 s5, v32
	s_mov_b32 s1, exec_lo
	s_waitcnt vmcnt(1)
	v_readfirstlane_b32 s6, v34
	v_readfirstlane_b32 s7, v35
	s_delay_alu instid0(VALU_DEP_1) | instskip(NEXT) | instid1(SALU_CYCLE_1)
	s_and_b64 s[6:7], s[4:5], s[6:7]
	s_mul_i32 s13, s7, 24
	s_mul_hi_u32 s14, s6, 24
	s_mul_i32 s15, s6, 24
	s_add_i32 s14, s14, s13
	s_waitcnt vmcnt(0)
	v_add_co_u32 v31, vcc_lo, v25, s15
	v_add_co_ci_u32_e32 v32, vcc_lo, s14, v26, vcc_lo
	s_and_saveexec_b32 s13, s0
	s_cbranch_execz .LBB0_67
; %bb.66:                               ;   in Loop: Header=BB0_3 Depth=1
	v_mov_b32_e32 v9, s1
	global_store_b128 v[31:32], v[9:12], off offset:8
.LBB0_67:                               ;   in Loop: Header=BB0_3 Depth=1
	s_or_b32 exec_lo, exec_lo, s13
	v_cmp_lt_u64_e32 vcc_lo, 56, v[4:5]
	v_or_b32_e32 v9, 0, v1
	v_or_b32_e32 v34, v0, v6
	v_lshl_add_u32 v35, v29, 2, 28
	s_lshl_b64 s[6:7], s[6:7], 12
	s_delay_alu instid0(SALU_CYCLE_1) | instskip(NEXT) | instid1(VALU_DEP_1)
	v_add_co_u32 v27, s1, v27, s6
	v_add_co_ci_u32_e64 v28, s1, s7, v28, s1
	v_dual_cndmask_b32 v1, v9, v1 :: v_dual_cndmask_b32 v0, v34, v0
	v_and_b32_e32 v9, 0x1e0, v35
	v_lshlrev_b32_e32 v34, 6, v33
	v_readfirstlane_b32 s6, v27
	v_readfirstlane_b32 s7, v28
	s_delay_alu instid0(VALU_DEP_4)
	v_and_or_b32 v0, 0xffffff1f, v0, v9
	s_clause 0x3
	global_store_b128 v34, v[0:3], s[6:7]
	global_store_b128 v34, v[13:16], s[6:7] offset:16
	global_store_b128 v34, v[17:20], s[6:7] offset:32
	;; [unrolled: 1-line block ×3, first 2 shown]
	s_and_saveexec_b32 s1, s0
	s_cbranch_execz .LBB0_75
; %bb.68:                               ;   in Loop: Header=BB0_3 Depth=1
	s_clause 0x1
	global_load_b64 v[17:18], v10, s[2:3] offset:32 glc
	global_load_b64 v[0:1], v10, s[2:3] offset:40
	v_dual_mov_b32 v15, s4 :: v_dual_mov_b32 v16, s5
	s_waitcnt vmcnt(0)
	v_readfirstlane_b32 s6, v0
	v_readfirstlane_b32 s7, v1
	s_delay_alu instid0(VALU_DEP_1) | instskip(NEXT) | instid1(SALU_CYCLE_1)
	s_and_b64 s[6:7], s[6:7], s[4:5]
	s_mul_i32 s7, s7, 24
	s_mul_hi_u32 s13, s6, 24
	s_mul_i32 s6, s6, 24
	s_add_i32 s13, s13, s7
	v_add_co_u32 v13, vcc_lo, v25, s6
	v_add_co_ci_u32_e32 v14, vcc_lo, s13, v26, vcc_lo
	s_mov_b32 s6, exec_lo
	global_store_b64 v[13:14], v[17:18], off
	s_waitcnt_vscnt null, 0x0
	global_atomic_cmpswap_b64 v[2:3], v10, v[15:18], s[2:3] offset:32 glc
	s_waitcnt vmcnt(0)
	v_cmpx_ne_u64_e64 v[2:3], v[17:18]
	s_cbranch_execz .LBB0_71
; %bb.69:                               ;   in Loop: Header=BB0_3 Depth=1
	s_mov_b32 s7, 0
.LBB0_70:                               ;   Parent Loop BB0_3 Depth=1
                                        ; =>  This Inner Loop Header: Depth=2
	v_dual_mov_b32 v0, s4 :: v_dual_mov_b32 v1, s5
	s_sleep 1
	global_store_b64 v[13:14], v[2:3], off
	s_waitcnt_vscnt null, 0x0
	global_atomic_cmpswap_b64 v[0:1], v10, v[0:3], s[2:3] offset:32 glc
	s_waitcnt vmcnt(0)
	v_cmp_eq_u64_e32 vcc_lo, v[0:1], v[2:3]
	v_dual_mov_b32 v3, v1 :: v_dual_mov_b32 v2, v0
	s_or_b32 s7, vcc_lo, s7
	s_delay_alu instid0(SALU_CYCLE_1)
	s_and_not1_b32 exec_lo, exec_lo, s7
	s_cbranch_execnz .LBB0_70
.LBB0_71:                               ;   in Loop: Header=BB0_3 Depth=1
	s_or_b32 exec_lo, exec_lo, s6
	global_load_b64 v[0:1], v10, s[2:3] offset:16
	s_mov_b32 s7, exec_lo
	s_mov_b32 s6, exec_lo
	v_mbcnt_lo_u32_b32 v2, s7, 0
	s_delay_alu instid0(VALU_DEP_1)
	v_cmpx_eq_u32_e32 0, v2
	s_cbranch_execz .LBB0_73
; %bb.72:                               ;   in Loop: Header=BB0_3 Depth=1
	s_bcnt1_i32_b32 s7, s7
	s_delay_alu instid0(SALU_CYCLE_1)
	v_mov_b32_e32 v9, s7
	s_waitcnt vmcnt(0)
	global_atomic_add_u64 v[0:1], v[9:10], off offset:8
.LBB0_73:                               ;   in Loop: Header=BB0_3 Depth=1
	s_or_b32 exec_lo, exec_lo, s6
	s_waitcnt vmcnt(0)
	global_load_b64 v[2:3], v[0:1], off offset:16
	s_waitcnt vmcnt(0)
	v_cmp_eq_u64_e32 vcc_lo, 0, v[2:3]
	s_cbranch_vccnz .LBB0_75
; %bb.74:                               ;   in Loop: Header=BB0_3 Depth=1
	global_load_b32 v9, v[0:1], off offset:24
	s_waitcnt vmcnt(0)
	v_and_b32_e32 v0, 0xffffff, v9
	s_waitcnt_vscnt null, 0x0
	global_store_b64 v[2:3], v[9:10], off
	v_readfirstlane_b32 m0, v0
	s_sendmsg sendmsg(MSG_INTERRUPT)
.LBB0_75:                               ;   in Loop: Header=BB0_3 Depth=1
	s_or_b32 exec_lo, exec_lo, s1
	v_add_co_u32 v0, vcc_lo, v27, v34
	v_add_co_ci_u32_e32 v1, vcc_lo, 0, v28, vcc_lo
	s_branch .LBB0_79
	.p2align	6
.LBB0_76:                               ;   in Loop: Header=BB0_79 Depth=2
	s_or_b32 exec_lo, exec_lo, s1
	s_delay_alu instid0(VALU_DEP_1) | instskip(NEXT) | instid1(VALU_DEP_1)
	v_readfirstlane_b32 s1, v2
	s_cmp_eq_u32 s1, 0
	s_cbranch_scc1 .LBB0_78
; %bb.77:                               ;   in Loop: Header=BB0_79 Depth=2
	s_sleep 1
	s_cbranch_execnz .LBB0_79
	s_branch .LBB0_81
	.p2align	6
.LBB0_78:                               ;   in Loop: Header=BB0_3 Depth=1
	s_branch .LBB0_81
.LBB0_79:                               ;   Parent Loop BB0_3 Depth=1
                                        ; =>  This Inner Loop Header: Depth=2
	v_mov_b32_e32 v2, 1
	s_and_saveexec_b32 s1, s0
	s_cbranch_execz .LBB0_76
; %bb.80:                               ;   in Loop: Header=BB0_79 Depth=2
	global_load_b32 v2, v[31:32], off offset:20 glc
	s_waitcnt vmcnt(0)
	buffer_gl1_inv
	buffer_gl0_inv
	v_and_b32_e32 v2, 1, v2
	s_branch .LBB0_76
.LBB0_81:                               ;   in Loop: Header=BB0_3 Depth=1
	global_load_b128 v[0:3], v[0:1], off
	s_and_saveexec_b32 s1, s0
	s_cbranch_execz .LBB0_2
; %bb.82:                               ;   in Loop: Header=BB0_3 Depth=1
	s_clause 0x2
	global_load_b64 v[2:3], v10, s[2:3] offset:40
	global_load_b64 v[17:18], v10, s[2:3] offset:24 glc
	global_load_b64 v[15:16], v10, s[2:3]
	s_waitcnt vmcnt(2)
	v_add_co_u32 v9, vcc_lo, v2, 1
	v_add_co_ci_u32_e32 v19, vcc_lo, 0, v3, vcc_lo
	s_delay_alu instid0(VALU_DEP_2) | instskip(NEXT) | instid1(VALU_DEP_2)
	v_add_co_u32 v13, vcc_lo, v9, s4
	v_add_co_ci_u32_e32 v14, vcc_lo, s5, v19, vcc_lo
	s_delay_alu instid0(VALU_DEP_1) | instskip(SKIP_1) | instid1(VALU_DEP_1)
	v_cmp_eq_u64_e32 vcc_lo, 0, v[13:14]
	v_dual_cndmask_b32 v14, v14, v19 :: v_dual_cndmask_b32 v13, v13, v9
	v_and_b32_e32 v3, v14, v3
	s_delay_alu instid0(VALU_DEP_2) | instskip(NEXT) | instid1(VALU_DEP_2)
	v_and_b32_e32 v2, v13, v2
	v_mul_lo_u32 v3, v3, 24
	s_delay_alu instid0(VALU_DEP_2) | instskip(SKIP_1) | instid1(VALU_DEP_2)
	v_mul_hi_u32 v9, v2, 24
	v_mul_lo_u32 v2, v2, 24
	v_add_nc_u32_e32 v3, v9, v3
	s_waitcnt vmcnt(0)
	s_delay_alu instid0(VALU_DEP_2) | instskip(SKIP_1) | instid1(VALU_DEP_3)
	v_add_co_u32 v2, vcc_lo, v15, v2
	v_mov_b32_e32 v15, v17
	v_add_co_ci_u32_e32 v3, vcc_lo, v16, v3, vcc_lo
	v_mov_b32_e32 v16, v18
	global_store_b64 v[2:3], v[17:18], off
	s_waitcnt_vscnt null, 0x0
	global_atomic_cmpswap_b64 v[15:16], v10, v[13:16], s[2:3] offset:24 glc
	s_waitcnt vmcnt(0)
	v_cmp_ne_u64_e32 vcc_lo, v[15:16], v[17:18]
	s_and_b32 exec_lo, exec_lo, vcc_lo
	s_cbranch_execz .LBB0_2
; %bb.83:                               ;   in Loop: Header=BB0_3 Depth=1
	s_mov_b32 s0, 0
.LBB0_84:                               ;   Parent Loop BB0_3 Depth=1
                                        ; =>  This Inner Loop Header: Depth=2
	s_sleep 1
	global_store_b64 v[2:3], v[15:16], off
	s_waitcnt_vscnt null, 0x0
	global_atomic_cmpswap_b64 v[17:18], v10, v[13:16], s[2:3] offset:24 glc
	s_waitcnt vmcnt(0)
	v_cmp_eq_u64_e32 vcc_lo, v[17:18], v[15:16]
	v_dual_mov_b32 v15, v17 :: v_dual_mov_b32 v16, v18
	s_or_b32 s0, vcc_lo, s0
	s_delay_alu instid0(SALU_CYCLE_1)
	s_and_not1_b32 exec_lo, exec_lo, s0
	s_cbranch_execnz .LBB0_84
	s_branch .LBB0_2
.LBB0_85:
	s_or_b32 exec_lo, exec_lo, s12
                                        ; implicit-def: $vgpr0
                                        ; implicit-def: $vgpr33
                                        ; implicit-def: $vgpr1
.LBB0_86:
	s_and_not1_saveexec_b32 s1, s10
	s_cbranch_execz .LBB0_108
; %bb.87:
	s_load_b64 s[2:3], s[8:9], 0x50
	v_readfirstlane_b32 s0, v33
	v_mov_b32_e32 v8, 0
	v_mov_b32_e32 v9, 0
	s_delay_alu instid0(VALU_DEP_3) | instskip(NEXT) | instid1(VALU_DEP_1)
	v_cmp_eq_u32_e64 s0, s0, v33
	s_and_saveexec_b32 s4, s0
	s_cbranch_execz .LBB0_93
; %bb.88:
	s_waitcnt vmcnt(0)
	v_mov_b32_e32 v2, 0
	s_mov_b32 s5, exec_lo
	s_waitcnt lgkmcnt(0)
	global_load_b64 v[5:6], v2, s[2:3] offset:24 glc
	s_waitcnt vmcnt(0)
	buffer_gl1_inv
	buffer_gl0_inv
	s_clause 0x1
	global_load_b64 v[3:4], v2, s[2:3] offset:40
	global_load_b64 v[7:8], v2, s[2:3]
	s_waitcnt vmcnt(1)
	v_and_b32_e32 v3, v3, v5
	v_and_b32_e32 v4, v4, v6
	s_delay_alu instid0(VALU_DEP_2) | instskip(NEXT) | instid1(VALU_DEP_2)
	v_mul_hi_u32 v9, v3, 24
	v_mul_lo_u32 v4, v4, 24
	v_mul_lo_u32 v3, v3, 24
	s_delay_alu instid0(VALU_DEP_2) | instskip(SKIP_1) | instid1(VALU_DEP_2)
	v_add_nc_u32_e32 v4, v9, v4
	s_waitcnt vmcnt(0)
	v_add_co_u32 v3, vcc_lo, v7, v3
	s_delay_alu instid0(VALU_DEP_2)
	v_add_co_ci_u32_e32 v4, vcc_lo, v8, v4, vcc_lo
	global_load_b64 v[3:4], v[3:4], off glc
	s_waitcnt vmcnt(0)
	global_atomic_cmpswap_b64 v[8:9], v2, v[3:6], s[2:3] offset:24 glc
	s_waitcnt vmcnt(0)
	buffer_gl1_inv
	buffer_gl0_inv
	v_cmpx_ne_u64_e64 v[8:9], v[5:6]
	s_cbranch_execz .LBB0_92
; %bb.89:
	s_mov_b32 s6, 0
	.p2align	6
.LBB0_90:                               ; =>This Inner Loop Header: Depth=1
	s_sleep 1
	s_clause 0x1
	global_load_b64 v[3:4], v2, s[2:3] offset:40
	global_load_b64 v[10:11], v2, s[2:3]
	v_dual_mov_b32 v5, v8 :: v_dual_mov_b32 v6, v9
	s_waitcnt vmcnt(1)
	s_delay_alu instid0(VALU_DEP_1) | instskip(NEXT) | instid1(VALU_DEP_2)
	v_and_b32_e32 v3, v3, v5
	v_and_b32_e32 v4, v4, v6
	s_waitcnt vmcnt(0)
	s_delay_alu instid0(VALU_DEP_2) | instskip(NEXT) | instid1(VALU_DEP_1)
	v_mad_u64_u32 v[7:8], null, v3, 24, v[10:11]
	v_mov_b32_e32 v3, v8
	s_delay_alu instid0(VALU_DEP_1)
	v_mad_u64_u32 v[8:9], null, v4, 24, v[3:4]
	global_load_b64 v[3:4], v[7:8], off glc
	s_waitcnt vmcnt(0)
	global_atomic_cmpswap_b64 v[8:9], v2, v[3:6], s[2:3] offset:24 glc
	s_waitcnt vmcnt(0)
	buffer_gl1_inv
	buffer_gl0_inv
	v_cmp_eq_u64_e32 vcc_lo, v[8:9], v[5:6]
	s_or_b32 s6, vcc_lo, s6
	s_delay_alu instid0(SALU_CYCLE_1)
	s_and_not1_b32 exec_lo, exec_lo, s6
	s_cbranch_execnz .LBB0_90
; %bb.91:
	s_or_b32 exec_lo, exec_lo, s6
.LBB0_92:
	s_delay_alu instid0(SALU_CYCLE_1)
	s_or_b32 exec_lo, exec_lo, s5
.LBB0_93:
	s_delay_alu instid0(SALU_CYCLE_1)
	s_or_b32 exec_lo, exec_lo, s4
	s_waitcnt vmcnt(0)
	v_mov_b32_e32 v2, 0
	v_readfirstlane_b32 s4, v8
	v_readfirstlane_b32 s5, v9
	s_mov_b32 s8, exec_lo
	s_waitcnt lgkmcnt(0)
	s_clause 0x1
	global_load_b64 v[10:11], v2, s[2:3] offset:40
	global_load_b128 v[4:7], v2, s[2:3]
	s_waitcnt vmcnt(1)
	v_readfirstlane_b32 s6, v10
	v_readfirstlane_b32 s7, v11
	s_delay_alu instid0(VALU_DEP_1) | instskip(NEXT) | instid1(SALU_CYCLE_1)
	s_and_b64 s[6:7], s[4:5], s[6:7]
	s_mul_i32 s9, s7, 24
	s_mul_hi_u32 s10, s6, 24
	s_mul_i32 s11, s6, 24
	s_add_i32 s10, s10, s9
	s_waitcnt vmcnt(0)
	v_add_co_u32 v8, vcc_lo, v4, s11
	v_add_co_ci_u32_e32 v9, vcc_lo, s10, v5, vcc_lo
	s_and_saveexec_b32 s9, s0
	s_cbranch_execz .LBB0_95
; %bb.94:
	v_dual_mov_b32 v10, s8 :: v_dual_mov_b32 v11, v2
	v_dual_mov_b32 v12, 2 :: v_dual_mov_b32 v13, 1
	global_store_b128 v[8:9], v[10:13], off offset:8
.LBB0_95:
	s_or_b32 exec_lo, exec_lo, s9
	s_lshl_b64 s[6:7], s[6:7], 12
	s_mov_b32 s8, 0
	v_add_co_u32 v6, vcc_lo, v6, s6
	v_add_co_ci_u32_e32 v7, vcc_lo, s7, v7, vcc_lo
	s_mov_b32 s11, s8
	s_mov_b32 s9, s8
	;; [unrolled: 1-line block ×3, first 2 shown]
	v_and_or_b32 v0, 0xffffff1f, v0, 32
	v_dual_mov_b32 v3, v2 :: v_dual_lshlrev_b32 v14, 6, v33
	v_readfirstlane_b32 s6, v6
	v_readfirstlane_b32 s7, v7
	v_dual_mov_b32 v13, s11 :: v_dual_mov_b32 v12, s10
	v_dual_mov_b32 v11, s9 :: v_dual_mov_b32 v10, s8
	s_clause 0x3
	global_store_b128 v14, v[0:3], s[6:7]
	global_store_b128 v14, v[10:13], s[6:7] offset:16
	global_store_b128 v14, v[10:13], s[6:7] offset:32
	;; [unrolled: 1-line block ×3, first 2 shown]
	s_and_saveexec_b32 s6, s0
	s_cbranch_execz .LBB0_102
; %bb.96:
	v_mov_b32_e32 v6, 0
	s_mov_b32 s7, exec_lo
	s_clause 0x1
	global_load_b64 v[12:13], v6, s[2:3] offset:32 glc
	global_load_b64 v[0:1], v6, s[2:3] offset:40
	v_dual_mov_b32 v11, s5 :: v_dual_mov_b32 v10, s4
	s_waitcnt vmcnt(0)
	v_and_b32_e32 v1, s5, v1
	v_and_b32_e32 v0, s4, v0
	s_delay_alu instid0(VALU_DEP_2) | instskip(NEXT) | instid1(VALU_DEP_2)
	v_mul_lo_u32 v1, v1, 24
	v_mul_hi_u32 v2, v0, 24
	v_mul_lo_u32 v0, v0, 24
	s_delay_alu instid0(VALU_DEP_2) | instskip(NEXT) | instid1(VALU_DEP_2)
	v_add_nc_u32_e32 v1, v2, v1
	v_add_co_u32 v4, vcc_lo, v4, v0
	s_delay_alu instid0(VALU_DEP_2)
	v_add_co_ci_u32_e32 v5, vcc_lo, v5, v1, vcc_lo
	global_store_b64 v[4:5], v[12:13], off
	s_waitcnt_vscnt null, 0x0
	global_atomic_cmpswap_b64 v[2:3], v6, v[10:13], s[2:3] offset:32 glc
	s_waitcnt vmcnt(0)
	v_cmpx_ne_u64_e64 v[2:3], v[12:13]
	s_cbranch_execz .LBB0_98
.LBB0_97:                               ; =>This Inner Loop Header: Depth=1
	v_dual_mov_b32 v0, s4 :: v_dual_mov_b32 v1, s5
	s_sleep 1
	global_store_b64 v[4:5], v[2:3], off
	s_waitcnt_vscnt null, 0x0
	global_atomic_cmpswap_b64 v[0:1], v6, v[0:3], s[2:3] offset:32 glc
	s_waitcnt vmcnt(0)
	v_cmp_eq_u64_e32 vcc_lo, v[0:1], v[2:3]
	v_dual_mov_b32 v3, v1 :: v_dual_mov_b32 v2, v0
	s_or_b32 s8, vcc_lo, s8
	s_delay_alu instid0(SALU_CYCLE_1)
	s_and_not1_b32 exec_lo, exec_lo, s8
	s_cbranch_execnz .LBB0_97
.LBB0_98:
	s_or_b32 exec_lo, exec_lo, s7
	v_mov_b32_e32 v3, 0
	s_mov_b32 s8, exec_lo
	s_mov_b32 s7, exec_lo
	v_mbcnt_lo_u32_b32 v2, s8, 0
	global_load_b64 v[0:1], v3, s[2:3] offset:16
	v_cmpx_eq_u32_e32 0, v2
	s_cbranch_execz .LBB0_100
; %bb.99:
	s_bcnt1_i32_b32 s8, s8
	s_delay_alu instid0(SALU_CYCLE_1)
	v_mov_b32_e32 v2, s8
	s_waitcnt vmcnt(0)
	global_atomic_add_u64 v[0:1], v[2:3], off offset:8
.LBB0_100:
	s_or_b32 exec_lo, exec_lo, s7
	s_waitcnt vmcnt(0)
	global_load_b64 v[2:3], v[0:1], off offset:16
	s_waitcnt vmcnt(0)
	v_cmp_eq_u64_e32 vcc_lo, 0, v[2:3]
	s_cbranch_vccnz .LBB0_102
; %bb.101:
	global_load_b32 v0, v[0:1], off offset:24
	s_waitcnt vmcnt(0)
	v_dual_mov_b32 v1, 0 :: v_dual_and_b32 v4, 0xffffff, v0
	s_waitcnt_vscnt null, 0x0
	global_store_b64 v[2:3], v[0:1], off
	v_readfirstlane_b32 m0, v4
	s_sendmsg sendmsg(MSG_INTERRUPT)
.LBB0_102:
	s_or_b32 exec_lo, exec_lo, s6
	s_branch .LBB0_106
	.p2align	6
.LBB0_103:                              ;   in Loop: Header=BB0_106 Depth=1
	s_or_b32 exec_lo, exec_lo, s6
	s_delay_alu instid0(VALU_DEP_1) | instskip(NEXT) | instid1(VALU_DEP_1)
	v_readfirstlane_b32 s6, v0
	s_cmp_eq_u32 s6, 0
	s_cbranch_scc1 .LBB0_105
; %bb.104:                              ;   in Loop: Header=BB0_106 Depth=1
	s_sleep 1
	s_cbranch_execnz .LBB0_106
	s_branch .LBB0_109
	.p2align	6
.LBB0_105:
	s_branch .LBB0_109
.LBB0_106:                              ; =>This Inner Loop Header: Depth=1
	v_mov_b32_e32 v0, 1
	s_and_saveexec_b32 s6, s0
	s_cbranch_execz .LBB0_103
; %bb.107:                              ;   in Loop: Header=BB0_106 Depth=1
	global_load_b32 v0, v[8:9], off offset:20 glc
	s_waitcnt vmcnt(0)
	buffer_gl1_inv
	buffer_gl0_inv
	v_and_b32_e32 v0, 1, v0
	s_branch .LBB0_103
.LBB0_108:
	s_or_b32 exec_lo, exec_lo, s1
	s_waitcnt vmcnt(0) lgkmcnt(0)
	s_setpc_b64 s[30:31]
.LBB0_109:
	s_and_saveexec_b32 s6, s0
	s_cbranch_execz .LBB0_113
; %bb.110:
	v_mov_b32_e32 v6, 0
	s_clause 0x2
	global_load_b64 v[2:3], v6, s[2:3] offset:40
	global_load_b64 v[7:8], v6, s[2:3] offset:24 glc
	global_load_b64 v[4:5], v6, s[2:3]
	s_waitcnt vmcnt(2)
	v_add_co_u32 v9, vcc_lo, v2, 1
	v_add_co_ci_u32_e32 v10, vcc_lo, 0, v3, vcc_lo
	s_delay_alu instid0(VALU_DEP_2) | instskip(NEXT) | instid1(VALU_DEP_2)
	v_add_co_u32 v0, vcc_lo, v9, s4
	v_add_co_ci_u32_e32 v1, vcc_lo, s5, v10, vcc_lo
	s_delay_alu instid0(VALU_DEP_1) | instskip(SKIP_1) | instid1(VALU_DEP_1)
	v_cmp_eq_u64_e32 vcc_lo, 0, v[0:1]
	v_dual_cndmask_b32 v1, v1, v10 :: v_dual_cndmask_b32 v0, v0, v9
	v_and_b32_e32 v3, v1, v3
	s_delay_alu instid0(VALU_DEP_2) | instskip(NEXT) | instid1(VALU_DEP_2)
	v_and_b32_e32 v2, v0, v2
	v_mul_lo_u32 v3, v3, 24
	s_delay_alu instid0(VALU_DEP_2) | instskip(SKIP_1) | instid1(VALU_DEP_2)
	v_mul_hi_u32 v9, v2, 24
	v_mul_lo_u32 v2, v2, 24
	v_add_nc_u32_e32 v3, v9, v3
	s_waitcnt vmcnt(0)
	s_delay_alu instid0(VALU_DEP_2) | instskip(SKIP_1) | instid1(VALU_DEP_3)
	v_add_co_u32 v4, vcc_lo, v4, v2
	v_mov_b32_e32 v2, v7
	v_add_co_ci_u32_e32 v5, vcc_lo, v5, v3, vcc_lo
	v_mov_b32_e32 v3, v8
	global_store_b64 v[4:5], v[7:8], off
	s_waitcnt_vscnt null, 0x0
	global_atomic_cmpswap_b64 v[2:3], v6, v[0:3], s[2:3] offset:24 glc
	s_waitcnt vmcnt(0)
	v_cmp_ne_u64_e32 vcc_lo, v[2:3], v[7:8]
	s_and_b32 exec_lo, exec_lo, vcc_lo
	s_cbranch_execz .LBB0_113
; %bb.111:
	s_mov_b32 s0, 0
.LBB0_112:                              ; =>This Inner Loop Header: Depth=1
	s_sleep 1
	global_store_b64 v[4:5], v[2:3], off
	s_waitcnt_vscnt null, 0x0
	global_atomic_cmpswap_b64 v[7:8], v6, v[0:3], s[2:3] offset:24 glc
	s_waitcnt vmcnt(0)
	v_cmp_eq_u64_e32 vcc_lo, v[7:8], v[2:3]
	v_dual_mov_b32 v2, v7 :: v_dual_mov_b32 v3, v8
	s_or_b32 s0, vcc_lo, s0
	s_delay_alu instid0(SALU_CYCLE_1)
	s_and_not1_b32 exec_lo, exec_lo, s0
	s_cbranch_execnz .LBB0_112
.LBB0_113:
	s_or_b32 exec_lo, exec_lo, s6
	s_delay_alu instid0(SALU_CYCLE_1)
	s_or_b32 exec_lo, exec_lo, s1
	s_waitcnt lgkmcnt(0)
	s_setpc_b64 s[30:31]
.Lfunc_end0:
	.size	__ockl_fprintf_append_string_n, .Lfunc_end0-__ockl_fprintf_append_string_n
                                        ; -- End function
	.section	.AMDGPU.csdata,"",@progbits
; Function info:
; codeLenInByte = 4740
; NumSgprs: 34
; NumVgprs: 36
; ScratchSize: 0
; MemoryBound: 0
	.text
	.p2align	2                               ; -- Begin function __assert_fail
	.type	__assert_fail,@function
__assert_fail:                          ; @__assert_fail
; %bb.0:
	s_waitcnt vmcnt(0) expcnt(0) lgkmcnt(0)
	s_mov_b32 s20, s33
	s_mov_b32 s33, s32
	s_or_saveexec_b32 s0, -1
	scratch_store_b32 off, v40, s33 offset:48 ; 4-byte Folded Spill
	s_mov_b32 exec_lo, s0
	v_writelane_b32 v40, s30, 0
	s_add_i32 s32, s32, 64
	v_writelane_b32 v40, s31, 1
	s_getpc_b64 s[0:1]
	s_add_u32 s0, s0, __const.__assert_fail.fmt@rel32@lo+4
	s_addc_u32 s1, s1, __const.__assert_fail.fmt@rel32@hi+12
	s_getpc_b64 s[2:3]
	s_add_u32 s2, s2, __const.__assert_fail.fmt@rel32@lo+20
	s_addc_u32 s3, s3, __const.__assert_fail.fmt@rel32@hi+28
	v_mbcnt_lo_u32_b32 v35, -1, 0
	s_clause 0x1
	s_load_b128 s[4:7], s[0:1], 0x0
	s_load_b128 s[12:15], s[2:3], 0x0
	s_load_b64 s[2:3], s[8:9], 0x50
	v_dual_mov_b32 v5, v1 :: v_dual_mov_b32 v4, v0
	v_mov_b32_e32 v14, 0x73256020
	v_readfirstlane_b32 s0, v35
	v_mov_b32_e32 v0, 0
	v_dual_mov_b32 v2, 0 :: v_dual_mov_b32 v3, 0xa2e
	v_mov_b32_e32 v15, 0x61662027
	v_dual_mov_b32 v16, 0x64656c69 :: v_dual_mov_b32 v1, 0
	v_cmp_eq_u32_e64 s0, s0, v35
	s_waitcnt lgkmcnt(0)
	v_dual_mov_b32 v9, s7 :: v_dual_mov_b32 v8, s6
	v_dual_mov_b32 v7, s5 :: v_dual_mov_b32 v6, s4
	;; [unrolled: 1-line block ×4, first 2 shown]
	s_clause 0x4
	scratch_store_b128 off, v[6:9], s33
	scratch_store_b128 off, v[10:13], s33 offset:16
	scratch_store_b8 off, v2, s33 offset:46
	scratch_store_b16 off, v3, s33 offset:44
	scratch_store_b96 off, v[14:16], s33 offset:32
	s_and_saveexec_b32 s1, s0
	s_cbranch_execz .LBB1_6
; %bb.1:
	global_load_b64 v[8:9], v2, s[2:3] offset:24 glc
	s_waitcnt vmcnt(0)
	buffer_gl1_inv
	buffer_gl0_inv
	s_clause 0x1
	global_load_b64 v[0:1], v2, s[2:3] offset:40
	global_load_b64 v[6:7], v2, s[2:3]
	s_mov_b32 s4, exec_lo
	s_waitcnt vmcnt(1)
	v_and_b32_e32 v1, v1, v9
	v_and_b32_e32 v0, v0, v8
	s_delay_alu instid0(VALU_DEP_2) | instskip(NEXT) | instid1(VALU_DEP_2)
	v_mul_lo_u32 v1, v1, 24
	v_mul_hi_u32 v3, v0, 24
	v_mul_lo_u32 v0, v0, 24
	s_delay_alu instid0(VALU_DEP_2) | instskip(SKIP_1) | instid1(VALU_DEP_2)
	v_add_nc_u32_e32 v1, v3, v1
	s_waitcnt vmcnt(0)
	v_add_co_u32 v0, vcc_lo, v6, v0
	s_delay_alu instid0(VALU_DEP_2)
	v_add_co_ci_u32_e32 v1, vcc_lo, v7, v1, vcc_lo
	global_load_b64 v[6:7], v[0:1], off glc
	s_waitcnt vmcnt(0)
	global_atomic_cmpswap_b64 v[0:1], v2, v[6:9], s[2:3] offset:24 glc
	s_waitcnt vmcnt(0)
	buffer_gl1_inv
	buffer_gl0_inv
	v_cmpx_ne_u64_e64 v[0:1], v[8:9]
	s_cbranch_execz .LBB1_5
; %bb.2:
	s_mov_b32 s5, 0
	.p2align	6
.LBB1_3:                                ; =>This Inner Loop Header: Depth=1
	s_sleep 1
	s_clause 0x1
	global_load_b64 v[6:7], v2, s[2:3] offset:40
	global_load_b64 v[10:11], v2, s[2:3]
	v_dual_mov_b32 v9, v1 :: v_dual_mov_b32 v8, v0
	s_waitcnt vmcnt(1)
	s_delay_alu instid0(VALU_DEP_1) | instskip(SKIP_1) | instid1(VALU_DEP_1)
	v_and_b32_e32 v3, v6, v8
	s_waitcnt vmcnt(0)
	v_mad_u64_u32 v[0:1], null, v3, 24, v[10:11]
	v_and_b32_e32 v3, v7, v9
	s_delay_alu instid0(VALU_DEP_1) | instskip(NEXT) | instid1(VALU_DEP_1)
	v_mad_u64_u32 v[6:7], null, v3, 24, v[1:2]
	v_mov_b32_e32 v1, v6
	global_load_b64 v[6:7], v[0:1], off glc
	s_waitcnt vmcnt(0)
	global_atomic_cmpswap_b64 v[0:1], v2, v[6:9], s[2:3] offset:24 glc
	s_waitcnt vmcnt(0)
	buffer_gl1_inv
	buffer_gl0_inv
	v_cmp_eq_u64_e32 vcc_lo, v[0:1], v[8:9]
	s_or_b32 s5, vcc_lo, s5
	s_delay_alu instid0(SALU_CYCLE_1)
	s_and_not1_b32 exec_lo, exec_lo, s5
	s_cbranch_execnz .LBB1_3
; %bb.4:
	s_or_b32 exec_lo, exec_lo, s5
.LBB1_5:
	s_delay_alu instid0(SALU_CYCLE_1)
	s_or_b32 exec_lo, exec_lo, s4
.LBB1_6:
	s_delay_alu instid0(SALU_CYCLE_1)
	s_or_b32 exec_lo, exec_lo, s1
	s_clause 0x1
	global_load_b64 v[10:11], v2, s[2:3] offset:40
	global_load_b128 v[6:9], v2, s[2:3]
	v_readfirstlane_b32 s4, v0
	v_readfirstlane_b32 s5, v1
	s_mov_b32 s1, exec_lo
	s_waitcnt vmcnt(1)
	v_readfirstlane_b32 s6, v10
	v_readfirstlane_b32 s7, v11
	s_delay_alu instid0(VALU_DEP_1) | instskip(NEXT) | instid1(SALU_CYCLE_1)
	s_and_b64 s[6:7], s[4:5], s[6:7]
	s_mul_i32 s10, s7, 24
	s_mul_hi_u32 s11, s6, 24
	s_mul_i32 s12, s6, 24
	s_add_i32 s11, s11, s10
	s_waitcnt vmcnt(0)
	v_add_co_u32 v10, vcc_lo, v6, s12
	v_add_co_ci_u32_e32 v11, vcc_lo, s11, v7, vcc_lo
	s_and_saveexec_b32 s10, s0
	s_cbranch_execz .LBB1_8
; %bb.7:
	v_dual_mov_b32 v0, s1 :: v_dual_mov_b32 v1, 0
	v_dual_mov_b32 v2, 2 :: v_dual_mov_b32 v3, 1
	global_store_b128 v[10:11], v[0:3], off offset:8
.LBB1_8:
	s_or_b32 exec_lo, exec_lo, s10
	s_lshl_b64 s[6:7], s[6:7], 12
	v_dual_mov_b32 v1, 0 :: v_dual_lshlrev_b32 v34, 6, v35
	v_add_co_u32 v8, vcc_lo, v8, s6
	v_add_co_ci_u32_e32 v9, vcc_lo, s7, v9, vcc_lo
	s_mov_b32 s12, 0
	s_delay_alu instid0(VALU_DEP_2)
	v_add_co_u32 v12, vcc_lo, v8, v34
	s_mov_b32 s15, s12
	s_mov_b32 s13, s12
	;; [unrolled: 1-line block ×3, first 2 shown]
	v_dual_mov_b32 v0, 33 :: v_dual_mov_b32 v3, v1
	v_dual_mov_b32 v2, 1 :: v_dual_mov_b32 v17, s15
	v_readfirstlane_b32 s6, v8
	v_readfirstlane_b32 s7, v9
	v_add_co_ci_u32_e32 v13, vcc_lo, 0, v9, vcc_lo
	v_dual_mov_b32 v16, s14 :: v_dual_mov_b32 v15, s13
	v_mov_b32_e32 v14, s12
	s_clause 0x3
	global_store_b128 v34, v[0:3], s[6:7]
	global_store_b128 v34, v[14:17], s[6:7] offset:16
	global_store_b128 v34, v[14:17], s[6:7] offset:32
	;; [unrolled: 1-line block ×3, first 2 shown]
	s_and_saveexec_b32 s1, s0
	s_cbranch_execz .LBB1_16
; %bb.9:
	s_clause 0x1
	global_load_b64 v[16:17], v1, s[2:3] offset:32 glc
	global_load_b64 v[2:3], v1, s[2:3] offset:40
	v_mov_b32_e32 v14, s4
	s_mov_b32 s6, exec_lo
	s_waitcnt vmcnt(0)
	v_dual_mov_b32 v15, s5 :: v_dual_and_b32 v0, s5, v3
	v_and_b32_e32 v2, s4, v2
	s_delay_alu instid0(VALU_DEP_2) | instskip(NEXT) | instid1(VALU_DEP_2)
	v_mul_lo_u32 v0, v0, 24
	v_mul_hi_u32 v3, v2, 24
	v_mul_lo_u32 v2, v2, 24
	s_delay_alu instid0(VALU_DEP_2) | instskip(NEXT) | instid1(VALU_DEP_2)
	v_add_nc_u32_e32 v0, v3, v0
	v_add_co_u32 v2, vcc_lo, v6, v2
	s_delay_alu instid0(VALU_DEP_2)
	v_add_co_ci_u32_e32 v3, vcc_lo, v7, v0, vcc_lo
	global_store_b64 v[2:3], v[16:17], off
	s_waitcnt_vscnt null, 0x0
	global_atomic_cmpswap_b64 v[8:9], v1, v[14:17], s[2:3] offset:32 glc
	s_waitcnt vmcnt(0)
	v_cmpx_ne_u64_e64 v[8:9], v[16:17]
	s_cbranch_execz .LBB1_12
; %bb.10:
	s_mov_b32 s7, 0
.LBB1_11:                               ; =>This Inner Loop Header: Depth=1
	v_dual_mov_b32 v6, s4 :: v_dual_mov_b32 v7, s5
	s_sleep 1
	global_store_b64 v[2:3], v[8:9], off
	s_waitcnt_vscnt null, 0x0
	global_atomic_cmpswap_b64 v[6:7], v1, v[6:9], s[2:3] offset:32 glc
	s_waitcnt vmcnt(0)
	v_cmp_eq_u64_e32 vcc_lo, v[6:7], v[8:9]
	v_dual_mov_b32 v9, v7 :: v_dual_mov_b32 v8, v6
	s_or_b32 s7, vcc_lo, s7
	s_delay_alu instid0(SALU_CYCLE_1)
	s_and_not1_b32 exec_lo, exec_lo, s7
	s_cbranch_execnz .LBB1_11
.LBB1_12:
	s_or_b32 exec_lo, exec_lo, s6
	v_mov_b32_e32 v3, 0
	s_mov_b32 s7, exec_lo
	s_mov_b32 s6, exec_lo
	v_mbcnt_lo_u32_b32 v2, s7, 0
	global_load_b64 v[0:1], v3, s[2:3] offset:16
	v_cmpx_eq_u32_e32 0, v2
	s_cbranch_execz .LBB1_14
; %bb.13:
	s_bcnt1_i32_b32 s7, s7
	s_delay_alu instid0(SALU_CYCLE_1)
	v_mov_b32_e32 v2, s7
	s_waitcnt vmcnt(0)
	global_atomic_add_u64 v[0:1], v[2:3], off offset:8
.LBB1_14:
	s_or_b32 exec_lo, exec_lo, s6
	s_waitcnt vmcnt(0)
	global_load_b64 v[2:3], v[0:1], off offset:16
	s_waitcnt vmcnt(0)
	v_cmp_eq_u64_e32 vcc_lo, 0, v[2:3]
	s_cbranch_vccnz .LBB1_16
; %bb.15:
	global_load_b32 v0, v[0:1], off offset:24
	s_waitcnt vmcnt(0)
	v_dual_mov_b32 v1, 0 :: v_dual_and_b32 v6, 0xffffff, v0
	s_waitcnt_vscnt null, 0x0
	global_store_b64 v[2:3], v[0:1], off
	v_readfirstlane_b32 m0, v6
	s_sendmsg sendmsg(MSG_INTERRUPT)
.LBB1_16:
	s_or_b32 exec_lo, exec_lo, s1
	s_branch .LBB1_20
	.p2align	6
.LBB1_17:                               ;   in Loop: Header=BB1_20 Depth=1
	s_or_b32 exec_lo, exec_lo, s1
	s_delay_alu instid0(VALU_DEP_1) | instskip(NEXT) | instid1(VALU_DEP_1)
	v_readfirstlane_b32 s1, v0
	s_cmp_eq_u32 s1, 0
	s_cbranch_scc1 .LBB1_19
; %bb.18:                               ;   in Loop: Header=BB1_20 Depth=1
	s_sleep 1
	s_cbranch_execnz .LBB1_20
	s_branch .LBB1_22
	.p2align	6
.LBB1_19:
	s_branch .LBB1_22
.LBB1_20:                               ; =>This Inner Loop Header: Depth=1
	v_mov_b32_e32 v0, 1
	s_and_saveexec_b32 s1, s0
	s_cbranch_execz .LBB1_17
; %bb.21:                               ;   in Loop: Header=BB1_20 Depth=1
	global_load_b32 v0, v[10:11], off offset:20 glc
	s_waitcnt vmcnt(0)
	buffer_gl1_inv
	buffer_gl0_inv
	v_and_b32_e32 v0, 1, v0
	s_branch .LBB1_17
.LBB1_22:
	global_load_b64 v[6:7], v[12:13], off
	s_and_saveexec_b32 s1, s0
	s_cbranch_execz .LBB1_26
; %bb.23:
	v_mov_b32_e32 v10, 0
	s_clause 0x2
	global_load_b64 v[2:3], v10, s[2:3] offset:40
	global_load_b64 v[11:12], v10, s[2:3] offset:24 glc
	global_load_b64 v[8:9], v10, s[2:3]
	s_waitcnt vmcnt(2)
	v_add_co_u32 v13, vcc_lo, v2, 1
	v_add_co_ci_u32_e32 v14, vcc_lo, 0, v3, vcc_lo
	s_delay_alu instid0(VALU_DEP_2) | instskip(NEXT) | instid1(VALU_DEP_2)
	v_add_co_u32 v0, vcc_lo, v13, s4
	v_add_co_ci_u32_e32 v1, vcc_lo, s5, v14, vcc_lo
	s_delay_alu instid0(VALU_DEP_1) | instskip(SKIP_1) | instid1(VALU_DEP_1)
	v_cmp_eq_u64_e32 vcc_lo, 0, v[0:1]
	v_dual_cndmask_b32 v1, v1, v14 :: v_dual_cndmask_b32 v0, v0, v13
	v_and_b32_e32 v3, v1, v3
	s_delay_alu instid0(VALU_DEP_2) | instskip(NEXT) | instid1(VALU_DEP_2)
	v_and_b32_e32 v2, v0, v2
	v_mul_lo_u32 v3, v3, 24
	s_delay_alu instid0(VALU_DEP_2) | instskip(SKIP_1) | instid1(VALU_DEP_2)
	v_mul_hi_u32 v13, v2, 24
	v_mul_lo_u32 v2, v2, 24
	v_add_nc_u32_e32 v3, v13, v3
	s_waitcnt vmcnt(0)
	s_delay_alu instid0(VALU_DEP_2) | instskip(SKIP_1) | instid1(VALU_DEP_3)
	v_add_co_u32 v8, vcc_lo, v8, v2
	v_mov_b32_e32 v2, v11
	v_add_co_ci_u32_e32 v9, vcc_lo, v9, v3, vcc_lo
	v_mov_b32_e32 v3, v12
	global_store_b64 v[8:9], v[11:12], off
	s_waitcnt_vscnt null, 0x0
	global_atomic_cmpswap_b64 v[2:3], v10, v[0:3], s[2:3] offset:24 glc
	s_waitcnt vmcnt(0)
	v_cmp_ne_u64_e32 vcc_lo, v[2:3], v[11:12]
	s_and_b32 exec_lo, exec_lo, vcc_lo
	s_cbranch_execz .LBB1_26
; %bb.24:
	s_mov_b32 s0, 0
.LBB1_25:                               ; =>This Inner Loop Header: Depth=1
	s_sleep 1
	global_store_b64 v[8:9], v[2:3], off
	s_waitcnt_vscnt null, 0x0
	global_atomic_cmpswap_b64 v[11:12], v10, v[0:3], s[2:3] offset:24 glc
	s_waitcnt vmcnt(0)
	v_cmp_eq_u64_e32 vcc_lo, v[11:12], v[2:3]
	v_dual_mov_b32 v2, v11 :: v_dual_mov_b32 v3, v12
	s_or_b32 s0, vcc_lo, s0
	s_delay_alu instid0(SALU_CYCLE_1)
	s_and_not1_b32 exec_lo, exec_lo, s0
	s_cbranch_execnz .LBB1_25
.LBB1_26:
	s_or_b32 exec_lo, exec_lo, s1
	v_mov_b32_e32 v1, s33
	s_mov_b32 s0, 0
.LBB1_27:                               ; =>This Inner Loop Header: Depth=1
	scratch_load_u8 v2, v1, off
	v_add_nc_u32_e32 v0, 1, v1
	s_delay_alu instid0(VALU_DEP_1) | instskip(SKIP_3) | instid1(SALU_CYCLE_1)
	v_mov_b32_e32 v1, v0
	s_waitcnt vmcnt(0)
	v_cmp_eq_u16_e32 vcc_lo, 0, v2
	s_or_b32 s0, vcc_lo, s0
	s_and_not1_b32 exec_lo, exec_lo, s0
	s_cbranch_execnz .LBB1_27
; %bb.28:
	s_or_b32 exec_lo, exec_lo, s0
	v_cmp_ne_u32_e64 s0, -1, s33
	s_delay_alu instid0(VALU_DEP_1)
	s_and_b32 vcc_lo, exec_lo, s0
	s_cbranch_vccz .LBB1_113
; %bb.29:
	v_subrev_nc_u32_e32 v28, s33, v0
	v_dual_mov_b32 v9, 0 :: v_dual_and_b32 v36, 2, v6
	v_dual_mov_b32 v1, v7 :: v_dual_and_b32 v0, -3, v6
	s_delay_alu instid0(VALU_DEP_3)
	v_ashrrev_i32_e32 v29, 31, v28
	v_dual_mov_b32 v37, s33 :: v_dual_mov_b32 v10, 2
	v_mov_b32_e32 v11, 1
	s_mov_b32 s11, 0
	s_mov_b32 s10, 0
	s_branch .LBB1_31
.LBB1_30:                               ;   in Loop: Header=BB1_31 Depth=1
	s_or_b32 exec_lo, exec_lo, s1
	v_sub_co_u32 v28, vcc_lo, v28, v30
	v_sub_co_ci_u32_e32 v29, vcc_lo, v29, v31, vcc_lo
	v_add_nc_u32_e32 v37, v37, v30
	s_delay_alu instid0(VALU_DEP_2) | instskip(SKIP_1) | instid1(SALU_CYCLE_1)
	v_cmp_eq_u64_e32 vcc_lo, 0, v[28:29]
	s_or_b32 s10, vcc_lo, s10
	s_and_not1_b32 exec_lo, exec_lo, s10
	s_cbranch_execz .LBB1_114
.LBB1_31:                               ; =>This Loop Header: Depth=1
                                        ;     Child Loop BB1_34 Depth 2
                                        ;     Child Loop BB1_42 Depth 2
	;; [unrolled: 1-line block ×11, first 2 shown]
	v_cmp_gt_u64_e32 vcc_lo, 56, v[28:29]
	s_mov_b32 s4, exec_lo
                                        ; implicit-def: $vgpr2_vgpr3
                                        ; implicit-def: $sgpr1
	v_dual_cndmask_b32 v31, 0, v29 :: v_dual_cndmask_b32 v30, 56, v28
	v_cmpx_gt_u64_e32 8, v[28:29]
	s_xor_b32 s4, exec_lo, s4
	s_cbranch_execz .LBB1_37
; %bb.32:                               ;   in Loop: Header=BB1_31 Depth=1
	s_waitcnt vmcnt(0)
	v_mov_b32_e32 v2, 0
	v_mov_b32_e32 v3, 0
	s_mov_b64 s[0:1], 0
	s_mov_b32 s5, exec_lo
	v_cmpx_ne_u64_e32 0, v[28:29]
	s_cbranch_execz .LBB1_36
; %bb.33:                               ;   in Loop: Header=BB1_31 Depth=1
	v_lshlrev_b64 v[12:13], 3, v[30:31]
	v_mov_b32_e32 v2, 0
	v_dual_mov_b32 v3, 0 :: v_dual_mov_b32 v8, v37
	s_mov_b32 s6, 0
.LBB1_34:                               ;   Parent Loop BB1_31 Depth=1
                                        ; =>  This Inner Loop Header: Depth=2
	scratch_load_u8 v13, v8, off
	v_mov_b32_e32 v14, s11
	v_add_nc_u32_e32 v8, 1, v8
	s_waitcnt vmcnt(0)
	v_and_b32_e32 v13, 0xffff, v13
	s_delay_alu instid0(VALU_DEP_1) | instskip(SKIP_3) | instid1(VALU_DEP_2)
	v_lshlrev_b64 v[13:14], s0, v[13:14]
	s_add_u32 s0, s0, 8
	s_addc_u32 s1, s1, 0
	v_cmp_eq_u32_e32 vcc_lo, s0, v12
	v_or_b32_e32 v3, v14, v3
	s_delay_alu instid0(VALU_DEP_3) | instskip(SKIP_1) | instid1(SALU_CYCLE_1)
	v_or_b32_e32 v2, v13, v2
	s_or_b32 s6, vcc_lo, s6
	s_and_not1_b32 exec_lo, exec_lo, s6
	s_cbranch_execnz .LBB1_34
; %bb.35:                               ;   in Loop: Header=BB1_31 Depth=1
	s_or_b32 exec_lo, exec_lo, s6
.LBB1_36:                               ;   in Loop: Header=BB1_31 Depth=1
	s_delay_alu instid0(SALU_CYCLE_1)
	s_or_b32 exec_lo, exec_lo, s5
	s_mov_b32 s1, 0
.LBB1_37:                               ;   in Loop: Header=BB1_31 Depth=1
	s_or_saveexec_b32 s0, s4
	v_mov_b32_e32 v14, s1
	v_mov_b32_e32 v8, v37
	s_xor_b32 exec_lo, exec_lo, s0
	s_cbranch_execz .LBB1_39
; %bb.38:                               ;   in Loop: Header=BB1_31 Depth=1
	scratch_load_b64 v[2:3], v37, off
	v_add_nc_u32_e32 v14, -8, v30
	s_waitcnt vmcnt(0)
	v_and_b32_e32 v8, 0xff, v3
	v_and_b32_e32 v12, 0xff00, v3
	;; [unrolled: 1-line block ×4, first 2 shown]
	v_or3_b32 v2, v2, 0, 0
	s_delay_alu instid0(VALU_DEP_4) | instskip(NEXT) | instid1(VALU_DEP_1)
	v_or_b32_e32 v8, v8, v12
	v_or3_b32 v3, v8, v13, v3
	v_add_nc_u32_e32 v8, 8, v37
.LBB1_39:                               ;   in Loop: Header=BB1_31 Depth=1
	s_or_b32 exec_lo, exec_lo, s0
                                        ; implicit-def: $vgpr12_vgpr13
                                        ; implicit-def: $sgpr1
	s_delay_alu instid0(SALU_CYCLE_1)
	s_mov_b32 s0, exec_lo
	v_cmpx_gt_u32_e32 8, v14
	s_xor_b32 s4, exec_lo, s0
	s_cbranch_execz .LBB1_45
; %bb.40:                               ;   in Loop: Header=BB1_31 Depth=1
	v_mov_b32_e32 v12, 0
	v_mov_b32_e32 v13, 0
	s_mov_b32 s5, exec_lo
	v_cmpx_ne_u32_e32 0, v14
	s_cbranch_execz .LBB1_44
; %bb.41:                               ;   in Loop: Header=BB1_31 Depth=1
	v_mov_b32_e32 v12, 0
	v_mov_b32_e32 v13, 0
	s_mov_b64 s[0:1], 0
	s_mov_b32 s6, 0
	s_mov_b32 s7, 0
	.p2align	6
.LBB1_42:                               ;   Parent Loop BB1_31 Depth=1
                                        ; =>  This Inner Loop Header: Depth=2
	s_delay_alu instid0(SALU_CYCLE_1) | instskip(SKIP_1) | instid1(SALU_CYCLE_1)
	v_dual_mov_b32 v16, s11 :: v_dual_add_nc_u32 v15, s7, v8
	s_add_i32 s7, s7, 1
	v_cmp_eq_u32_e32 vcc_lo, s7, v14
	scratch_load_u8 v15, v15, off
	s_waitcnt vmcnt(0)
	v_and_b32_e32 v15, 0xffff, v15
	s_delay_alu instid0(VALU_DEP_1) | instskip(SKIP_3) | instid1(VALU_DEP_1)
	v_lshlrev_b64 v[15:16], s0, v[15:16]
	s_add_u32 s0, s0, 8
	s_addc_u32 s1, s1, 0
	s_or_b32 s6, vcc_lo, s6
	v_or_b32_e32 v13, v16, v13
	s_delay_alu instid0(VALU_DEP_2)
	v_or_b32_e32 v12, v15, v12
	s_and_not1_b32 exec_lo, exec_lo, s6
	s_cbranch_execnz .LBB1_42
; %bb.43:                               ;   in Loop: Header=BB1_31 Depth=1
	s_or_b32 exec_lo, exec_lo, s6
.LBB1_44:                               ;   in Loop: Header=BB1_31 Depth=1
	s_delay_alu instid0(SALU_CYCLE_1)
	s_or_b32 exec_lo, exec_lo, s5
	s_mov_b32 s1, 0
                                        ; implicit-def: $vgpr14
.LBB1_45:                               ;   in Loop: Header=BB1_31 Depth=1
	s_or_saveexec_b32 s0, s4
	v_mov_b32_e32 v16, s1
	s_xor_b32 exec_lo, exec_lo, s0
	s_cbranch_execz .LBB1_47
; %bb.46:                               ;   in Loop: Header=BB1_31 Depth=1
	scratch_load_b64 v[12:13], v8, off
	v_add_nc_u32_e32 v8, 8, v8
	s_waitcnt vmcnt(0)
	v_and_b32_e32 v15, 0xff, v13
	v_and_b32_e32 v16, 0xff00, v13
	;; [unrolled: 1-line block ×4, first 2 shown]
	v_or3_b32 v12, v12, 0, 0
	s_delay_alu instid0(VALU_DEP_4) | instskip(SKIP_1) | instid1(VALU_DEP_2)
	v_or_b32_e32 v15, v15, v16
	v_add_nc_u32_e32 v16, -8, v14
	v_or3_b32 v13, v15, v17, v13
.LBB1_47:                               ;   in Loop: Header=BB1_31 Depth=1
	s_or_b32 exec_lo, exec_lo, s0
                                        ; implicit-def: $sgpr1
	s_delay_alu instid0(SALU_CYCLE_1) | instskip(NEXT) | instid1(VALU_DEP_1)
	s_mov_b32 s0, exec_lo
	v_cmpx_gt_u32_e32 8, v16
	s_xor_b32 s4, exec_lo, s0
	s_cbranch_execz .LBB1_53
; %bb.48:                               ;   in Loop: Header=BB1_31 Depth=1
	v_mov_b32_e32 v14, 0
	v_mov_b32_e32 v15, 0
	s_mov_b32 s5, exec_lo
	v_cmpx_ne_u32_e32 0, v16
	s_cbranch_execz .LBB1_52
; %bb.49:                               ;   in Loop: Header=BB1_31 Depth=1
	v_mov_b32_e32 v14, 0
	v_mov_b32_e32 v15, 0
	s_mov_b64 s[0:1], 0
	s_mov_b32 s6, 0
	s_mov_b32 s7, 0
	.p2align	6
.LBB1_50:                               ;   Parent Loop BB1_31 Depth=1
                                        ; =>  This Inner Loop Header: Depth=2
	s_delay_alu instid0(SALU_CYCLE_1) | instskip(SKIP_1) | instid1(SALU_CYCLE_1)
	v_dual_mov_b32 v18, s11 :: v_dual_add_nc_u32 v17, s7, v8
	s_add_i32 s7, s7, 1
	v_cmp_eq_u32_e32 vcc_lo, s7, v16
	scratch_load_u8 v17, v17, off
	s_waitcnt vmcnt(0)
	v_and_b32_e32 v17, 0xffff, v17
	s_delay_alu instid0(VALU_DEP_1) | instskip(SKIP_3) | instid1(VALU_DEP_1)
	v_lshlrev_b64 v[17:18], s0, v[17:18]
	s_add_u32 s0, s0, 8
	s_addc_u32 s1, s1, 0
	s_or_b32 s6, vcc_lo, s6
	v_or_b32_e32 v15, v18, v15
	s_delay_alu instid0(VALU_DEP_2)
	v_or_b32_e32 v14, v17, v14
	s_and_not1_b32 exec_lo, exec_lo, s6
	s_cbranch_execnz .LBB1_50
; %bb.51:                               ;   in Loop: Header=BB1_31 Depth=1
	s_or_b32 exec_lo, exec_lo, s6
.LBB1_52:                               ;   in Loop: Header=BB1_31 Depth=1
	s_delay_alu instid0(SALU_CYCLE_1)
	s_or_b32 exec_lo, exec_lo, s5
	s_mov_b32 s1, 0
                                        ; implicit-def: $vgpr16
.LBB1_53:                               ;   in Loop: Header=BB1_31 Depth=1
	s_or_saveexec_b32 s0, s4
	v_mov_b32_e32 v18, s1
	s_xor_b32 exec_lo, exec_lo, s0
	s_cbranch_execz .LBB1_55
; %bb.54:                               ;   in Loop: Header=BB1_31 Depth=1
	scratch_load_b64 v[14:15], v8, off
	v_add_nc_u32_e32 v8, 8, v8
	s_waitcnt vmcnt(0)
	v_and_b32_e32 v17, 0xff, v15
	v_and_b32_e32 v18, 0xff00, v15
	;; [unrolled: 1-line block ×4, first 2 shown]
	v_or3_b32 v14, v14, 0, 0
	s_delay_alu instid0(VALU_DEP_4) | instskip(SKIP_1) | instid1(VALU_DEP_2)
	v_or_b32_e32 v17, v17, v18
	v_add_nc_u32_e32 v18, -8, v16
	v_or3_b32 v15, v17, v19, v15
.LBB1_55:                               ;   in Loop: Header=BB1_31 Depth=1
	s_or_b32 exec_lo, exec_lo, s0
                                        ; implicit-def: $vgpr16_vgpr17
                                        ; implicit-def: $sgpr1
	s_delay_alu instid0(SALU_CYCLE_1) | instskip(NEXT) | instid1(VALU_DEP_1)
	s_mov_b32 s0, exec_lo
	v_cmpx_gt_u32_e32 8, v18
	s_xor_b32 s4, exec_lo, s0
	s_cbranch_execz .LBB1_61
; %bb.56:                               ;   in Loop: Header=BB1_31 Depth=1
	v_mov_b32_e32 v16, 0
	v_mov_b32_e32 v17, 0
	s_mov_b32 s5, exec_lo
	v_cmpx_ne_u32_e32 0, v18
	s_cbranch_execz .LBB1_60
; %bb.57:                               ;   in Loop: Header=BB1_31 Depth=1
	v_mov_b32_e32 v16, 0
	v_mov_b32_e32 v17, 0
	s_mov_b64 s[0:1], 0
	s_mov_b32 s6, 0
	s_mov_b32 s7, 0
	.p2align	6
.LBB1_58:                               ;   Parent Loop BB1_31 Depth=1
                                        ; =>  This Inner Loop Header: Depth=2
	s_delay_alu instid0(SALU_CYCLE_1) | instskip(SKIP_1) | instid1(SALU_CYCLE_1)
	v_dual_mov_b32 v20, s11 :: v_dual_add_nc_u32 v19, s7, v8
	s_add_i32 s7, s7, 1
	v_cmp_eq_u32_e32 vcc_lo, s7, v18
	scratch_load_u8 v19, v19, off
	s_waitcnt vmcnt(0)
	v_and_b32_e32 v19, 0xffff, v19
	s_delay_alu instid0(VALU_DEP_1) | instskip(SKIP_3) | instid1(VALU_DEP_1)
	v_lshlrev_b64 v[19:20], s0, v[19:20]
	s_add_u32 s0, s0, 8
	s_addc_u32 s1, s1, 0
	s_or_b32 s6, vcc_lo, s6
	v_or_b32_e32 v17, v20, v17
	s_delay_alu instid0(VALU_DEP_2)
	v_or_b32_e32 v16, v19, v16
	s_and_not1_b32 exec_lo, exec_lo, s6
	s_cbranch_execnz .LBB1_58
; %bb.59:                               ;   in Loop: Header=BB1_31 Depth=1
	s_or_b32 exec_lo, exec_lo, s6
.LBB1_60:                               ;   in Loop: Header=BB1_31 Depth=1
	s_delay_alu instid0(SALU_CYCLE_1)
	s_or_b32 exec_lo, exec_lo, s5
	s_mov_b32 s1, 0
                                        ; implicit-def: $vgpr18
.LBB1_61:                               ;   in Loop: Header=BB1_31 Depth=1
	s_or_saveexec_b32 s0, s4
	v_mov_b32_e32 v20, s1
	s_xor_b32 exec_lo, exec_lo, s0
	s_cbranch_execz .LBB1_63
; %bb.62:                               ;   in Loop: Header=BB1_31 Depth=1
	scratch_load_b64 v[16:17], v8, off
	v_add_nc_u32_e32 v8, 8, v8
	s_waitcnt vmcnt(0)
	v_and_b32_e32 v19, 0xff, v17
	v_and_b32_e32 v20, 0xff00, v17
	v_and_b32_e32 v21, 0xff0000, v17
	v_and_b32_e32 v17, 0xff000000, v17
	v_or3_b32 v16, v16, 0, 0
	s_delay_alu instid0(VALU_DEP_4) | instskip(SKIP_1) | instid1(VALU_DEP_2)
	v_or_b32_e32 v19, v19, v20
	v_add_nc_u32_e32 v20, -8, v18
	v_or3_b32 v17, v19, v21, v17
.LBB1_63:                               ;   in Loop: Header=BB1_31 Depth=1
	s_or_b32 exec_lo, exec_lo, s0
                                        ; implicit-def: $sgpr1
	s_delay_alu instid0(SALU_CYCLE_1) | instskip(NEXT) | instid1(VALU_DEP_1)
	s_mov_b32 s0, exec_lo
	v_cmpx_gt_u32_e32 8, v20
	s_xor_b32 s4, exec_lo, s0
	s_cbranch_execz .LBB1_69
; %bb.64:                               ;   in Loop: Header=BB1_31 Depth=1
	v_mov_b32_e32 v18, 0
	v_mov_b32_e32 v19, 0
	s_mov_b32 s5, exec_lo
	v_cmpx_ne_u32_e32 0, v20
	s_cbranch_execz .LBB1_68
; %bb.65:                               ;   in Loop: Header=BB1_31 Depth=1
	v_mov_b32_e32 v18, 0
	v_mov_b32_e32 v19, 0
	s_mov_b64 s[0:1], 0
	s_mov_b32 s6, 0
	s_mov_b32 s7, 0
	.p2align	6
.LBB1_66:                               ;   Parent Loop BB1_31 Depth=1
                                        ; =>  This Inner Loop Header: Depth=2
	s_delay_alu instid0(SALU_CYCLE_1) | instskip(SKIP_1) | instid1(SALU_CYCLE_1)
	v_dual_mov_b32 v22, s11 :: v_dual_add_nc_u32 v21, s7, v8
	s_add_i32 s7, s7, 1
	v_cmp_eq_u32_e32 vcc_lo, s7, v20
	scratch_load_u8 v21, v21, off
	s_waitcnt vmcnt(0)
	v_and_b32_e32 v21, 0xffff, v21
	s_delay_alu instid0(VALU_DEP_1) | instskip(SKIP_3) | instid1(VALU_DEP_1)
	v_lshlrev_b64 v[21:22], s0, v[21:22]
	s_add_u32 s0, s0, 8
	s_addc_u32 s1, s1, 0
	s_or_b32 s6, vcc_lo, s6
	v_or_b32_e32 v19, v22, v19
	s_delay_alu instid0(VALU_DEP_2)
	v_or_b32_e32 v18, v21, v18
	s_and_not1_b32 exec_lo, exec_lo, s6
	s_cbranch_execnz .LBB1_66
; %bb.67:                               ;   in Loop: Header=BB1_31 Depth=1
	s_or_b32 exec_lo, exec_lo, s6
.LBB1_68:                               ;   in Loop: Header=BB1_31 Depth=1
	s_delay_alu instid0(SALU_CYCLE_1)
	s_or_b32 exec_lo, exec_lo, s5
	s_mov_b32 s1, 0
                                        ; implicit-def: $vgpr20
.LBB1_69:                               ;   in Loop: Header=BB1_31 Depth=1
	s_or_saveexec_b32 s0, s4
	v_mov_b32_e32 v22, s1
	s_xor_b32 exec_lo, exec_lo, s0
	s_cbranch_execz .LBB1_71
; %bb.70:                               ;   in Loop: Header=BB1_31 Depth=1
	scratch_load_b64 v[18:19], v8, off
	v_add_nc_u32_e32 v8, 8, v8
	s_waitcnt vmcnt(0)
	v_and_b32_e32 v21, 0xff, v19
	v_and_b32_e32 v22, 0xff00, v19
	v_and_b32_e32 v23, 0xff0000, v19
	v_and_b32_e32 v19, 0xff000000, v19
	v_or3_b32 v18, v18, 0, 0
	s_delay_alu instid0(VALU_DEP_4) | instskip(SKIP_1) | instid1(VALU_DEP_2)
	v_or_b32_e32 v21, v21, v22
	v_add_nc_u32_e32 v22, -8, v20
	v_or3_b32 v19, v21, v23, v19
.LBB1_71:                               ;   in Loop: Header=BB1_31 Depth=1
	s_or_b32 exec_lo, exec_lo, s0
                                        ; implicit-def: $vgpr20_vgpr21
                                        ; implicit-def: $sgpr1
	s_delay_alu instid0(SALU_CYCLE_1) | instskip(NEXT) | instid1(VALU_DEP_1)
	s_mov_b32 s0, exec_lo
	v_cmpx_gt_u32_e32 8, v22
	s_xor_b32 s4, exec_lo, s0
	s_cbranch_execz .LBB1_77
; %bb.72:                               ;   in Loop: Header=BB1_31 Depth=1
	v_mov_b32_e32 v20, 0
	v_mov_b32_e32 v21, 0
	s_mov_b32 s5, exec_lo
	v_cmpx_ne_u32_e32 0, v22
	s_cbranch_execz .LBB1_76
; %bb.73:                               ;   in Loop: Header=BB1_31 Depth=1
	v_mov_b32_e32 v20, 0
	v_mov_b32_e32 v21, 0
	s_mov_b64 s[0:1], 0
	s_mov_b32 s6, 0
	s_mov_b32 s7, 0
	.p2align	6
.LBB1_74:                               ;   Parent Loop BB1_31 Depth=1
                                        ; =>  This Inner Loop Header: Depth=2
	s_delay_alu instid0(SALU_CYCLE_1) | instskip(SKIP_1) | instid1(SALU_CYCLE_1)
	v_dual_mov_b32 v24, s11 :: v_dual_add_nc_u32 v23, s7, v8
	s_add_i32 s7, s7, 1
	v_cmp_eq_u32_e32 vcc_lo, s7, v22
	scratch_load_u8 v23, v23, off
	s_waitcnt vmcnt(0)
	v_and_b32_e32 v23, 0xffff, v23
	s_delay_alu instid0(VALU_DEP_1) | instskip(SKIP_3) | instid1(VALU_DEP_1)
	v_lshlrev_b64 v[23:24], s0, v[23:24]
	s_add_u32 s0, s0, 8
	s_addc_u32 s1, s1, 0
	s_or_b32 s6, vcc_lo, s6
	v_or_b32_e32 v21, v24, v21
	s_delay_alu instid0(VALU_DEP_2)
	v_or_b32_e32 v20, v23, v20
	s_and_not1_b32 exec_lo, exec_lo, s6
	s_cbranch_execnz .LBB1_74
; %bb.75:                               ;   in Loop: Header=BB1_31 Depth=1
	s_or_b32 exec_lo, exec_lo, s6
.LBB1_76:                               ;   in Loop: Header=BB1_31 Depth=1
	s_delay_alu instid0(SALU_CYCLE_1)
	s_or_b32 exec_lo, exec_lo, s5
	s_mov_b32 s1, 0
                                        ; implicit-def: $vgpr22
.LBB1_77:                               ;   in Loop: Header=BB1_31 Depth=1
	s_or_saveexec_b32 s0, s4
	v_mov_b32_e32 v24, s1
	s_xor_b32 exec_lo, exec_lo, s0
	s_cbranch_execz .LBB1_79
; %bb.78:                               ;   in Loop: Header=BB1_31 Depth=1
	scratch_load_b64 v[20:21], v8, off
	v_add_nc_u32_e32 v8, 8, v8
	s_waitcnt vmcnt(0)
	v_and_b32_e32 v23, 0xff, v21
	v_and_b32_e32 v24, 0xff00, v21
	;; [unrolled: 1-line block ×4, first 2 shown]
	v_or3_b32 v20, v20, 0, 0
	s_delay_alu instid0(VALU_DEP_4) | instskip(SKIP_1) | instid1(VALU_DEP_2)
	v_or_b32_e32 v23, v23, v24
	v_add_nc_u32_e32 v24, -8, v22
	v_or3_b32 v21, v23, v25, v21
.LBB1_79:                               ;   in Loop: Header=BB1_31 Depth=1
	s_or_b32 exec_lo, exec_lo, s0
	s_delay_alu instid0(SALU_CYCLE_1) | instskip(NEXT) | instid1(VALU_DEP_1)
	s_mov_b32 s0, exec_lo
	v_cmpx_gt_u32_e32 8, v24
	s_xor_b32 s4, exec_lo, s0
	s_cbranch_execz .LBB1_85
; %bb.80:                               ;   in Loop: Header=BB1_31 Depth=1
	v_mov_b32_e32 v22, 0
	v_mov_b32_e32 v23, 0
	s_mov_b32 s5, exec_lo
	v_cmpx_ne_u32_e32 0, v24
	s_cbranch_execz .LBB1_84
; %bb.81:                               ;   in Loop: Header=BB1_31 Depth=1
	v_mov_b32_e32 v22, 0
	v_mov_b32_e32 v23, 0
	s_mov_b64 s[0:1], 0
	s_mov_b32 s6, 0
	.p2align	6
.LBB1_82:                               ;   Parent Loop BB1_31 Depth=1
                                        ; =>  This Inner Loop Header: Depth=2
	scratch_load_u8 v25, v8, off
	v_mov_b32_e32 v26, s11
	v_add_nc_u32_e32 v24, -1, v24
	v_add_nc_u32_e32 v8, 1, v8
	s_delay_alu instid0(VALU_DEP_2) | instskip(SKIP_2) | instid1(VALU_DEP_1)
	v_cmp_eq_u32_e32 vcc_lo, 0, v24
	s_waitcnt vmcnt(0)
	v_and_b32_e32 v25, 0xffff, v25
	v_lshlrev_b64 v[25:26], s0, v[25:26]
	s_add_u32 s0, s0, 8
	s_addc_u32 s1, s1, 0
	s_or_b32 s6, vcc_lo, s6
	s_delay_alu instid0(VALU_DEP_1) | instskip(NEXT) | instid1(VALU_DEP_2)
	v_or_b32_e32 v23, v26, v23
	v_or_b32_e32 v22, v25, v22
	s_and_not1_b32 exec_lo, exec_lo, s6
	s_cbranch_execnz .LBB1_82
; %bb.83:                               ;   in Loop: Header=BB1_31 Depth=1
	s_or_b32 exec_lo, exec_lo, s6
.LBB1_84:                               ;   in Loop: Header=BB1_31 Depth=1
	s_delay_alu instid0(SALU_CYCLE_1)
	s_or_b32 exec_lo, exec_lo, s5
                                        ; implicit-def: $vgpr8
.LBB1_85:                               ;   in Loop: Header=BB1_31 Depth=1
	s_and_not1_saveexec_b32 s0, s4
	s_cbranch_execz .LBB1_87
; %bb.86:                               ;   in Loop: Header=BB1_31 Depth=1
	scratch_load_b64 v[22:23], v8, off
	s_waitcnt vmcnt(0)
	v_and_b32_e32 v8, 0xff, v23
	v_and_b32_e32 v24, 0xff00, v23
	v_and_b32_e32 v25, 0xff0000, v23
	v_and_b32_e32 v23, 0xff000000, v23
	v_or3_b32 v22, v22, 0, 0
	s_delay_alu instid0(VALU_DEP_4) | instskip(NEXT) | instid1(VALU_DEP_1)
	v_or_b32_e32 v8, v8, v24
	v_or3_b32 v23, v8, v25, v23
.LBB1_87:                               ;   in Loop: Header=BB1_31 Depth=1
	s_or_b32 exec_lo, exec_lo, s0
	v_readfirstlane_b32 s0, v35
	v_mov_b32_e32 v32, 0
	v_mov_b32_e32 v33, 0
	s_delay_alu instid0(VALU_DEP_3) | instskip(NEXT) | instid1(VALU_DEP_1)
	v_cmp_eq_u32_e64 s0, s0, v35
	s_and_saveexec_b32 s1, s0
	s_cbranch_execz .LBB1_93
; %bb.88:                               ;   in Loop: Header=BB1_31 Depth=1
	global_load_b64 v[26:27], v9, s[2:3] offset:24 glc
	s_waitcnt vmcnt(0)
	buffer_gl1_inv
	buffer_gl0_inv
	s_clause 0x1
	global_load_b64 v[24:25], v9, s[2:3] offset:40
	global_load_b64 v[32:33], v9, s[2:3]
	s_mov_b32 s4, exec_lo
	s_waitcnt vmcnt(1)
	v_and_b32_e32 v8, v25, v27
	v_and_b32_e32 v24, v24, v26
	s_delay_alu instid0(VALU_DEP_2) | instskip(NEXT) | instid1(VALU_DEP_2)
	v_mul_lo_u32 v8, v8, 24
	v_mul_hi_u32 v25, v24, 24
	v_mul_lo_u32 v24, v24, 24
	s_delay_alu instid0(VALU_DEP_2) | instskip(SKIP_1) | instid1(VALU_DEP_2)
	v_add_nc_u32_e32 v8, v25, v8
	s_waitcnt vmcnt(0)
	v_add_co_u32 v24, vcc_lo, v32, v24
	s_delay_alu instid0(VALU_DEP_2)
	v_add_co_ci_u32_e32 v25, vcc_lo, v33, v8, vcc_lo
	global_load_b64 v[24:25], v[24:25], off glc
	s_waitcnt vmcnt(0)
	global_atomic_cmpswap_b64 v[32:33], v9, v[24:27], s[2:3] offset:24 glc
	s_waitcnt vmcnt(0)
	buffer_gl1_inv
	buffer_gl0_inv
	v_cmpx_ne_u64_e64 v[32:33], v[26:27]
	s_cbranch_execz .LBB1_92
; %bb.89:                               ;   in Loop: Header=BB1_31 Depth=1
	s_mov_b32 s5, 0
	.p2align	6
.LBB1_90:                               ;   Parent Loop BB1_31 Depth=1
                                        ; =>  This Inner Loop Header: Depth=2
	s_sleep 1
	s_clause 0x1
	global_load_b64 v[24:25], v9, s[2:3] offset:40
	global_load_b64 v[38:39], v9, s[2:3]
	v_dual_mov_b32 v26, v32 :: v_dual_mov_b32 v27, v33
	s_waitcnt vmcnt(1)
	s_delay_alu instid0(VALU_DEP_1) | instskip(SKIP_1) | instid1(VALU_DEP_1)
	v_and_b32_e32 v8, v24, v26
	s_waitcnt vmcnt(0)
	v_mad_u64_u32 v[32:33], null, v8, 24, v[38:39]
	v_and_b32_e32 v38, v25, v27
	s_delay_alu instid0(VALU_DEP_2) | instskip(NEXT) | instid1(VALU_DEP_1)
	v_mov_b32_e32 v8, v33
	v_mad_u64_u32 v[24:25], null, v38, 24, v[8:9]
	s_delay_alu instid0(VALU_DEP_1)
	v_mov_b32_e32 v33, v24
	global_load_b64 v[24:25], v[32:33], off glc
	s_waitcnt vmcnt(0)
	global_atomic_cmpswap_b64 v[32:33], v9, v[24:27], s[2:3] offset:24 glc
	s_waitcnt vmcnt(0)
	buffer_gl1_inv
	buffer_gl0_inv
	v_cmp_eq_u64_e32 vcc_lo, v[32:33], v[26:27]
	s_or_b32 s5, vcc_lo, s5
	s_delay_alu instid0(SALU_CYCLE_1)
	s_and_not1_b32 exec_lo, exec_lo, s5
	s_cbranch_execnz .LBB1_90
; %bb.91:                               ;   in Loop: Header=BB1_31 Depth=1
	s_or_b32 exec_lo, exec_lo, s5
.LBB1_92:                               ;   in Loop: Header=BB1_31 Depth=1
	s_delay_alu instid0(SALU_CYCLE_1)
	s_or_b32 exec_lo, exec_lo, s4
.LBB1_93:                               ;   in Loop: Header=BB1_31 Depth=1
	s_delay_alu instid0(SALU_CYCLE_1)
	s_or_b32 exec_lo, exec_lo, s1
	s_clause 0x1
	global_load_b64 v[38:39], v9, s[2:3] offset:40
	global_load_b128 v[24:27], v9, s[2:3]
	v_readfirstlane_b32 s4, v32
	v_readfirstlane_b32 s5, v33
	s_mov_b32 s1, exec_lo
	s_waitcnt vmcnt(1)
	v_readfirstlane_b32 s6, v38
	v_readfirstlane_b32 s7, v39
	s_delay_alu instid0(VALU_DEP_1) | instskip(NEXT) | instid1(SALU_CYCLE_1)
	s_and_b64 s[6:7], s[4:5], s[6:7]
	s_mul_i32 s12, s7, 24
	s_mul_hi_u32 s13, s6, 24
	s_mul_i32 s14, s6, 24
	s_add_i32 s13, s13, s12
	s_waitcnt vmcnt(0)
	v_add_co_u32 v32, vcc_lo, v24, s14
	v_add_co_ci_u32_e32 v33, vcc_lo, s13, v25, vcc_lo
	s_and_saveexec_b32 s12, s0
	s_cbranch_execz .LBB1_95
; %bb.94:                               ;   in Loop: Header=BB1_31 Depth=1
	v_mov_b32_e32 v8, s1
	global_store_b128 v[32:33], v[8:11], off offset:8
.LBB1_95:                               ;   in Loop: Header=BB1_31 Depth=1
	s_or_b32 exec_lo, exec_lo, s12
	v_cmp_lt_u64_e32 vcc_lo, 56, v[28:29]
	v_or_b32_e32 v8, 0, v1
	v_or_b32_e32 v38, v0, v36
	v_lshl_add_u32 v39, v30, 2, 28
	s_lshl_b64 s[6:7], s[6:7], 12
	s_delay_alu instid0(SALU_CYCLE_1) | instskip(NEXT) | instid1(VALU_DEP_1)
	v_add_co_u32 v26, s1, v26, s6
	v_add_co_ci_u32_e64 v27, s1, s7, v27, s1
	v_dual_cndmask_b32 v1, v8, v1 :: v_dual_cndmask_b32 v0, v38, v0
	v_and_b32_e32 v8, 0x1e0, v39
	s_delay_alu instid0(VALU_DEP_4) | instskip(NEXT) | instid1(VALU_DEP_4)
	v_readfirstlane_b32 s6, v26
	v_readfirstlane_b32 s7, v27
	s_delay_alu instid0(VALU_DEP_3)
	v_and_or_b32 v0, 0xffffff1f, v0, v8
	s_clause 0x3
	global_store_b128 v34, v[0:3], s[6:7]
	global_store_b128 v34, v[12:15], s[6:7] offset:16
	global_store_b128 v34, v[16:19], s[6:7] offset:32
	;; [unrolled: 1-line block ×3, first 2 shown]
	s_and_saveexec_b32 s1, s0
	s_cbranch_execz .LBB1_103
; %bb.96:                               ;   in Loop: Header=BB1_31 Depth=1
	s_clause 0x1
	global_load_b64 v[16:17], v9, s[2:3] offset:32 glc
	global_load_b64 v[0:1], v9, s[2:3] offset:40
	v_dual_mov_b32 v14, s4 :: v_dual_mov_b32 v15, s5
	s_waitcnt vmcnt(0)
	v_readfirstlane_b32 s6, v0
	v_readfirstlane_b32 s7, v1
	s_delay_alu instid0(VALU_DEP_1) | instskip(NEXT) | instid1(SALU_CYCLE_1)
	s_and_b64 s[6:7], s[6:7], s[4:5]
	s_mul_i32 s7, s7, 24
	s_mul_hi_u32 s12, s6, 24
	s_mul_i32 s6, s6, 24
	s_add_i32 s12, s12, s7
	v_add_co_u32 v12, vcc_lo, v24, s6
	v_add_co_ci_u32_e32 v13, vcc_lo, s12, v25, vcc_lo
	s_mov_b32 s6, exec_lo
	global_store_b64 v[12:13], v[16:17], off
	s_waitcnt_vscnt null, 0x0
	global_atomic_cmpswap_b64 v[2:3], v9, v[14:17], s[2:3] offset:32 glc
	s_waitcnt vmcnt(0)
	v_cmpx_ne_u64_e64 v[2:3], v[16:17]
	s_cbranch_execz .LBB1_99
; %bb.97:                               ;   in Loop: Header=BB1_31 Depth=1
	s_mov_b32 s7, 0
.LBB1_98:                               ;   Parent Loop BB1_31 Depth=1
                                        ; =>  This Inner Loop Header: Depth=2
	v_dual_mov_b32 v0, s4 :: v_dual_mov_b32 v1, s5
	s_sleep 1
	global_store_b64 v[12:13], v[2:3], off
	s_waitcnt_vscnt null, 0x0
	global_atomic_cmpswap_b64 v[0:1], v9, v[0:3], s[2:3] offset:32 glc
	s_waitcnt vmcnt(0)
	v_cmp_eq_u64_e32 vcc_lo, v[0:1], v[2:3]
	v_dual_mov_b32 v3, v1 :: v_dual_mov_b32 v2, v0
	s_or_b32 s7, vcc_lo, s7
	s_delay_alu instid0(SALU_CYCLE_1)
	s_and_not1_b32 exec_lo, exec_lo, s7
	s_cbranch_execnz .LBB1_98
.LBB1_99:                               ;   in Loop: Header=BB1_31 Depth=1
	s_or_b32 exec_lo, exec_lo, s6
	global_load_b64 v[0:1], v9, s[2:3] offset:16
	s_mov_b32 s7, exec_lo
	s_mov_b32 s6, exec_lo
	v_mbcnt_lo_u32_b32 v2, s7, 0
	s_delay_alu instid0(VALU_DEP_1)
	v_cmpx_eq_u32_e32 0, v2
	s_cbranch_execz .LBB1_101
; %bb.100:                              ;   in Loop: Header=BB1_31 Depth=1
	s_bcnt1_i32_b32 s7, s7
	s_delay_alu instid0(SALU_CYCLE_1)
	v_mov_b32_e32 v8, s7
	s_waitcnt vmcnt(0)
	global_atomic_add_u64 v[0:1], v[8:9], off offset:8
.LBB1_101:                              ;   in Loop: Header=BB1_31 Depth=1
	s_or_b32 exec_lo, exec_lo, s6
	s_waitcnt vmcnt(0)
	global_load_b64 v[2:3], v[0:1], off offset:16
	s_waitcnt vmcnt(0)
	v_cmp_eq_u64_e32 vcc_lo, 0, v[2:3]
	s_cbranch_vccnz .LBB1_103
; %bb.102:                              ;   in Loop: Header=BB1_31 Depth=1
	global_load_b32 v8, v[0:1], off offset:24
	s_waitcnt vmcnt(0)
	v_and_b32_e32 v0, 0xffffff, v8
	s_waitcnt_vscnt null, 0x0
	global_store_b64 v[2:3], v[8:9], off
	v_readfirstlane_b32 m0, v0
	s_sendmsg sendmsg(MSG_INTERRUPT)
.LBB1_103:                              ;   in Loop: Header=BB1_31 Depth=1
	s_or_b32 exec_lo, exec_lo, s1
	v_add_co_u32 v0, vcc_lo, v26, v34
	v_add_co_ci_u32_e32 v1, vcc_lo, 0, v27, vcc_lo
	s_branch .LBB1_107
	.p2align	6
.LBB1_104:                              ;   in Loop: Header=BB1_107 Depth=2
	s_or_b32 exec_lo, exec_lo, s1
	s_delay_alu instid0(VALU_DEP_1) | instskip(NEXT) | instid1(VALU_DEP_1)
	v_readfirstlane_b32 s1, v2
	s_cmp_eq_u32 s1, 0
	s_cbranch_scc1 .LBB1_106
; %bb.105:                              ;   in Loop: Header=BB1_107 Depth=2
	s_sleep 1
	s_cbranch_execnz .LBB1_107
	s_branch .LBB1_109
	.p2align	6
.LBB1_106:                              ;   in Loop: Header=BB1_31 Depth=1
	s_branch .LBB1_109
.LBB1_107:                              ;   Parent Loop BB1_31 Depth=1
                                        ; =>  This Inner Loop Header: Depth=2
	v_mov_b32_e32 v2, 1
	s_and_saveexec_b32 s1, s0
	s_cbranch_execz .LBB1_104
; %bb.108:                              ;   in Loop: Header=BB1_107 Depth=2
	global_load_b32 v2, v[32:33], off offset:20 glc
	s_waitcnt vmcnt(0)
	buffer_gl1_inv
	buffer_gl0_inv
	v_and_b32_e32 v2, 1, v2
	s_branch .LBB1_104
.LBB1_109:                              ;   in Loop: Header=BB1_31 Depth=1
	global_load_b128 v[0:3], v[0:1], off
	s_and_saveexec_b32 s1, s0
	s_cbranch_execz .LBB1_30
; %bb.110:                              ;   in Loop: Header=BB1_31 Depth=1
	s_clause 0x2
	global_load_b64 v[2:3], v9, s[2:3] offset:40
	global_load_b64 v[16:17], v9, s[2:3] offset:24 glc
	global_load_b64 v[14:15], v9, s[2:3]
	s_waitcnt vmcnt(2)
	v_add_co_u32 v8, vcc_lo, v2, 1
	v_add_co_ci_u32_e32 v18, vcc_lo, 0, v3, vcc_lo
	s_delay_alu instid0(VALU_DEP_2) | instskip(NEXT) | instid1(VALU_DEP_2)
	v_add_co_u32 v12, vcc_lo, v8, s4
	v_add_co_ci_u32_e32 v13, vcc_lo, s5, v18, vcc_lo
	s_delay_alu instid0(VALU_DEP_1) | instskip(SKIP_1) | instid1(VALU_DEP_1)
	v_cmp_eq_u64_e32 vcc_lo, 0, v[12:13]
	v_dual_cndmask_b32 v13, v13, v18 :: v_dual_cndmask_b32 v12, v12, v8
	v_and_b32_e32 v3, v13, v3
	s_delay_alu instid0(VALU_DEP_2) | instskip(NEXT) | instid1(VALU_DEP_1)
	v_and_b32_e32 v2, v12, v2
	v_mul_hi_u32 v8, v2, 24
	v_mul_lo_u32 v2, v2, 24
	s_waitcnt vmcnt(0)
	s_delay_alu instid0(VALU_DEP_1) | instskip(SKIP_2) | instid1(VALU_DEP_1)
	v_add_co_u32 v2, vcc_lo, v14, v2
	v_mov_b32_e32 v14, v16
	v_mul_lo_u32 v3, v3, 24
	v_add_nc_u32_e32 v3, v8, v3
	s_delay_alu instid0(VALU_DEP_1)
	v_add_co_ci_u32_e32 v3, vcc_lo, v15, v3, vcc_lo
	v_mov_b32_e32 v15, v17
	global_store_b64 v[2:3], v[16:17], off
	s_waitcnt_vscnt null, 0x0
	global_atomic_cmpswap_b64 v[14:15], v9, v[12:15], s[2:3] offset:24 glc
	s_waitcnt vmcnt(0)
	v_cmp_ne_u64_e32 vcc_lo, v[14:15], v[16:17]
	s_and_b32 exec_lo, exec_lo, vcc_lo
	s_cbranch_execz .LBB1_30
; %bb.111:                              ;   in Loop: Header=BB1_31 Depth=1
	s_mov_b32 s0, 0
.LBB1_112:                              ;   Parent Loop BB1_31 Depth=1
                                        ; =>  This Inner Loop Header: Depth=2
	s_sleep 1
	global_store_b64 v[2:3], v[14:15], off
	s_waitcnt_vscnt null, 0x0
	global_atomic_cmpswap_b64 v[16:17], v9, v[12:15], s[2:3] offset:24 glc
	s_waitcnt vmcnt(0)
	v_cmp_eq_u64_e32 vcc_lo, v[16:17], v[14:15]
	v_dual_mov_b32 v14, v16 :: v_dual_mov_b32 v15, v17
	s_or_b32 s0, vcc_lo, s0
	s_delay_alu instid0(SALU_CYCLE_1)
	s_and_not1_b32 exec_lo, exec_lo, s0
	s_cbranch_execnz .LBB1_112
	s_branch .LBB1_30
.LBB1_113:
                                        ; implicit-def: $vgpr0_vgpr1
	s_cbranch_execnz .LBB1_115
	s_branch .LBB1_142
.LBB1_114:
	s_or_b32 exec_lo, exec_lo, s10
	s_branch .LBB1_142
.LBB1_115:
	v_readfirstlane_b32 s0, v35
	v_mov_b32_e32 v9, 0
	v_mov_b32_e32 v10, 0
	s_delay_alu instid0(VALU_DEP_3) | instskip(NEXT) | instid1(VALU_DEP_1)
	v_cmp_eq_u32_e64 s0, s0, v35
	s_and_saveexec_b32 s1, s0
	s_cbranch_execz .LBB1_121
; %bb.116:
	s_waitcnt vmcnt(0)
	v_mov_b32_e32 v0, 0
	s_mov_b32 s4, exec_lo
	global_load_b64 v[11:12], v0, s[2:3] offset:24 glc
	s_waitcnt vmcnt(0)
	buffer_gl1_inv
	buffer_gl0_inv
	s_clause 0x1
	global_load_b64 v[1:2], v0, s[2:3] offset:40
	global_load_b64 v[8:9], v0, s[2:3]
	s_waitcnt vmcnt(1)
	v_and_b32_e32 v1, v1, v11
	v_and_b32_e32 v2, v2, v12
	s_delay_alu instid0(VALU_DEP_2) | instskip(NEXT) | instid1(VALU_DEP_2)
	v_mul_hi_u32 v3, v1, 24
	v_mul_lo_u32 v2, v2, 24
	v_mul_lo_u32 v1, v1, 24
	s_delay_alu instid0(VALU_DEP_2) | instskip(SKIP_1) | instid1(VALU_DEP_2)
	v_add_nc_u32_e32 v2, v3, v2
	s_waitcnt vmcnt(0)
	v_add_co_u32 v1, vcc_lo, v8, v1
	s_delay_alu instid0(VALU_DEP_2)
	v_add_co_ci_u32_e32 v2, vcc_lo, v9, v2, vcc_lo
	global_load_b64 v[9:10], v[1:2], off glc
	s_waitcnt vmcnt(0)
	global_atomic_cmpswap_b64 v[9:10], v0, v[9:12], s[2:3] offset:24 glc
	s_waitcnt vmcnt(0)
	buffer_gl1_inv
	buffer_gl0_inv
	v_cmpx_ne_u64_e64 v[9:10], v[11:12]
	s_cbranch_execz .LBB1_120
; %bb.117:
	s_mov_b32 s5, 0
	.p2align	6
.LBB1_118:                              ; =>This Inner Loop Header: Depth=1
	s_sleep 1
	s_clause 0x1
	global_load_b64 v[1:2], v0, s[2:3] offset:40
	global_load_b64 v[13:14], v0, s[2:3]
	v_dual_mov_b32 v12, v10 :: v_dual_mov_b32 v11, v9
	s_waitcnt vmcnt(1)
	s_delay_alu instid0(VALU_DEP_1) | instskip(SKIP_1) | instid1(VALU_DEP_1)
	v_and_b32_e32 v1, v1, v11
	s_waitcnt vmcnt(0)
	v_mad_u64_u32 v[8:9], null, v1, 24, v[13:14]
	s_delay_alu instid0(VALU_DEP_1) | instskip(NEXT) | instid1(VALU_DEP_1)
	v_dual_mov_b32 v1, v9 :: v_dual_and_b32 v10, v2, v12
	v_mad_u64_u32 v[2:3], null, v10, 24, v[1:2]
	s_delay_alu instid0(VALU_DEP_1)
	v_mov_b32_e32 v9, v2
	global_load_b64 v[9:10], v[8:9], off glc
	s_waitcnt vmcnt(0)
	global_atomic_cmpswap_b64 v[9:10], v0, v[9:12], s[2:3] offset:24 glc
	s_waitcnt vmcnt(0)
	buffer_gl1_inv
	buffer_gl0_inv
	v_cmp_eq_u64_e32 vcc_lo, v[9:10], v[11:12]
	s_or_b32 s5, vcc_lo, s5
	s_delay_alu instid0(SALU_CYCLE_1)
	s_and_not1_b32 exec_lo, exec_lo, s5
	s_cbranch_execnz .LBB1_118
; %bb.119:
	s_or_b32 exec_lo, exec_lo, s5
.LBB1_120:
	s_delay_alu instid0(SALU_CYCLE_1)
	s_or_b32 exec_lo, exec_lo, s4
.LBB1_121:
	s_delay_alu instid0(SALU_CYCLE_1)
	s_or_b32 exec_lo, exec_lo, s1
	v_mov_b32_e32 v8, 0
	v_readfirstlane_b32 s4, v9
	v_readfirstlane_b32 s5, v10
	s_mov_b32 s1, exec_lo
	s_clause 0x1
	global_load_b64 v[11:12], v8, s[2:3] offset:40
	global_load_b128 v[0:3], v8, s[2:3]
	s_waitcnt vmcnt(1)
	v_readfirstlane_b32 s6, v11
	v_readfirstlane_b32 s7, v12
	s_delay_alu instid0(VALU_DEP_1) | instskip(NEXT) | instid1(SALU_CYCLE_1)
	s_and_b64 s[6:7], s[4:5], s[6:7]
	s_mul_i32 s10, s7, 24
	s_mul_hi_u32 s11, s6, 24
	s_mul_i32 s12, s6, 24
	s_add_i32 s11, s11, s10
	s_waitcnt vmcnt(0)
	v_add_co_u32 v10, vcc_lo, v0, s12
	v_add_co_ci_u32_e32 v11, vcc_lo, s11, v1, vcc_lo
	s_and_saveexec_b32 s10, s0
	s_cbranch_execz .LBB1_123
; %bb.122:
	v_dual_mov_b32 v12, s1 :: v_dual_mov_b32 v13, v8
	v_dual_mov_b32 v14, 2 :: v_dual_mov_b32 v15, 1
	global_store_b128 v[10:11], v[12:15], off offset:8
.LBB1_123:
	s_or_b32 exec_lo, exec_lo, s10
	s_lshl_b64 s[6:7], s[6:7], 12
	s_mov_b32 s12, 0
	v_add_co_u32 v2, vcc_lo, v2, s6
	v_add_co_ci_u32_e32 v3, vcc_lo, s7, v3, vcc_lo
	s_mov_b32 s15, s12
	s_delay_alu instid0(VALU_DEP_2)
	v_add_co_u32 v12, vcc_lo, v2, v34
	s_mov_b32 s13, s12
	s_mov_b32 s14, s12
	v_and_or_b32 v6, 0xffffff1f, v6, 32
	v_mov_b32_e32 v9, v8
	v_readfirstlane_b32 s6, v2
	v_readfirstlane_b32 s7, v3
	v_dual_mov_b32 v17, s15 :: v_dual_mov_b32 v14, s12
	v_add_co_ci_u32_e32 v13, vcc_lo, 0, v3, vcc_lo
	v_dual_mov_b32 v16, s14 :: v_dual_mov_b32 v15, s13
	s_clause 0x3
	global_store_b128 v34, v[6:9], s[6:7]
	global_store_b128 v34, v[14:17], s[6:7] offset:16
	global_store_b128 v34, v[14:17], s[6:7] offset:32
	;; [unrolled: 1-line block ×3, first 2 shown]
	s_and_saveexec_b32 s1, s0
	s_cbranch_execz .LBB1_131
; %bb.124:
	v_dual_mov_b32 v8, 0 :: v_dual_mov_b32 v15, s5
	v_mov_b32_e32 v14, s4
	s_clause 0x1
	global_load_b64 v[16:17], v8, s[2:3] offset:32 glc
	global_load_b64 v[2:3], v8, s[2:3] offset:40
	s_waitcnt vmcnt(0)
	v_readfirstlane_b32 s6, v2
	v_readfirstlane_b32 s7, v3
	s_delay_alu instid0(VALU_DEP_1) | instskip(NEXT) | instid1(SALU_CYCLE_1)
	s_and_b64 s[6:7], s[6:7], s[4:5]
	s_mul_i32 s7, s7, 24
	s_mul_hi_u32 s10, s6, 24
	s_mul_i32 s6, s6, 24
	s_add_i32 s10, s10, s7
	v_add_co_u32 v6, vcc_lo, v0, s6
	v_add_co_ci_u32_e32 v7, vcc_lo, s10, v1, vcc_lo
	s_mov_b32 s6, exec_lo
	global_store_b64 v[6:7], v[16:17], off
	s_waitcnt_vscnt null, 0x0
	global_atomic_cmpswap_b64 v[2:3], v8, v[14:17], s[2:3] offset:32 glc
	s_waitcnt vmcnt(0)
	v_cmpx_ne_u64_e64 v[2:3], v[16:17]
	s_cbranch_execz .LBB1_127
; %bb.125:
	s_mov_b32 s7, 0
.LBB1_126:                              ; =>This Inner Loop Header: Depth=1
	v_dual_mov_b32 v0, s4 :: v_dual_mov_b32 v1, s5
	s_sleep 1
	global_store_b64 v[6:7], v[2:3], off
	s_waitcnt_vscnt null, 0x0
	global_atomic_cmpswap_b64 v[0:1], v8, v[0:3], s[2:3] offset:32 glc
	s_waitcnt vmcnt(0)
	v_cmp_eq_u64_e32 vcc_lo, v[0:1], v[2:3]
	v_dual_mov_b32 v3, v1 :: v_dual_mov_b32 v2, v0
	s_or_b32 s7, vcc_lo, s7
	s_delay_alu instid0(SALU_CYCLE_1)
	s_and_not1_b32 exec_lo, exec_lo, s7
	s_cbranch_execnz .LBB1_126
.LBB1_127:
	s_or_b32 exec_lo, exec_lo, s6
	v_mov_b32_e32 v3, 0
	s_mov_b32 s7, exec_lo
	s_mov_b32 s6, exec_lo
	v_mbcnt_lo_u32_b32 v2, s7, 0
	global_load_b64 v[0:1], v3, s[2:3] offset:16
	v_cmpx_eq_u32_e32 0, v2
	s_cbranch_execz .LBB1_129
; %bb.128:
	s_bcnt1_i32_b32 s7, s7
	s_delay_alu instid0(SALU_CYCLE_1)
	v_mov_b32_e32 v2, s7
	s_waitcnt vmcnt(0)
	global_atomic_add_u64 v[0:1], v[2:3], off offset:8
.LBB1_129:
	s_or_b32 exec_lo, exec_lo, s6
	s_waitcnt vmcnt(0)
	global_load_b64 v[2:3], v[0:1], off offset:16
	s_waitcnt vmcnt(0)
	v_cmp_eq_u64_e32 vcc_lo, 0, v[2:3]
	s_cbranch_vccnz .LBB1_131
; %bb.130:
	global_load_b32 v0, v[0:1], off offset:24
	s_waitcnt vmcnt(0)
	v_dual_mov_b32 v1, 0 :: v_dual_and_b32 v6, 0xffffff, v0
	s_waitcnt_vscnt null, 0x0
	global_store_b64 v[2:3], v[0:1], off
	v_readfirstlane_b32 m0, v6
	s_sendmsg sendmsg(MSG_INTERRUPT)
.LBB1_131:
	s_or_b32 exec_lo, exec_lo, s1
	s_branch .LBB1_135
	.p2align	6
.LBB1_132:                              ;   in Loop: Header=BB1_135 Depth=1
	s_or_b32 exec_lo, exec_lo, s1
	s_delay_alu instid0(VALU_DEP_1) | instskip(NEXT) | instid1(VALU_DEP_1)
	v_readfirstlane_b32 s1, v0
	s_cmp_eq_u32 s1, 0
	s_cbranch_scc1 .LBB1_134
; %bb.133:                              ;   in Loop: Header=BB1_135 Depth=1
	s_sleep 1
	s_cbranch_execnz .LBB1_135
	s_branch .LBB1_137
	.p2align	6
.LBB1_134:
	s_branch .LBB1_137
.LBB1_135:                              ; =>This Inner Loop Header: Depth=1
	v_mov_b32_e32 v0, 1
	s_and_saveexec_b32 s1, s0
	s_cbranch_execz .LBB1_132
; %bb.136:                              ;   in Loop: Header=BB1_135 Depth=1
	global_load_b32 v0, v[10:11], off offset:20 glc
	s_waitcnt vmcnt(0)
	buffer_gl1_inv
	buffer_gl0_inv
	v_and_b32_e32 v0, 1, v0
	s_branch .LBB1_132
.LBB1_137:
	global_load_b64 v[0:1], v[12:13], off
	s_and_saveexec_b32 s1, s0
	s_cbranch_execz .LBB1_141
; %bb.138:
	v_mov_b32_e32 v10, 0
	s_clause 0x2
	global_load_b64 v[2:3], v10, s[2:3] offset:40
	global_load_b64 v[11:12], v10, s[2:3] offset:24 glc
	global_load_b64 v[8:9], v10, s[2:3]
	s_waitcnt vmcnt(2)
	v_add_co_u32 v13, vcc_lo, v2, 1
	v_add_co_ci_u32_e32 v14, vcc_lo, 0, v3, vcc_lo
	s_delay_alu instid0(VALU_DEP_2) | instskip(NEXT) | instid1(VALU_DEP_2)
	v_add_co_u32 v6, vcc_lo, v13, s4
	v_add_co_ci_u32_e32 v7, vcc_lo, s5, v14, vcc_lo
	s_delay_alu instid0(VALU_DEP_1) | instskip(SKIP_1) | instid1(VALU_DEP_1)
	v_cmp_eq_u64_e32 vcc_lo, 0, v[6:7]
	v_dual_cndmask_b32 v7, v7, v14 :: v_dual_cndmask_b32 v6, v6, v13
	v_and_b32_e32 v3, v7, v3
	s_delay_alu instid0(VALU_DEP_2) | instskip(NEXT) | instid1(VALU_DEP_2)
	v_and_b32_e32 v2, v6, v2
	v_mul_lo_u32 v3, v3, 24
	s_delay_alu instid0(VALU_DEP_2) | instskip(SKIP_1) | instid1(VALU_DEP_2)
	v_mul_hi_u32 v13, v2, 24
	v_mul_lo_u32 v2, v2, 24
	v_add_nc_u32_e32 v3, v13, v3
	s_waitcnt vmcnt(0)
	s_delay_alu instid0(VALU_DEP_2) | instskip(SKIP_1) | instid1(VALU_DEP_3)
	v_add_co_u32 v2, vcc_lo, v8, v2
	v_mov_b32_e32 v8, v11
	v_add_co_ci_u32_e32 v3, vcc_lo, v9, v3, vcc_lo
	v_mov_b32_e32 v9, v12
	global_store_b64 v[2:3], v[11:12], off
	s_waitcnt_vscnt null, 0x0
	global_atomic_cmpswap_b64 v[8:9], v10, v[6:9], s[2:3] offset:24 glc
	s_waitcnt vmcnt(0)
	v_cmp_ne_u64_e32 vcc_lo, v[8:9], v[11:12]
	s_and_b32 exec_lo, exec_lo, vcc_lo
	s_cbranch_execz .LBB1_141
; %bb.139:
	s_mov_b32 s0, 0
.LBB1_140:                              ; =>This Inner Loop Header: Depth=1
	s_sleep 1
	global_store_b64 v[2:3], v[8:9], off
	s_waitcnt_vscnt null, 0x0
	global_atomic_cmpswap_b64 v[11:12], v10, v[6:9], s[2:3] offset:24 glc
	s_waitcnt vmcnt(0)
	v_cmp_eq_u64_e32 vcc_lo, v[11:12], v[8:9]
	v_dual_mov_b32 v8, v11 :: v_dual_mov_b32 v9, v12
	s_or_b32 s0, vcc_lo, s0
	s_delay_alu instid0(SALU_CYCLE_1)
	s_and_not1_b32 exec_lo, exec_lo, s0
	s_cbranch_execnz .LBB1_140
.LBB1_141:
	s_or_b32 exec_lo, exec_lo, s1
.LBB1_142:
	s_getpc_b64 s[4:5]
	s_add_u32 s4, s4, .str.2@rel32@lo+4
	s_addc_u32 s5, s5, .str.2@rel32@hi+12
	s_delay_alu instid0(SALU_CYCLE_1)
	s_cmp_lg_u64 s[4:5], 0
	s_cbranch_scc0 .LBB1_220
; %bb.143:
	s_getpc_b64 s[0:1]
	s_add_u32 s0, s0, .str.2@rel32@lo+80
	s_addc_u32 s1, s1, .str.2@rel32@hi+88
	s_waitcnt vmcnt(0)
	v_dual_mov_b32 v10, 0 :: v_dual_and_b32 v33, 2, v0
	v_dual_mov_b32 v7, v1 :: v_dual_and_b32 v6, -3, v0
	v_dual_mov_b32 v11, 2 :: v_dual_mov_b32 v12, 1
	s_sub_i32 s6, s0, s4
	s_delay_alu instid0(SALU_CYCLE_1)
	s_ashr_i32 s7, s6, 31
	s_branch .LBB1_145
.LBB1_144:                              ;   in Loop: Header=BB1_145 Depth=1
	s_or_b32 exec_lo, exec_lo, s1
	s_sub_u32 s6, s6, s10
	s_subb_u32 s7, s7, s11
	s_add_u32 s4, s4, s10
	s_addc_u32 s5, s5, s11
	s_cmp_lg_u64 s[6:7], 0
	s_cbranch_scc0 .LBB1_221
.LBB1_145:                              ; =>This Loop Header: Depth=1
                                        ;     Child Loop BB1_154 Depth 2
                                        ;     Child Loop BB1_150 Depth 2
                                        ;     Child Loop BB1_162 Depth 2
                                        ;     Child Loop BB1_169 Depth 2
                                        ;     Child Loop BB1_176 Depth 2
                                        ;     Child Loop BB1_183 Depth 2
                                        ;     Child Loop BB1_190 Depth 2
                                        ;     Child Loop BB1_197 Depth 2
                                        ;     Child Loop BB1_205 Depth 2
                                        ;     Child Loop BB1_214 Depth 2
                                        ;     Child Loop BB1_219 Depth 2
	v_cmp_lt_u64_e64 s0, s[6:7], 56
	v_cmp_gt_u64_e64 s1, s[6:7], 7
                                        ; implicit-def: $vgpr15_vgpr16
                                        ; implicit-def: $sgpr16
	s_delay_alu instid0(VALU_DEP_2) | instskip(SKIP_2) | instid1(VALU_DEP_1)
	s_and_b32 s0, s0, exec_lo
	s_cselect_b32 s11, s7, 0
	s_cselect_b32 s10, s6, 56
	s_and_b32 vcc_lo, exec_lo, s1
	s_mov_b32 s0, -1
	s_cbranch_vccz .LBB1_152
; %bb.146:                              ;   in Loop: Header=BB1_145 Depth=1
	s_and_not1_b32 vcc_lo, exec_lo, s0
	s_mov_b64 s[0:1], s[4:5]
	s_cbranch_vccz .LBB1_156
.LBB1_147:                              ;   in Loop: Header=BB1_145 Depth=1
	s_cmp_gt_u32 s16, 7
	s_cbranch_scc1 .LBB1_157
.LBB1_148:                              ;   in Loop: Header=BB1_145 Depth=1
	v_mov_b32_e32 v17, 0
	v_mov_b32_e32 v18, 0
	s_cmp_eq_u32 s16, 0
	s_cbranch_scc1 .LBB1_151
; %bb.149:                              ;   in Loop: Header=BB1_145 Depth=1
	s_mov_b64 s[12:13], 0
	s_mov_b64 s[14:15], 0
.LBB1_150:                              ;   Parent Loop BB1_145 Depth=1
                                        ; =>  This Inner Loop Header: Depth=2
	s_delay_alu instid0(SALU_CYCLE_1)
	s_add_u32 s18, s0, s14
	s_addc_u32 s19, s1, s15
	s_add_u32 s14, s14, 1
	global_load_u8 v2, v10, s[18:19]
	s_addc_u32 s15, s15, 0
	s_waitcnt vmcnt(0)
	v_and_b32_e32 v9, 0xffff, v2
	s_delay_alu instid0(VALU_DEP_1) | instskip(SKIP_3) | instid1(VALU_DEP_1)
	v_lshlrev_b64 v[2:3], s12, v[9:10]
	s_add_u32 s12, s12, 8
	s_addc_u32 s13, s13, 0
	s_cmp_lg_u32 s16, s14
	v_or_b32_e32 v17, v2, v17
	s_delay_alu instid0(VALU_DEP_2)
	v_or_b32_e32 v18, v3, v18
	s_cbranch_scc1 .LBB1_150
.LBB1_151:                              ;   in Loop: Header=BB1_145 Depth=1
	s_mov_b32 s17, 0
	s_cbranch_execz .LBB1_158
	s_branch .LBB1_159
.LBB1_152:                              ;   in Loop: Header=BB1_145 Depth=1
	v_mov_b32_e32 v15, 0
	v_mov_b32_e32 v16, 0
	s_cmp_eq_u64 s[6:7], 0
	s_mov_b64 s[0:1], 0
	s_cbranch_scc1 .LBB1_155
; %bb.153:                              ;   in Loop: Header=BB1_145 Depth=1
	v_mov_b32_e32 v15, 0
	v_mov_b32_e32 v16, 0
	s_lshl_b64 s[12:13], s[10:11], 3
	s_mov_b64 s[14:15], s[4:5]
.LBB1_154:                              ;   Parent Loop BB1_145 Depth=1
                                        ; =>  This Inner Loop Header: Depth=2
	global_load_u8 v2, v10, s[14:15]
	s_waitcnt vmcnt(0)
	v_and_b32_e32 v9, 0xffff, v2
	s_delay_alu instid0(VALU_DEP_1)
	v_lshlrev_b64 v[2:3], s0, v[9:10]
	s_add_u32 s0, s0, 8
	s_addc_u32 s1, s1, 0
	s_add_u32 s14, s14, 1
	s_addc_u32 s15, s15, 0
	s_cmp_lg_u32 s12, s0
	v_or_b32_e32 v15, v2, v15
	v_or_b32_e32 v16, v3, v16
	s_cbranch_scc1 .LBB1_154
.LBB1_155:                              ;   in Loop: Header=BB1_145 Depth=1
	s_mov_b32 s16, 0
	s_mov_b64 s[0:1], s[4:5]
	s_cbranch_execnz .LBB1_147
.LBB1_156:                              ;   in Loop: Header=BB1_145 Depth=1
	global_load_b64 v[15:16], v10, s[4:5]
	s_add_i32 s16, s10, -8
	s_add_u32 s0, s4, 8
	s_addc_u32 s1, s5, 0
	s_cmp_gt_u32 s16, 7
	s_cbranch_scc0 .LBB1_148
.LBB1_157:                              ;   in Loop: Header=BB1_145 Depth=1
                                        ; implicit-def: $vgpr17_vgpr18
                                        ; implicit-def: $sgpr17
.LBB1_158:                              ;   in Loop: Header=BB1_145 Depth=1
	global_load_b64 v[17:18], v10, s[0:1]
	s_add_i32 s17, s16, -8
	s_add_u32 s0, s0, 8
	s_addc_u32 s1, s1, 0
.LBB1_159:                              ;   in Loop: Header=BB1_145 Depth=1
	s_cmp_gt_u32 s17, 7
	s_cbranch_scc1 .LBB1_164
; %bb.160:                              ;   in Loop: Header=BB1_145 Depth=1
	v_mov_b32_e32 v19, 0
	v_mov_b32_e32 v20, 0
	s_cmp_eq_u32 s17, 0
	s_cbranch_scc1 .LBB1_163
; %bb.161:                              ;   in Loop: Header=BB1_145 Depth=1
	s_mov_b64 s[12:13], 0
	s_mov_b64 s[14:15], 0
.LBB1_162:                              ;   Parent Loop BB1_145 Depth=1
                                        ; =>  This Inner Loop Header: Depth=2
	s_delay_alu instid0(SALU_CYCLE_1)
	s_add_u32 s18, s0, s14
	s_addc_u32 s19, s1, s15
	s_add_u32 s14, s14, 1
	global_load_u8 v2, v10, s[18:19]
	s_addc_u32 s15, s15, 0
	s_waitcnt vmcnt(0)
	v_and_b32_e32 v9, 0xffff, v2
	s_delay_alu instid0(VALU_DEP_1) | instskip(SKIP_3) | instid1(VALU_DEP_1)
	v_lshlrev_b64 v[2:3], s12, v[9:10]
	s_add_u32 s12, s12, 8
	s_addc_u32 s13, s13, 0
	s_cmp_lg_u32 s17, s14
	v_or_b32_e32 v19, v2, v19
	s_delay_alu instid0(VALU_DEP_2)
	v_or_b32_e32 v20, v3, v20
	s_cbranch_scc1 .LBB1_162
.LBB1_163:                              ;   in Loop: Header=BB1_145 Depth=1
	s_mov_b32 s16, 0
	s_cbranch_execz .LBB1_165
	s_branch .LBB1_166
.LBB1_164:                              ;   in Loop: Header=BB1_145 Depth=1
                                        ; implicit-def: $sgpr16
.LBB1_165:                              ;   in Loop: Header=BB1_145 Depth=1
	global_load_b64 v[19:20], v10, s[0:1]
	s_add_i32 s16, s17, -8
	s_add_u32 s0, s0, 8
	s_addc_u32 s1, s1, 0
.LBB1_166:                              ;   in Loop: Header=BB1_145 Depth=1
	s_cmp_gt_u32 s16, 7
	s_cbranch_scc1 .LBB1_171
; %bb.167:                              ;   in Loop: Header=BB1_145 Depth=1
	v_mov_b32_e32 v21, 0
	v_mov_b32_e32 v22, 0
	s_cmp_eq_u32 s16, 0
	s_cbranch_scc1 .LBB1_170
; %bb.168:                              ;   in Loop: Header=BB1_145 Depth=1
	s_mov_b64 s[12:13], 0
	s_mov_b64 s[14:15], 0
.LBB1_169:                              ;   Parent Loop BB1_145 Depth=1
                                        ; =>  This Inner Loop Header: Depth=2
	s_delay_alu instid0(SALU_CYCLE_1)
	s_add_u32 s18, s0, s14
	s_addc_u32 s19, s1, s15
	s_add_u32 s14, s14, 1
	global_load_u8 v2, v10, s[18:19]
	s_addc_u32 s15, s15, 0
	s_waitcnt vmcnt(0)
	v_and_b32_e32 v9, 0xffff, v2
	s_delay_alu instid0(VALU_DEP_1) | instskip(SKIP_3) | instid1(VALU_DEP_1)
	v_lshlrev_b64 v[2:3], s12, v[9:10]
	s_add_u32 s12, s12, 8
	s_addc_u32 s13, s13, 0
	s_cmp_lg_u32 s16, s14
	v_or_b32_e32 v21, v2, v21
	s_delay_alu instid0(VALU_DEP_2)
	v_or_b32_e32 v22, v3, v22
	s_cbranch_scc1 .LBB1_169
.LBB1_170:                              ;   in Loop: Header=BB1_145 Depth=1
	s_mov_b32 s17, 0
	s_cbranch_execz .LBB1_172
	s_branch .LBB1_173
.LBB1_171:                              ;   in Loop: Header=BB1_145 Depth=1
                                        ; implicit-def: $vgpr21_vgpr22
                                        ; implicit-def: $sgpr17
.LBB1_172:                              ;   in Loop: Header=BB1_145 Depth=1
	global_load_b64 v[21:22], v10, s[0:1]
	s_add_i32 s17, s16, -8
	s_add_u32 s0, s0, 8
	s_addc_u32 s1, s1, 0
.LBB1_173:                              ;   in Loop: Header=BB1_145 Depth=1
	s_cmp_gt_u32 s17, 7
	s_cbranch_scc1 .LBB1_178
; %bb.174:                              ;   in Loop: Header=BB1_145 Depth=1
	v_mov_b32_e32 v23, 0
	v_mov_b32_e32 v24, 0
	s_cmp_eq_u32 s17, 0
	s_cbranch_scc1 .LBB1_177
; %bb.175:                              ;   in Loop: Header=BB1_145 Depth=1
	s_mov_b64 s[12:13], 0
	s_mov_b64 s[14:15], 0
.LBB1_176:                              ;   Parent Loop BB1_145 Depth=1
                                        ; =>  This Inner Loop Header: Depth=2
	s_delay_alu instid0(SALU_CYCLE_1)
	s_add_u32 s18, s0, s14
	s_addc_u32 s19, s1, s15
	s_add_u32 s14, s14, 1
	global_load_u8 v2, v10, s[18:19]
	s_addc_u32 s15, s15, 0
	s_waitcnt vmcnt(0)
	v_and_b32_e32 v9, 0xffff, v2
	s_delay_alu instid0(VALU_DEP_1) | instskip(SKIP_3) | instid1(VALU_DEP_1)
	v_lshlrev_b64 v[2:3], s12, v[9:10]
	s_add_u32 s12, s12, 8
	s_addc_u32 s13, s13, 0
	s_cmp_lg_u32 s17, s14
	v_or_b32_e32 v23, v2, v23
	s_delay_alu instid0(VALU_DEP_2)
	v_or_b32_e32 v24, v3, v24
	s_cbranch_scc1 .LBB1_176
.LBB1_177:                              ;   in Loop: Header=BB1_145 Depth=1
	s_mov_b32 s16, 0
	s_cbranch_execz .LBB1_179
	s_branch .LBB1_180
.LBB1_178:                              ;   in Loop: Header=BB1_145 Depth=1
                                        ; implicit-def: $sgpr16
.LBB1_179:                              ;   in Loop: Header=BB1_145 Depth=1
	global_load_b64 v[23:24], v10, s[0:1]
	s_add_i32 s16, s17, -8
	s_add_u32 s0, s0, 8
	s_addc_u32 s1, s1, 0
.LBB1_180:                              ;   in Loop: Header=BB1_145 Depth=1
	s_cmp_gt_u32 s16, 7
	s_cbranch_scc1 .LBB1_185
; %bb.181:                              ;   in Loop: Header=BB1_145 Depth=1
	v_mov_b32_e32 v25, 0
	v_mov_b32_e32 v26, 0
	s_cmp_eq_u32 s16, 0
	s_cbranch_scc1 .LBB1_184
; %bb.182:                              ;   in Loop: Header=BB1_145 Depth=1
	s_mov_b64 s[12:13], 0
	s_mov_b64 s[14:15], 0
.LBB1_183:                              ;   Parent Loop BB1_145 Depth=1
                                        ; =>  This Inner Loop Header: Depth=2
	s_delay_alu instid0(SALU_CYCLE_1)
	s_add_u32 s18, s0, s14
	s_addc_u32 s19, s1, s15
	s_add_u32 s14, s14, 1
	global_load_u8 v2, v10, s[18:19]
	s_addc_u32 s15, s15, 0
	s_waitcnt vmcnt(0)
	v_and_b32_e32 v9, 0xffff, v2
	s_delay_alu instid0(VALU_DEP_1) | instskip(SKIP_3) | instid1(VALU_DEP_1)
	v_lshlrev_b64 v[2:3], s12, v[9:10]
	s_add_u32 s12, s12, 8
	s_addc_u32 s13, s13, 0
	s_cmp_lg_u32 s16, s14
	v_or_b32_e32 v25, v2, v25
	s_delay_alu instid0(VALU_DEP_2)
	v_or_b32_e32 v26, v3, v26
	s_cbranch_scc1 .LBB1_183
.LBB1_184:                              ;   in Loop: Header=BB1_145 Depth=1
	s_mov_b32 s17, 0
	s_cbranch_execz .LBB1_186
	s_branch .LBB1_187
.LBB1_185:                              ;   in Loop: Header=BB1_145 Depth=1
                                        ; implicit-def: $vgpr25_vgpr26
                                        ; implicit-def: $sgpr17
.LBB1_186:                              ;   in Loop: Header=BB1_145 Depth=1
	global_load_b64 v[25:26], v10, s[0:1]
	s_add_i32 s17, s16, -8
	s_add_u32 s0, s0, 8
	s_addc_u32 s1, s1, 0
.LBB1_187:                              ;   in Loop: Header=BB1_145 Depth=1
	s_cmp_gt_u32 s17, 7
	s_cbranch_scc1 .LBB1_192
; %bb.188:                              ;   in Loop: Header=BB1_145 Depth=1
	v_mov_b32_e32 v27, 0
	v_mov_b32_e32 v28, 0
	s_cmp_eq_u32 s17, 0
	s_cbranch_scc1 .LBB1_191
; %bb.189:                              ;   in Loop: Header=BB1_145 Depth=1
	s_mov_b64 s[12:13], 0
	s_mov_b64 s[14:15], s[0:1]
.LBB1_190:                              ;   Parent Loop BB1_145 Depth=1
                                        ; =>  This Inner Loop Header: Depth=2
	global_load_u8 v2, v10, s[14:15]
	s_add_i32 s17, s17, -1
	s_waitcnt vmcnt(0)
	v_and_b32_e32 v9, 0xffff, v2
	s_delay_alu instid0(VALU_DEP_1)
	v_lshlrev_b64 v[2:3], s12, v[9:10]
	s_add_u32 s12, s12, 8
	s_addc_u32 s13, s13, 0
	s_add_u32 s14, s14, 1
	s_addc_u32 s15, s15, 0
	s_cmp_lg_u32 s17, 0
	v_or_b32_e32 v27, v2, v27
	v_or_b32_e32 v28, v3, v28
	s_cbranch_scc1 .LBB1_190
.LBB1_191:                              ;   in Loop: Header=BB1_145 Depth=1
	s_cbranch_execz .LBB1_193
	s_branch .LBB1_194
.LBB1_192:                              ;   in Loop: Header=BB1_145 Depth=1
.LBB1_193:                              ;   in Loop: Header=BB1_145 Depth=1
	global_load_b64 v[27:28], v10, s[0:1]
.LBB1_194:                              ;   in Loop: Header=BB1_145 Depth=1
	v_readfirstlane_b32 s0, v35
	v_mov_b32_e32 v2, 0
	v_mov_b32_e32 v3, 0
	s_delay_alu instid0(VALU_DEP_3) | instskip(NEXT) | instid1(VALU_DEP_1)
	v_cmp_eq_u32_e64 s0, s0, v35
	s_and_saveexec_b32 s1, s0
	s_cbranch_execz .LBB1_200
; %bb.195:                              ;   in Loop: Header=BB1_145 Depth=1
	global_load_b64 v[31:32], v10, s[2:3] offset:24 glc
	s_waitcnt vmcnt(0)
	buffer_gl1_inv
	buffer_gl0_inv
	s_clause 0x1
	global_load_b64 v[2:3], v10, s[2:3] offset:40
	global_load_b64 v[8:9], v10, s[2:3]
	s_mov_b32 s12, exec_lo
	s_waitcnt vmcnt(1)
	v_and_b32_e32 v3, v3, v32
	v_and_b32_e32 v2, v2, v31
	s_delay_alu instid0(VALU_DEP_2) | instskip(NEXT) | instid1(VALU_DEP_2)
	v_mul_lo_u32 v3, v3, 24
	v_mul_hi_u32 v13, v2, 24
	v_mul_lo_u32 v2, v2, 24
	s_delay_alu instid0(VALU_DEP_2) | instskip(SKIP_1) | instid1(VALU_DEP_2)
	v_add_nc_u32_e32 v3, v13, v3
	s_waitcnt vmcnt(0)
	v_add_co_u32 v2, vcc_lo, v8, v2
	s_delay_alu instid0(VALU_DEP_2)
	v_add_co_ci_u32_e32 v3, vcc_lo, v9, v3, vcc_lo
	global_load_b64 v[29:30], v[2:3], off glc
	s_waitcnt vmcnt(0)
	global_atomic_cmpswap_b64 v[2:3], v10, v[29:32], s[2:3] offset:24 glc
	s_waitcnt vmcnt(0)
	buffer_gl1_inv
	buffer_gl0_inv
	v_cmpx_ne_u64_e64 v[2:3], v[31:32]
	s_cbranch_execz .LBB1_199
; %bb.196:                              ;   in Loop: Header=BB1_145 Depth=1
	s_mov_b32 s13, 0
	.p2align	6
.LBB1_197:                              ;   Parent Loop BB1_145 Depth=1
                                        ; =>  This Inner Loop Header: Depth=2
	s_sleep 1
	s_clause 0x1
	global_load_b64 v[8:9], v10, s[2:3] offset:40
	global_load_b64 v[13:14], v10, s[2:3]
	v_dual_mov_b32 v32, v3 :: v_dual_mov_b32 v31, v2
	s_waitcnt vmcnt(1)
	s_delay_alu instid0(VALU_DEP_1) | instskip(SKIP_1) | instid1(VALU_DEP_1)
	v_and_b32_e32 v8, v8, v31
	s_waitcnt vmcnt(0)
	v_mad_u64_u32 v[2:3], null, v8, 24, v[13:14]
	v_and_b32_e32 v13, v9, v32
	s_delay_alu instid0(VALU_DEP_1) | instskip(NEXT) | instid1(VALU_DEP_1)
	v_mad_u64_u32 v[8:9], null, v13, 24, v[3:4]
	v_mov_b32_e32 v3, v8
	global_load_b64 v[29:30], v[2:3], off glc
	s_waitcnt vmcnt(0)
	global_atomic_cmpswap_b64 v[2:3], v10, v[29:32], s[2:3] offset:24 glc
	s_waitcnt vmcnt(0)
	buffer_gl1_inv
	buffer_gl0_inv
	v_cmp_eq_u64_e32 vcc_lo, v[2:3], v[31:32]
	s_or_b32 s13, vcc_lo, s13
	s_delay_alu instid0(SALU_CYCLE_1)
	s_and_not1_b32 exec_lo, exec_lo, s13
	s_cbranch_execnz .LBB1_197
; %bb.198:                              ;   in Loop: Header=BB1_145 Depth=1
	s_or_b32 exec_lo, exec_lo, s13
.LBB1_199:                              ;   in Loop: Header=BB1_145 Depth=1
	s_delay_alu instid0(SALU_CYCLE_1)
	s_or_b32 exec_lo, exec_lo, s12
.LBB1_200:                              ;   in Loop: Header=BB1_145 Depth=1
	s_delay_alu instid0(SALU_CYCLE_1)
	s_or_b32 exec_lo, exec_lo, s1
	s_clause 0x1
	global_load_b64 v[8:9], v10, s[2:3] offset:40
	global_load_b128 v[29:32], v10, s[2:3]
	v_readfirstlane_b32 s12, v2
	v_readfirstlane_b32 s13, v3
	s_mov_b32 s1, exec_lo
	s_waitcnt vmcnt(1)
	v_readfirstlane_b32 s14, v8
	v_readfirstlane_b32 s15, v9
	s_delay_alu instid0(VALU_DEP_1) | instskip(NEXT) | instid1(SALU_CYCLE_1)
	s_and_b64 s[14:15], s[12:13], s[14:15]
	s_mul_i32 s16, s15, 24
	s_mul_hi_u32 s17, s14, 24
	s_mul_i32 s18, s14, 24
	s_add_i32 s17, s17, s16
	s_waitcnt vmcnt(0)
	v_add_co_u32 v2, vcc_lo, v29, s18
	v_add_co_ci_u32_e32 v3, vcc_lo, s17, v30, vcc_lo
	s_and_saveexec_b32 s16, s0
	s_cbranch_execz .LBB1_202
; %bb.201:                              ;   in Loop: Header=BB1_145 Depth=1
	v_mov_b32_e32 v9, s1
	global_store_b128 v[2:3], v[9:12], off offset:8
.LBB1_202:                              ;   in Loop: Header=BB1_145 Depth=1
	s_or_b32 exec_lo, exec_lo, s16
	s_lshl_b64 s[14:15], s[14:15], 12
	v_cmp_gt_u64_e64 vcc_lo, s[6:7], 56
	v_or_b32_e32 v9, v6, v33
	v_add_co_u32 v31, s1, v31, s14
	s_delay_alu instid0(VALU_DEP_1)
	v_add_co_ci_u32_e64 v32, s1, s15, v32, s1
	s_lshl_b32 s1, s10, 2
	v_or_b32_e32 v8, 0, v7
	v_cndmask_b32_e32 v6, v9, v6, vcc_lo
	s_add_i32 s1, s1, 28
	v_readfirstlane_b32 s14, v31
	s_and_b32 s1, s1, 0x1e0
	v_cndmask_b32_e32 v14, v8, v7, vcc_lo
	v_readfirstlane_b32 s15, v32
	v_and_or_b32 v13, 0xffffff1f, v6, s1
	s_clause 0x3
	global_store_b128 v34, v[13:16], s[14:15]
	global_store_b128 v34, v[17:20], s[14:15] offset:16
	global_store_b128 v34, v[21:24], s[14:15] offset:32
	;; [unrolled: 1-line block ×3, first 2 shown]
	s_and_saveexec_b32 s1, s0
	s_cbranch_execz .LBB1_210
; %bb.203:                              ;   in Loop: Header=BB1_145 Depth=1
	s_clause 0x1
	global_load_b64 v[17:18], v10, s[2:3] offset:32 glc
	global_load_b64 v[6:7], v10, s[2:3] offset:40
	v_dual_mov_b32 v15, s12 :: v_dual_mov_b32 v16, s13
	s_waitcnt vmcnt(0)
	v_readfirstlane_b32 s14, v6
	v_readfirstlane_b32 s15, v7
	s_delay_alu instid0(VALU_DEP_1) | instskip(NEXT) | instid1(SALU_CYCLE_1)
	s_and_b64 s[14:15], s[14:15], s[12:13]
	s_mul_i32 s15, s15, 24
	s_mul_hi_u32 s16, s14, 24
	s_mul_i32 s14, s14, 24
	s_add_i32 s16, s16, s15
	v_add_co_u32 v13, vcc_lo, v29, s14
	v_add_co_ci_u32_e32 v14, vcc_lo, s16, v30, vcc_lo
	s_mov_b32 s14, exec_lo
	global_store_b64 v[13:14], v[17:18], off
	s_waitcnt_vscnt null, 0x0
	global_atomic_cmpswap_b64 v[8:9], v10, v[15:18], s[2:3] offset:32 glc
	s_waitcnt vmcnt(0)
	v_cmpx_ne_u64_e64 v[8:9], v[17:18]
	s_cbranch_execz .LBB1_206
; %bb.204:                              ;   in Loop: Header=BB1_145 Depth=1
	s_mov_b32 s15, 0
.LBB1_205:                              ;   Parent Loop BB1_145 Depth=1
                                        ; =>  This Inner Loop Header: Depth=2
	v_dual_mov_b32 v6, s12 :: v_dual_mov_b32 v7, s13
	s_sleep 1
	global_store_b64 v[13:14], v[8:9], off
	s_waitcnt_vscnt null, 0x0
	global_atomic_cmpswap_b64 v[6:7], v10, v[6:9], s[2:3] offset:32 glc
	s_waitcnt vmcnt(0)
	v_cmp_eq_u64_e32 vcc_lo, v[6:7], v[8:9]
	v_dual_mov_b32 v9, v7 :: v_dual_mov_b32 v8, v6
	s_or_b32 s15, vcc_lo, s15
	s_delay_alu instid0(SALU_CYCLE_1)
	s_and_not1_b32 exec_lo, exec_lo, s15
	s_cbranch_execnz .LBB1_205
.LBB1_206:                              ;   in Loop: Header=BB1_145 Depth=1
	s_or_b32 exec_lo, exec_lo, s14
	global_load_b64 v[6:7], v10, s[2:3] offset:16
	s_mov_b32 s15, exec_lo
	s_mov_b32 s14, exec_lo
	v_mbcnt_lo_u32_b32 v8, s15, 0
	s_delay_alu instid0(VALU_DEP_1)
	v_cmpx_eq_u32_e32 0, v8
	s_cbranch_execz .LBB1_208
; %bb.207:                              ;   in Loop: Header=BB1_145 Depth=1
	s_bcnt1_i32_b32 s15, s15
	s_delay_alu instid0(SALU_CYCLE_1)
	v_mov_b32_e32 v9, s15
	s_waitcnt vmcnt(0)
	global_atomic_add_u64 v[6:7], v[9:10], off offset:8
.LBB1_208:                              ;   in Loop: Header=BB1_145 Depth=1
	s_or_b32 exec_lo, exec_lo, s14
	s_waitcnt vmcnt(0)
	global_load_b64 v[13:14], v[6:7], off offset:16
	s_waitcnt vmcnt(0)
	v_cmp_eq_u64_e32 vcc_lo, 0, v[13:14]
	s_cbranch_vccnz .LBB1_210
; %bb.209:                              ;   in Loop: Header=BB1_145 Depth=1
	global_load_b32 v9, v[6:7], off offset:24
	s_waitcnt vmcnt(0)
	v_and_b32_e32 v6, 0xffffff, v9
	s_waitcnt_vscnt null, 0x0
	global_store_b64 v[13:14], v[9:10], off
	v_readfirstlane_b32 m0, v6
	s_sendmsg sendmsg(MSG_INTERRUPT)
.LBB1_210:                              ;   in Loop: Header=BB1_145 Depth=1
	s_or_b32 exec_lo, exec_lo, s1
	v_add_co_u32 v6, vcc_lo, v31, v34
	v_add_co_ci_u32_e32 v7, vcc_lo, 0, v32, vcc_lo
	s_branch .LBB1_214
	.p2align	6
.LBB1_211:                              ;   in Loop: Header=BB1_214 Depth=2
	s_or_b32 exec_lo, exec_lo, s1
	s_delay_alu instid0(VALU_DEP_1) | instskip(NEXT) | instid1(VALU_DEP_1)
	v_readfirstlane_b32 s1, v8
	s_cmp_eq_u32 s1, 0
	s_cbranch_scc1 .LBB1_213
; %bb.212:                              ;   in Loop: Header=BB1_214 Depth=2
	s_sleep 1
	s_cbranch_execnz .LBB1_214
	s_branch .LBB1_216
	.p2align	6
.LBB1_213:                              ;   in Loop: Header=BB1_145 Depth=1
	s_branch .LBB1_216
.LBB1_214:                              ;   Parent Loop BB1_145 Depth=1
                                        ; =>  This Inner Loop Header: Depth=2
	v_mov_b32_e32 v8, 1
	s_and_saveexec_b32 s1, s0
	s_cbranch_execz .LBB1_211
; %bb.215:                              ;   in Loop: Header=BB1_214 Depth=2
	global_load_b32 v8, v[2:3], off offset:20 glc
	s_waitcnt vmcnt(0)
	buffer_gl1_inv
	buffer_gl0_inv
	v_and_b32_e32 v8, 1, v8
	s_branch .LBB1_211
.LBB1_216:                              ;   in Loop: Header=BB1_145 Depth=1
	global_load_b128 v[6:9], v[6:7], off
	s_and_saveexec_b32 s1, s0
	s_cbranch_execz .LBB1_144
; %bb.217:                              ;   in Loop: Header=BB1_145 Depth=1
	s_clause 0x2
	global_load_b64 v[2:3], v10, s[2:3] offset:40
	global_load_b64 v[8:9], v10, s[2:3] offset:24 glc
	global_load_b64 v[15:16], v10, s[2:3]
	s_waitcnt vmcnt(2)
	v_add_co_u32 v17, vcc_lo, v2, 1
	v_add_co_ci_u32_e32 v18, vcc_lo, 0, v3, vcc_lo
	s_delay_alu instid0(VALU_DEP_2) | instskip(NEXT) | instid1(VALU_DEP_2)
	v_add_co_u32 v13, vcc_lo, v17, s12
	v_add_co_ci_u32_e32 v14, vcc_lo, s13, v18, vcc_lo
	s_delay_alu instid0(VALU_DEP_1) | instskip(SKIP_1) | instid1(VALU_DEP_1)
	v_cmp_eq_u64_e32 vcc_lo, 0, v[13:14]
	v_dual_cndmask_b32 v14, v14, v18 :: v_dual_cndmask_b32 v13, v13, v17
	v_and_b32_e32 v3, v14, v3
	s_delay_alu instid0(VALU_DEP_2) | instskip(NEXT) | instid1(VALU_DEP_2)
	v_and_b32_e32 v2, v13, v2
	v_mul_lo_u32 v3, v3, 24
	s_delay_alu instid0(VALU_DEP_2) | instskip(SKIP_1) | instid1(VALU_DEP_2)
	v_mul_hi_u32 v17, v2, 24
	v_mul_lo_u32 v2, v2, 24
	v_add_nc_u32_e32 v3, v17, v3
	s_waitcnt vmcnt(0)
	s_delay_alu instid0(VALU_DEP_2) | instskip(SKIP_1) | instid1(VALU_DEP_3)
	v_add_co_u32 v2, vcc_lo, v15, v2
	v_mov_b32_e32 v15, v8
	v_add_co_ci_u32_e32 v3, vcc_lo, v16, v3, vcc_lo
	v_mov_b32_e32 v16, v9
	global_store_b64 v[2:3], v[8:9], off
	s_waitcnt_vscnt null, 0x0
	global_atomic_cmpswap_b64 v[15:16], v10, v[13:16], s[2:3] offset:24 glc
	s_waitcnt vmcnt(0)
	v_cmp_ne_u64_e32 vcc_lo, v[15:16], v[8:9]
	s_and_b32 exec_lo, exec_lo, vcc_lo
	s_cbranch_execz .LBB1_144
; %bb.218:                              ;   in Loop: Header=BB1_145 Depth=1
	s_mov_b32 s0, 0
.LBB1_219:                              ;   Parent Loop BB1_145 Depth=1
                                        ; =>  This Inner Loop Header: Depth=2
	s_sleep 1
	global_store_b64 v[2:3], v[15:16], off
	s_waitcnt_vscnt null, 0x0
	global_atomic_cmpswap_b64 v[8:9], v10, v[13:16], s[2:3] offset:24 glc
	s_waitcnt vmcnt(0)
	v_cmp_eq_u64_e32 vcc_lo, v[8:9], v[15:16]
	v_dual_mov_b32 v16, v9 :: v_dual_mov_b32 v15, v8
	s_or_b32 s0, vcc_lo, s0
	s_delay_alu instid0(SALU_CYCLE_1)
	s_and_not1_b32 exec_lo, exec_lo, s0
	s_cbranch_execnz .LBB1_219
	s_branch .LBB1_144
.LBB1_220:
                                        ; implicit-def: $vgpr6_vgpr7
	s_cbranch_execnz .LBB1_222
	s_branch .LBB1_249
.LBB1_221:
	s_branch .LBB1_249
.LBB1_222:
	v_readfirstlane_b32 s0, v35
	v_mov_b32_e32 v10, 0
	v_mov_b32_e32 v11, 0
	s_delay_alu instid0(VALU_DEP_3) | instskip(NEXT) | instid1(VALU_DEP_1)
	v_cmp_eq_u32_e64 s0, s0, v35
	s_and_saveexec_b32 s1, s0
	s_cbranch_execz .LBB1_228
; %bb.223:
	s_waitcnt vmcnt(0)
	v_mov_b32_e32 v2, 0
	s_mov_b32 s4, exec_lo
	global_load_b64 v[8:9], v2, s[2:3] offset:24 glc
	s_waitcnt vmcnt(0)
	buffer_gl1_inv
	buffer_gl0_inv
	s_clause 0x1
	global_load_b64 v[6:7], v2, s[2:3] offset:40
	global_load_b64 v[10:11], v2, s[2:3]
	s_waitcnt vmcnt(1)
	v_and_b32_e32 v3, v7, v9
	v_and_b32_e32 v6, v6, v8
	s_delay_alu instid0(VALU_DEP_2) | instskip(NEXT) | instid1(VALU_DEP_2)
	v_mul_lo_u32 v3, v3, 24
	v_mul_hi_u32 v7, v6, 24
	v_mul_lo_u32 v6, v6, 24
	s_delay_alu instid0(VALU_DEP_2) | instskip(SKIP_1) | instid1(VALU_DEP_2)
	v_add_nc_u32_e32 v3, v7, v3
	s_waitcnt vmcnt(0)
	v_add_co_u32 v6, vcc_lo, v10, v6
	s_delay_alu instid0(VALU_DEP_2)
	v_add_co_ci_u32_e32 v7, vcc_lo, v11, v3, vcc_lo
	global_load_b64 v[6:7], v[6:7], off glc
	s_waitcnt vmcnt(0)
	global_atomic_cmpswap_b64 v[10:11], v2, v[6:9], s[2:3] offset:24 glc
	s_waitcnt vmcnt(0)
	buffer_gl1_inv
	buffer_gl0_inv
	v_cmpx_ne_u64_e64 v[10:11], v[8:9]
	s_cbranch_execz .LBB1_227
; %bb.224:
	s_mov_b32 s5, 0
	.p2align	6
.LBB1_225:                              ; =>This Inner Loop Header: Depth=1
	s_sleep 1
	s_clause 0x1
	global_load_b64 v[6:7], v2, s[2:3] offset:40
	global_load_b64 v[12:13], v2, s[2:3]
	v_dual_mov_b32 v8, v10 :: v_dual_mov_b32 v9, v11
	s_waitcnt vmcnt(1)
	s_delay_alu instid0(VALU_DEP_1) | instskip(SKIP_1) | instid1(VALU_DEP_1)
	v_and_b32_e32 v3, v6, v8
	s_waitcnt vmcnt(0)
	v_mad_u64_u32 v[10:11], null, v3, 24, v[12:13]
	v_and_b32_e32 v12, v7, v9
	s_delay_alu instid0(VALU_DEP_2) | instskip(NEXT) | instid1(VALU_DEP_1)
	v_mov_b32_e32 v3, v11
	v_mad_u64_u32 v[6:7], null, v12, 24, v[3:4]
	s_delay_alu instid0(VALU_DEP_1)
	v_mov_b32_e32 v11, v6
	global_load_b64 v[6:7], v[10:11], off glc
	s_waitcnt vmcnt(0)
	global_atomic_cmpswap_b64 v[10:11], v2, v[6:9], s[2:3] offset:24 glc
	s_waitcnt vmcnt(0)
	buffer_gl1_inv
	buffer_gl0_inv
	v_cmp_eq_u64_e32 vcc_lo, v[10:11], v[8:9]
	s_or_b32 s5, vcc_lo, s5
	s_delay_alu instid0(SALU_CYCLE_1)
	s_and_not1_b32 exec_lo, exec_lo, s5
	s_cbranch_execnz .LBB1_225
; %bb.226:
	s_or_b32 exec_lo, exec_lo, s5
.LBB1_227:
	s_delay_alu instid0(SALU_CYCLE_1)
	s_or_b32 exec_lo, exec_lo, s4
.LBB1_228:
	s_delay_alu instid0(SALU_CYCLE_1)
	s_or_b32 exec_lo, exec_lo, s1
	s_waitcnt vmcnt(0)
	v_mov_b32_e32 v2, 0
	v_readfirstlane_b32 s4, v10
	v_readfirstlane_b32 s5, v11
	s_mov_b32 s1, exec_lo
	s_clause 0x1
	global_load_b64 v[12:13], v2, s[2:3] offset:40
	global_load_b128 v[6:9], v2, s[2:3]
	s_waitcnt vmcnt(1)
	v_readfirstlane_b32 s6, v12
	v_readfirstlane_b32 s7, v13
	s_delay_alu instid0(VALU_DEP_1) | instskip(NEXT) | instid1(SALU_CYCLE_1)
	s_and_b64 s[6:7], s[4:5], s[6:7]
	s_mul_i32 s10, s7, 24
	s_mul_hi_u32 s11, s6, 24
	s_mul_i32 s12, s6, 24
	s_add_i32 s11, s11, s10
	s_waitcnt vmcnt(0)
	v_add_co_u32 v10, vcc_lo, v6, s12
	v_add_co_ci_u32_e32 v11, vcc_lo, s11, v7, vcc_lo
	s_and_saveexec_b32 s10, s0
	s_cbranch_execz .LBB1_230
; %bb.229:
	v_dual_mov_b32 v12, s1 :: v_dual_mov_b32 v13, v2
	v_dual_mov_b32 v14, 2 :: v_dual_mov_b32 v15, 1
	global_store_b128 v[10:11], v[12:15], off offset:8
.LBB1_230:
	s_or_b32 exec_lo, exec_lo, s10
	s_lshl_b64 s[6:7], s[6:7], 12
	s_mov_b32 s12, 0
	v_add_co_u32 v8, vcc_lo, v8, s6
	v_add_co_ci_u32_e32 v9, vcc_lo, s7, v9, vcc_lo
	s_mov_b32 s13, s12
	s_delay_alu instid0(VALU_DEP_2)
	v_readfirstlane_b32 s6, v8
	v_add_co_u32 v8, vcc_lo, v8, v34
	s_mov_b32 s14, s12
	s_mov_b32 s15, s12
	v_and_or_b32 v0, 0xffffff1f, v0, 32
	v_dual_mov_b32 v3, v2 :: v_dual_mov_b32 v12, s12
	v_readfirstlane_b32 s7, v9
	v_add_co_ci_u32_e32 v9, vcc_lo, 0, v9, vcc_lo
	v_dual_mov_b32 v13, s13 :: v_dual_mov_b32 v14, s14
	v_mov_b32_e32 v15, s15
	s_clause 0x3
	global_store_b128 v34, v[0:3], s[6:7]
	global_store_b128 v34, v[12:15], s[6:7] offset:16
	global_store_b128 v34, v[12:15], s[6:7] offset:32
	;; [unrolled: 1-line block ×3, first 2 shown]
	s_and_saveexec_b32 s1, s0
	s_cbranch_execz .LBB1_238
; %bb.231:
	v_dual_mov_b32 v12, 0 :: v_dual_mov_b32 v13, s4
	v_mov_b32_e32 v14, s5
	s_clause 0x1
	global_load_b64 v[15:16], v12, s[2:3] offset:32 glc
	global_load_b64 v[0:1], v12, s[2:3] offset:40
	s_waitcnt vmcnt(0)
	v_readfirstlane_b32 s6, v0
	v_readfirstlane_b32 s7, v1
	s_delay_alu instid0(VALU_DEP_1) | instskip(NEXT) | instid1(SALU_CYCLE_1)
	s_and_b64 s[6:7], s[6:7], s[4:5]
	s_mul_i32 s7, s7, 24
	s_mul_hi_u32 s10, s6, 24
	s_mul_i32 s6, s6, 24
	s_add_i32 s10, s10, s7
	v_add_co_u32 v6, vcc_lo, v6, s6
	v_add_co_ci_u32_e32 v7, vcc_lo, s10, v7, vcc_lo
	s_mov_b32 s6, exec_lo
	global_store_b64 v[6:7], v[15:16], off
	s_waitcnt_vscnt null, 0x0
	global_atomic_cmpswap_b64 v[2:3], v12, v[13:16], s[2:3] offset:32 glc
	s_waitcnt vmcnt(0)
	v_cmpx_ne_u64_e64 v[2:3], v[15:16]
	s_cbranch_execz .LBB1_234
; %bb.232:
	s_mov_b32 s7, 0
.LBB1_233:                              ; =>This Inner Loop Header: Depth=1
	v_dual_mov_b32 v0, s4 :: v_dual_mov_b32 v1, s5
	s_sleep 1
	global_store_b64 v[6:7], v[2:3], off
	s_waitcnt_vscnt null, 0x0
	global_atomic_cmpswap_b64 v[0:1], v12, v[0:3], s[2:3] offset:32 glc
	s_waitcnt vmcnt(0)
	v_cmp_eq_u64_e32 vcc_lo, v[0:1], v[2:3]
	v_dual_mov_b32 v3, v1 :: v_dual_mov_b32 v2, v0
	s_or_b32 s7, vcc_lo, s7
	s_delay_alu instid0(SALU_CYCLE_1)
	s_and_not1_b32 exec_lo, exec_lo, s7
	s_cbranch_execnz .LBB1_233
.LBB1_234:
	s_or_b32 exec_lo, exec_lo, s6
	v_mov_b32_e32 v3, 0
	s_mov_b32 s7, exec_lo
	s_mov_b32 s6, exec_lo
	v_mbcnt_lo_u32_b32 v2, s7, 0
	global_load_b64 v[0:1], v3, s[2:3] offset:16
	v_cmpx_eq_u32_e32 0, v2
	s_cbranch_execz .LBB1_236
; %bb.235:
	s_bcnt1_i32_b32 s7, s7
	s_delay_alu instid0(SALU_CYCLE_1)
	v_mov_b32_e32 v2, s7
	s_waitcnt vmcnt(0)
	global_atomic_add_u64 v[0:1], v[2:3], off offset:8
.LBB1_236:
	s_or_b32 exec_lo, exec_lo, s6
	s_waitcnt vmcnt(0)
	global_load_b64 v[2:3], v[0:1], off offset:16
	s_waitcnt vmcnt(0)
	v_cmp_eq_u64_e32 vcc_lo, 0, v[2:3]
	s_cbranch_vccnz .LBB1_238
; %bb.237:
	global_load_b32 v0, v[0:1], off offset:24
	s_waitcnt vmcnt(0)
	v_dual_mov_b32 v1, 0 :: v_dual_and_b32 v6, 0xffffff, v0
	s_waitcnt_vscnt null, 0x0
	global_store_b64 v[2:3], v[0:1], off
	v_readfirstlane_b32 m0, v6
	s_sendmsg sendmsg(MSG_INTERRUPT)
.LBB1_238:
	s_or_b32 exec_lo, exec_lo, s1
	s_branch .LBB1_242
	.p2align	6
.LBB1_239:                              ;   in Loop: Header=BB1_242 Depth=1
	s_or_b32 exec_lo, exec_lo, s1
	s_delay_alu instid0(VALU_DEP_1) | instskip(NEXT) | instid1(VALU_DEP_1)
	v_readfirstlane_b32 s1, v0
	s_cmp_eq_u32 s1, 0
	s_cbranch_scc1 .LBB1_241
; %bb.240:                              ;   in Loop: Header=BB1_242 Depth=1
	s_sleep 1
	s_cbranch_execnz .LBB1_242
	s_branch .LBB1_244
	.p2align	6
.LBB1_241:
	s_branch .LBB1_244
.LBB1_242:                              ; =>This Inner Loop Header: Depth=1
	v_mov_b32_e32 v0, 1
	s_and_saveexec_b32 s1, s0
	s_cbranch_execz .LBB1_239
; %bb.243:                              ;   in Loop: Header=BB1_242 Depth=1
	global_load_b32 v0, v[10:11], off offset:20 glc
	s_waitcnt vmcnt(0)
	buffer_gl1_inv
	buffer_gl0_inv
	v_and_b32_e32 v0, 1, v0
	s_branch .LBB1_239
.LBB1_244:
	global_load_b64 v[6:7], v[8:9], off
	s_and_saveexec_b32 s1, s0
	s_cbranch_execz .LBB1_248
; %bb.245:
	v_mov_b32_e32 v10, 0
	s_clause 0x2
	global_load_b64 v[2:3], v10, s[2:3] offset:40
	global_load_b64 v[11:12], v10, s[2:3] offset:24 glc
	global_load_b64 v[8:9], v10, s[2:3]
	s_waitcnt vmcnt(2)
	v_add_co_u32 v13, vcc_lo, v2, 1
	v_add_co_ci_u32_e32 v14, vcc_lo, 0, v3, vcc_lo
	s_delay_alu instid0(VALU_DEP_2) | instskip(NEXT) | instid1(VALU_DEP_2)
	v_add_co_u32 v0, vcc_lo, v13, s4
	v_add_co_ci_u32_e32 v1, vcc_lo, s5, v14, vcc_lo
	s_delay_alu instid0(VALU_DEP_1) | instskip(SKIP_1) | instid1(VALU_DEP_1)
	v_cmp_eq_u64_e32 vcc_lo, 0, v[0:1]
	v_dual_cndmask_b32 v1, v1, v14 :: v_dual_cndmask_b32 v0, v0, v13
	v_and_b32_e32 v3, v1, v3
	s_delay_alu instid0(VALU_DEP_2) | instskip(NEXT) | instid1(VALU_DEP_2)
	v_and_b32_e32 v2, v0, v2
	v_mul_lo_u32 v3, v3, 24
	s_delay_alu instid0(VALU_DEP_2) | instskip(SKIP_1) | instid1(VALU_DEP_2)
	v_mul_hi_u32 v13, v2, 24
	v_mul_lo_u32 v2, v2, 24
	v_add_nc_u32_e32 v3, v13, v3
	s_waitcnt vmcnt(0)
	s_delay_alu instid0(VALU_DEP_2) | instskip(SKIP_1) | instid1(VALU_DEP_3)
	v_add_co_u32 v8, vcc_lo, v8, v2
	v_mov_b32_e32 v2, v11
	v_add_co_ci_u32_e32 v9, vcc_lo, v9, v3, vcc_lo
	v_mov_b32_e32 v3, v12
	global_store_b64 v[8:9], v[11:12], off
	s_waitcnt_vscnt null, 0x0
	global_atomic_cmpswap_b64 v[2:3], v10, v[0:3], s[2:3] offset:24 glc
	s_waitcnt vmcnt(0)
	v_cmp_ne_u64_e32 vcc_lo, v[2:3], v[11:12]
	s_and_b32 exec_lo, exec_lo, vcc_lo
	s_cbranch_execz .LBB1_248
; %bb.246:
	s_mov_b32 s0, 0
.LBB1_247:                              ; =>This Inner Loop Header: Depth=1
	s_sleep 1
	global_store_b64 v[8:9], v[2:3], off
	s_waitcnt_vscnt null, 0x0
	global_atomic_cmpswap_b64 v[11:12], v10, v[0:3], s[2:3] offset:24 glc
	s_waitcnt vmcnt(0)
	v_cmp_eq_u64_e32 vcc_lo, v[11:12], v[2:3]
	v_dual_mov_b32 v2, v11 :: v_dual_mov_b32 v3, v12
	s_or_b32 s0, vcc_lo, s0
	s_delay_alu instid0(SALU_CYCLE_1)
	s_and_not1_b32 exec_lo, exec_lo, s0
	s_cbranch_execnz .LBB1_247
.LBB1_248:
	s_or_b32 exec_lo, exec_lo, s1
.LBB1_249:
	v_readfirstlane_b32 s0, v35
	v_mov_b32_e32 v10, 0
	v_mov_b32_e32 v11, 0
	s_delay_alu instid0(VALU_DEP_3) | instskip(NEXT) | instid1(VALU_DEP_1)
	v_cmp_eq_u32_e64 s0, s0, v35
	s_and_saveexec_b32 s1, s0
	s_cbranch_execz .LBB1_255
; %bb.250:
	s_waitcnt vmcnt(0)
	v_mov_b32_e32 v0, 0
	s_mov_b32 s4, exec_lo
	global_load_b64 v[12:13], v0, s[2:3] offset:24 glc
	s_waitcnt vmcnt(0)
	buffer_gl1_inv
	buffer_gl0_inv
	s_clause 0x1
	global_load_b64 v[1:2], v0, s[2:3] offset:40
	global_load_b64 v[8:9], v0, s[2:3]
	s_waitcnt vmcnt(1)
	v_and_b32_e32 v1, v1, v12
	v_and_b32_e32 v2, v2, v13
	s_delay_alu instid0(VALU_DEP_2) | instskip(NEXT) | instid1(VALU_DEP_2)
	v_mul_hi_u32 v3, v1, 24
	v_mul_lo_u32 v2, v2, 24
	v_mul_lo_u32 v1, v1, 24
	s_delay_alu instid0(VALU_DEP_2) | instskip(SKIP_1) | instid1(VALU_DEP_2)
	v_add_nc_u32_e32 v2, v3, v2
	s_waitcnt vmcnt(0)
	v_add_co_u32 v1, vcc_lo, v8, v1
	s_delay_alu instid0(VALU_DEP_2)
	v_add_co_ci_u32_e32 v2, vcc_lo, v9, v2, vcc_lo
	global_load_b64 v[10:11], v[1:2], off glc
	s_waitcnt vmcnt(0)
	global_atomic_cmpswap_b64 v[10:11], v0, v[10:13], s[2:3] offset:24 glc
	s_waitcnt vmcnt(0)
	buffer_gl1_inv
	buffer_gl0_inv
	v_cmpx_ne_u64_e64 v[10:11], v[12:13]
	s_cbranch_execz .LBB1_254
; %bb.251:
	s_mov_b32 s5, 0
	.p2align	6
.LBB1_252:                              ; =>This Inner Loop Header: Depth=1
	s_sleep 1
	s_clause 0x1
	global_load_b64 v[1:2], v0, s[2:3] offset:40
	global_load_b64 v[8:9], v0, s[2:3]
	v_dual_mov_b32 v13, v11 :: v_dual_mov_b32 v12, v10
	s_waitcnt vmcnt(1)
	s_delay_alu instid0(VALU_DEP_1) | instskip(SKIP_1) | instid1(VALU_DEP_1)
	v_and_b32_e32 v1, v1, v12
	s_waitcnt vmcnt(0)
	v_mad_u64_u32 v[10:11], null, v1, 24, v[8:9]
	s_delay_alu instid0(VALU_DEP_1) | instskip(NEXT) | instid1(VALU_DEP_1)
	v_dual_mov_b32 v1, v11 :: v_dual_and_b32 v8, v2, v13
	v_mad_u64_u32 v[2:3], null, v8, 24, v[1:2]
	s_delay_alu instid0(VALU_DEP_1)
	v_mov_b32_e32 v11, v2
	global_load_b64 v[10:11], v[10:11], off glc
	s_waitcnt vmcnt(0)
	global_atomic_cmpswap_b64 v[10:11], v0, v[10:13], s[2:3] offset:24 glc
	s_waitcnt vmcnt(0)
	buffer_gl1_inv
	buffer_gl0_inv
	v_cmp_eq_u64_e32 vcc_lo, v[10:11], v[12:13]
	s_or_b32 s5, vcc_lo, s5
	s_delay_alu instid0(SALU_CYCLE_1)
	s_and_not1_b32 exec_lo, exec_lo, s5
	s_cbranch_execnz .LBB1_252
; %bb.253:
	s_or_b32 exec_lo, exec_lo, s5
.LBB1_254:
	s_delay_alu instid0(SALU_CYCLE_1)
	s_or_b32 exec_lo, exec_lo, s4
.LBB1_255:
	s_delay_alu instid0(SALU_CYCLE_1)
	s_or_b32 exec_lo, exec_lo, s1
	s_waitcnt vmcnt(0)
	v_mov_b32_e32 v9, 0
	v_readfirstlane_b32 s4, v10
	v_readfirstlane_b32 s5, v11
	s_mov_b32 s1, exec_lo
	s_clause 0x1
	global_load_b64 v[12:13], v9, s[2:3] offset:40
	global_load_b128 v[0:3], v9, s[2:3]
	s_waitcnt vmcnt(1)
	v_readfirstlane_b32 s6, v12
	v_readfirstlane_b32 s7, v13
	s_delay_alu instid0(VALU_DEP_1) | instskip(NEXT) | instid1(SALU_CYCLE_1)
	s_and_b64 s[6:7], s[4:5], s[6:7]
	s_mul_i32 s10, s7, 24
	s_mul_hi_u32 s11, s6, 24
	s_mul_i32 s12, s6, 24
	s_add_i32 s11, s11, s10
	s_waitcnt vmcnt(0)
	v_add_co_u32 v10, vcc_lo, v0, s12
	v_add_co_ci_u32_e32 v11, vcc_lo, s11, v1, vcc_lo
	s_and_saveexec_b32 s10, s0
	s_cbranch_execz .LBB1_257
; %bb.256:
	v_dual_mov_b32 v8, s1 :: v_dual_mov_b32 v15, 1
	v_dual_mov_b32 v14, 2 :: v_dual_mov_b32 v13, v9
	s_delay_alu instid0(VALU_DEP_2)
	v_mov_b32_e32 v12, v8
	global_store_b128 v[10:11], v[12:15], off offset:8
.LBB1_257:
	s_or_b32 exec_lo, exec_lo, s10
	s_lshl_b64 s[6:7], s[6:7], 12
	s_mov_b32 s12, 0
	v_add_co_u32 v2, vcc_lo, v2, s6
	v_add_co_ci_u32_e32 v3, vcc_lo, s7, v3, vcc_lo
	s_mov_b32 s15, s12
	s_delay_alu instid0(VALU_DEP_2)
	v_add_co_u32 v12, vcc_lo, v2, v34
	s_mov_b32 s13, s12
	s_mov_b32 s14, s12
	v_and_or_b32 v6, 0xffffff1f, v6, 32
	v_dual_mov_b32 v8, 0x331 :: v_dual_mov_b32 v17, s15
	v_readfirstlane_b32 s6, v2
	v_readfirstlane_b32 s7, v3
	v_add_co_ci_u32_e32 v13, vcc_lo, 0, v3, vcc_lo
	v_dual_mov_b32 v16, s14 :: v_dual_mov_b32 v15, s13
	v_mov_b32_e32 v14, s12
	s_clause 0x3
	global_store_b128 v34, v[6:9], s[6:7]
	global_store_b128 v34, v[14:17], s[6:7] offset:16
	global_store_b128 v34, v[14:17], s[6:7] offset:32
	;; [unrolled: 1-line block ×3, first 2 shown]
	s_and_saveexec_b32 s1, s0
	s_cbranch_execz .LBB1_265
; %bb.258:
	v_dual_mov_b32 v8, 0 :: v_dual_mov_b32 v15, s5
	v_mov_b32_e32 v14, s4
	s_clause 0x1
	global_load_b64 v[16:17], v8, s[2:3] offset:32 glc
	global_load_b64 v[2:3], v8, s[2:3] offset:40
	s_waitcnt vmcnt(0)
	v_readfirstlane_b32 s6, v2
	v_readfirstlane_b32 s7, v3
	s_delay_alu instid0(VALU_DEP_1) | instskip(NEXT) | instid1(SALU_CYCLE_1)
	s_and_b64 s[6:7], s[6:7], s[4:5]
	s_mul_i32 s7, s7, 24
	s_mul_hi_u32 s10, s6, 24
	s_mul_i32 s6, s6, 24
	s_add_i32 s10, s10, s7
	v_add_co_u32 v6, vcc_lo, v0, s6
	v_add_co_ci_u32_e32 v7, vcc_lo, s10, v1, vcc_lo
	s_mov_b32 s6, exec_lo
	global_store_b64 v[6:7], v[16:17], off
	s_waitcnt_vscnt null, 0x0
	global_atomic_cmpswap_b64 v[2:3], v8, v[14:17], s[2:3] offset:32 glc
	s_waitcnt vmcnt(0)
	v_cmpx_ne_u64_e64 v[2:3], v[16:17]
	s_cbranch_execz .LBB1_261
; %bb.259:
	s_mov_b32 s7, 0
.LBB1_260:                              ; =>This Inner Loop Header: Depth=1
	v_dual_mov_b32 v0, s4 :: v_dual_mov_b32 v1, s5
	s_sleep 1
	global_store_b64 v[6:7], v[2:3], off
	s_waitcnt_vscnt null, 0x0
	global_atomic_cmpswap_b64 v[0:1], v8, v[0:3], s[2:3] offset:32 glc
	s_waitcnt vmcnt(0)
	v_cmp_eq_u64_e32 vcc_lo, v[0:1], v[2:3]
	v_dual_mov_b32 v3, v1 :: v_dual_mov_b32 v2, v0
	s_or_b32 s7, vcc_lo, s7
	s_delay_alu instid0(SALU_CYCLE_1)
	s_and_not1_b32 exec_lo, exec_lo, s7
	s_cbranch_execnz .LBB1_260
.LBB1_261:
	s_or_b32 exec_lo, exec_lo, s6
	v_mov_b32_e32 v3, 0
	s_mov_b32 s7, exec_lo
	s_mov_b32 s6, exec_lo
	v_mbcnt_lo_u32_b32 v2, s7, 0
	global_load_b64 v[0:1], v3, s[2:3] offset:16
	v_cmpx_eq_u32_e32 0, v2
	s_cbranch_execz .LBB1_263
; %bb.262:
	s_bcnt1_i32_b32 s7, s7
	s_delay_alu instid0(SALU_CYCLE_1)
	v_mov_b32_e32 v2, s7
	s_waitcnt vmcnt(0)
	global_atomic_add_u64 v[0:1], v[2:3], off offset:8
.LBB1_263:
	s_or_b32 exec_lo, exec_lo, s6
	s_waitcnt vmcnt(0)
	global_load_b64 v[2:3], v[0:1], off offset:16
	s_waitcnt vmcnt(0)
	v_cmp_eq_u64_e32 vcc_lo, 0, v[2:3]
	s_cbranch_vccnz .LBB1_265
; %bb.264:
	global_load_b32 v0, v[0:1], off offset:24
	s_waitcnt vmcnt(0)
	v_dual_mov_b32 v1, 0 :: v_dual_and_b32 v6, 0xffffff, v0
	s_waitcnt_vscnt null, 0x0
	global_store_b64 v[2:3], v[0:1], off
	v_readfirstlane_b32 m0, v6
	s_sendmsg sendmsg(MSG_INTERRUPT)
.LBB1_265:
	s_or_b32 exec_lo, exec_lo, s1
	s_branch .LBB1_269
	.p2align	6
.LBB1_266:                              ;   in Loop: Header=BB1_269 Depth=1
	s_or_b32 exec_lo, exec_lo, s1
	s_delay_alu instid0(VALU_DEP_1) | instskip(NEXT) | instid1(VALU_DEP_1)
	v_readfirstlane_b32 s1, v0
	s_cmp_eq_u32 s1, 0
	s_cbranch_scc1 .LBB1_268
; %bb.267:                              ;   in Loop: Header=BB1_269 Depth=1
	s_sleep 1
	s_cbranch_execnz .LBB1_269
	s_branch .LBB1_271
	.p2align	6
.LBB1_268:
	s_branch .LBB1_271
.LBB1_269:                              ; =>This Inner Loop Header: Depth=1
	v_mov_b32_e32 v0, 1
	s_and_saveexec_b32 s1, s0
	s_cbranch_execz .LBB1_266
; %bb.270:                              ;   in Loop: Header=BB1_269 Depth=1
	global_load_b32 v0, v[10:11], off offset:20 glc
	s_waitcnt vmcnt(0)
	buffer_gl1_inv
	buffer_gl0_inv
	v_and_b32_e32 v0, 1, v0
	s_branch .LBB1_266
.LBB1_271:
	global_load_b64 v[0:1], v[12:13], off
	s_and_saveexec_b32 s1, s0
	s_cbranch_execz .LBB1_275
; %bb.272:
	v_mov_b32_e32 v10, 0
	s_clause 0x2
	global_load_b64 v[2:3], v10, s[2:3] offset:40
	global_load_b64 v[11:12], v10, s[2:3] offset:24 glc
	global_load_b64 v[8:9], v10, s[2:3]
	s_waitcnt vmcnt(2)
	v_add_co_u32 v13, vcc_lo, v2, 1
	v_add_co_ci_u32_e32 v14, vcc_lo, 0, v3, vcc_lo
	s_delay_alu instid0(VALU_DEP_2) | instskip(NEXT) | instid1(VALU_DEP_2)
	v_add_co_u32 v6, vcc_lo, v13, s4
	v_add_co_ci_u32_e32 v7, vcc_lo, s5, v14, vcc_lo
	s_delay_alu instid0(VALU_DEP_1) | instskip(SKIP_1) | instid1(VALU_DEP_1)
	v_cmp_eq_u64_e32 vcc_lo, 0, v[6:7]
	v_dual_cndmask_b32 v7, v7, v14 :: v_dual_cndmask_b32 v6, v6, v13
	v_and_b32_e32 v3, v7, v3
	s_delay_alu instid0(VALU_DEP_2) | instskip(NEXT) | instid1(VALU_DEP_2)
	v_and_b32_e32 v2, v6, v2
	v_mul_lo_u32 v3, v3, 24
	s_delay_alu instid0(VALU_DEP_2) | instskip(SKIP_1) | instid1(VALU_DEP_2)
	v_mul_hi_u32 v13, v2, 24
	v_mul_lo_u32 v2, v2, 24
	v_add_nc_u32_e32 v3, v13, v3
	s_waitcnt vmcnt(0)
	s_delay_alu instid0(VALU_DEP_2) | instskip(SKIP_1) | instid1(VALU_DEP_3)
	v_add_co_u32 v2, vcc_lo, v8, v2
	v_mov_b32_e32 v8, v11
	v_add_co_ci_u32_e32 v3, vcc_lo, v9, v3, vcc_lo
	v_mov_b32_e32 v9, v12
	global_store_b64 v[2:3], v[11:12], off
	s_waitcnt_vscnt null, 0x0
	global_atomic_cmpswap_b64 v[8:9], v10, v[6:9], s[2:3] offset:24 glc
	s_waitcnt vmcnt(0)
	v_cmp_ne_u64_e32 vcc_lo, v[8:9], v[11:12]
	s_and_b32 exec_lo, exec_lo, vcc_lo
	s_cbranch_execz .LBB1_275
; %bb.273:
	s_mov_b32 s0, 0
.LBB1_274:                              ; =>This Inner Loop Header: Depth=1
	s_sleep 1
	global_store_b64 v[2:3], v[8:9], off
	s_waitcnt_vscnt null, 0x0
	global_atomic_cmpswap_b64 v[11:12], v10, v[6:9], s[2:3] offset:24 glc
	s_waitcnt vmcnt(0)
	v_cmp_eq_u64_e32 vcc_lo, v[11:12], v[8:9]
	v_dual_mov_b32 v8, v11 :: v_dual_mov_b32 v9, v12
	s_or_b32 s0, vcc_lo, s0
	s_delay_alu instid0(SALU_CYCLE_1)
	s_and_not1_b32 exec_lo, exec_lo, s0
	s_cbranch_execnz .LBB1_274
.LBB1_275:
	s_or_b32 exec_lo, exec_lo, s1
	v_dual_mov_b32 v7, v5 :: v_dual_mov_b32 v6, v4
	s_mov_b32 s0, 0
.LBB1_276:                              ; =>This Inner Loop Header: Depth=1
	flat_load_u8 v8, v[6:7]
	v_add_co_u32 v2, vcc_lo, v6, 1
	v_add_co_ci_u32_e32 v3, vcc_lo, 0, v7, vcc_lo
	s_delay_alu instid0(VALU_DEP_1) | instskip(SKIP_3) | instid1(SALU_CYCLE_1)
	v_dual_mov_b32 v7, v3 :: v_dual_mov_b32 v6, v2
	s_waitcnt vmcnt(0) lgkmcnt(0)
	v_cmp_eq_u16_e32 vcc_lo, 0, v8
	s_or_b32 s0, vcc_lo, s0
	s_and_not1_b32 exec_lo, exec_lo, s0
	s_cbranch_execnz .LBB1_276
; %bb.277:
	s_or_b32 exec_lo, exec_lo, s0
	s_delay_alu instid0(SALU_CYCLE_1)
	s_mov_b32 s0, exec_lo
	v_cmpx_ne_u64_e32 0, v[4:5]
	s_xor_b32 s10, exec_lo, s0
	s_cbranch_execz .LBB1_363
; %bb.278:
	v_sub_nc_u32_e32 v26, v2, v4
	v_dual_mov_b32 v7, 0 :: v_dual_and_b32 v32, 2, v0
	v_dual_mov_b32 v9, 1 :: v_dual_and_b32 v0, -3, v0
	v_mov_b32_e32 v8, 2
	s_delay_alu instid0(VALU_DEP_4)
	v_ashrrev_i32_e32 v27, 31, v26
	s_mov_b32 s12, 0
	s_mov_b32 s11, 0
	s_branch .LBB1_280
.LBB1_279:                              ;   in Loop: Header=BB1_280 Depth=1
	s_or_b32 exec_lo, exec_lo, s1
	v_sub_co_u32 v26, vcc_lo, v26, v28
	v_sub_co_ci_u32_e32 v27, vcc_lo, v27, v29, vcc_lo
	v_add_co_u32 v4, s0, v4, v28
	s_delay_alu instid0(VALU_DEP_1) | instskip(NEXT) | instid1(VALU_DEP_3)
	v_add_co_ci_u32_e64 v5, s0, v5, v29, s0
	v_cmp_eq_u64_e32 vcc_lo, 0, v[26:27]
	s_or_b32 s11, vcc_lo, s11
	s_delay_alu instid0(SALU_CYCLE_1)
	s_and_not1_b32 exec_lo, exec_lo, s11
	s_cbranch_execz .LBB1_362
.LBB1_280:                              ; =>This Loop Header: Depth=1
                                        ;     Child Loop BB1_283 Depth 2
                                        ;     Child Loop BB1_291 Depth 2
	;; [unrolled: 1-line block ×11, first 2 shown]
	s_delay_alu instid0(VALU_DEP_1)
	v_cmp_gt_u64_e32 vcc_lo, 56, v[26:27]
	s_mov_b32 s1, exec_lo
                                        ; implicit-def: $vgpr2_vgpr3
                                        ; implicit-def: $sgpr4
	v_dual_cndmask_b32 v29, 0, v27 :: v_dual_cndmask_b32 v28, 56, v26
	v_cmpx_gt_u64_e32 8, v[26:27]
	s_xor_b32 s1, exec_lo, s1
	s_cbranch_execz .LBB1_286
; %bb.281:                              ;   in Loop: Header=BB1_280 Depth=1
	s_waitcnt vmcnt(0)
	v_mov_b32_e32 v2, 0
	v_mov_b32_e32 v3, 0
	s_mov_b64 s[4:5], 0
	s_mov_b32 s6, exec_lo
	v_cmpx_ne_u64_e32 0, v[26:27]
	s_cbranch_execz .LBB1_285
; %bb.282:                              ;   in Loop: Header=BB1_280 Depth=1
	v_lshlrev_b64 v[10:11], 3, v[28:29]
	v_mov_b32_e32 v2, 0
	v_dual_mov_b32 v3, 0 :: v_dual_mov_b32 v12, v5
	v_mov_b32_e32 v11, v4
	s_mov_b32 s7, 0
	.p2align	6
.LBB1_283:                              ;   Parent Loop BB1_280 Depth=1
                                        ; =>  This Inner Loop Header: Depth=2
	flat_load_u8 v6, v[11:12]
	v_mov_b32_e32 v14, s12
	v_add_co_u32 v11, vcc_lo, v11, 1
	v_add_co_ci_u32_e32 v12, vcc_lo, 0, v12, vcc_lo
	s_waitcnt vmcnt(0) lgkmcnt(0)
	v_and_b32_e32 v13, 0xffff, v6
	s_delay_alu instid0(VALU_DEP_1) | instskip(SKIP_3) | instid1(VALU_DEP_2)
	v_lshlrev_b64 v[13:14], s4, v[13:14]
	s_add_u32 s4, s4, 8
	s_addc_u32 s5, s5, 0
	v_cmp_eq_u32_e64 s0, s4, v10
	v_or_b32_e32 v3, v14, v3
	s_delay_alu instid0(VALU_DEP_3) | instskip(NEXT) | instid1(VALU_DEP_3)
	v_or_b32_e32 v2, v13, v2
	s_or_b32 s7, s0, s7
	s_delay_alu instid0(SALU_CYCLE_1)
	s_and_not1_b32 exec_lo, exec_lo, s7
	s_cbranch_execnz .LBB1_283
; %bb.284:                              ;   in Loop: Header=BB1_280 Depth=1
	s_or_b32 exec_lo, exec_lo, s7
.LBB1_285:                              ;   in Loop: Header=BB1_280 Depth=1
	s_delay_alu instid0(SALU_CYCLE_1)
	s_or_b32 exec_lo, exec_lo, s6
	s_mov_b32 s4, 0
.LBB1_286:                              ;   in Loop: Header=BB1_280 Depth=1
	s_or_saveexec_b32 s0, s1
	v_dual_mov_b32 v6, s4 :: v_dual_mov_b32 v23, v5
	v_mov_b32_e32 v22, v4
	s_xor_b32 exec_lo, exec_lo, s0
	s_cbranch_execz .LBB1_288
; %bb.287:                              ;   in Loop: Header=BB1_280 Depth=1
	s_waitcnt vmcnt(0)
	flat_load_b64 v[2:3], v[4:5]
	v_add_co_u32 v22, vcc_lo, v4, 8
	v_add_co_ci_u32_e32 v23, vcc_lo, 0, v5, vcc_lo
	s_waitcnt vmcnt(0) lgkmcnt(0)
	v_and_b32_e32 v6, 0xff, v3
	v_and_b32_e32 v10, 0xff00, v3
	;; [unrolled: 1-line block ×4, first 2 shown]
	v_or3_b32 v2, v2, 0, 0
	s_delay_alu instid0(VALU_DEP_4) | instskip(SKIP_1) | instid1(VALU_DEP_2)
	v_or_b32_e32 v10, v6, v10
	v_add_nc_u32_e32 v6, -8, v28
	v_or3_b32 v3, v10, v11, v3
.LBB1_288:                              ;   in Loop: Header=BB1_280 Depth=1
	s_or_b32 exec_lo, exec_lo, s0
                                        ; implicit-def: $vgpr10_vgpr11
                                        ; implicit-def: $sgpr1
	s_delay_alu instid0(SALU_CYCLE_1) | instskip(NEXT) | instid1(VALU_DEP_2)
	s_mov_b32 s0, exec_lo
	v_cmpx_gt_u32_e32 8, v6
	s_xor_b32 s6, exec_lo, s0
	s_cbranch_execz .LBB1_294
; %bb.289:                              ;   in Loop: Header=BB1_280 Depth=1
	v_mov_b32_e32 v10, 0
	v_mov_b32_e32 v11, 0
	s_mov_b32 s7, exec_lo
	v_cmpx_ne_u32_e32 0, v6
	s_cbranch_execz .LBB1_293
; %bb.290:                              ;   in Loop: Header=BB1_280 Depth=1
	v_mov_b32_e32 v10, 0
	v_mov_b32_e32 v11, 0
	s_mov_b64 s[0:1], 0
	s_mov_b32 s13, 0
	s_mov_b64 s[4:5], 0
	.p2align	6
.LBB1_291:                              ;   Parent Loop BB1_280 Depth=1
                                        ; =>  This Inner Loop Header: Depth=2
	s_delay_alu instid0(SALU_CYCLE_1)
	v_add_co_u32 v12, vcc_lo, v22, s4
	v_add_co_ci_u32_e32 v13, vcc_lo, s5, v23, vcc_lo
	s_add_u32 s4, s4, 1
	s_addc_u32 s5, s5, 0
	v_cmp_eq_u32_e32 vcc_lo, s4, v6
	flat_load_u8 v12, v[12:13]
	s_waitcnt vmcnt(0) lgkmcnt(0)
	v_dual_mov_b32 v13, s12 :: v_dual_and_b32 v12, 0xffff, v12
	s_delay_alu instid0(VALU_DEP_1) | instskip(SKIP_3) | instid1(VALU_DEP_1)
	v_lshlrev_b64 v[12:13], s0, v[12:13]
	s_add_u32 s0, s0, 8
	s_addc_u32 s1, s1, 0
	s_or_b32 s13, vcc_lo, s13
	v_or_b32_e32 v11, v13, v11
	s_delay_alu instid0(VALU_DEP_2)
	v_or_b32_e32 v10, v12, v10
	s_and_not1_b32 exec_lo, exec_lo, s13
	s_cbranch_execnz .LBB1_291
; %bb.292:                              ;   in Loop: Header=BB1_280 Depth=1
	s_or_b32 exec_lo, exec_lo, s13
.LBB1_293:                              ;   in Loop: Header=BB1_280 Depth=1
	s_delay_alu instid0(SALU_CYCLE_1)
	s_or_b32 exec_lo, exec_lo, s7
	s_mov_b32 s1, 0
                                        ; implicit-def: $vgpr6
.LBB1_294:                              ;   in Loop: Header=BB1_280 Depth=1
	s_or_saveexec_b32 s0, s6
	v_mov_b32_e32 v14, s1
	s_xor_b32 exec_lo, exec_lo, s0
	s_cbranch_execz .LBB1_296
; %bb.295:                              ;   in Loop: Header=BB1_280 Depth=1
	flat_load_b64 v[10:11], v[22:23]
	v_add_co_u32 v22, vcc_lo, v22, 8
	v_add_nc_u32_e32 v14, -8, v6
	v_add_co_ci_u32_e32 v23, vcc_lo, 0, v23, vcc_lo
	s_waitcnt vmcnt(0) lgkmcnt(0)
	v_and_b32_e32 v12, 0xff, v11
	v_and_b32_e32 v13, 0xff00, v11
	;; [unrolled: 1-line block ×4, first 2 shown]
	v_or3_b32 v10, v10, 0, 0
	s_delay_alu instid0(VALU_DEP_4) | instskip(NEXT) | instid1(VALU_DEP_1)
	v_or_b32_e32 v12, v12, v13
	v_or3_b32 v11, v12, v15, v11
.LBB1_296:                              ;   in Loop: Header=BB1_280 Depth=1
	s_or_b32 exec_lo, exec_lo, s0
                                        ; implicit-def: $sgpr1
	s_delay_alu instid0(SALU_CYCLE_1)
	s_mov_b32 s0, exec_lo
	v_cmpx_gt_u32_e32 8, v14
	s_xor_b32 s6, exec_lo, s0
	s_cbranch_execz .LBB1_302
; %bb.297:                              ;   in Loop: Header=BB1_280 Depth=1
	v_mov_b32_e32 v12, 0
	v_mov_b32_e32 v13, 0
	s_mov_b32 s7, exec_lo
	v_cmpx_ne_u32_e32 0, v14
	s_cbranch_execz .LBB1_301
; %bb.298:                              ;   in Loop: Header=BB1_280 Depth=1
	v_mov_b32_e32 v12, 0
	v_mov_b32_e32 v13, 0
	s_mov_b64 s[0:1], 0
	s_mov_b32 s13, 0
	s_mov_b64 s[4:5], 0
	.p2align	6
.LBB1_299:                              ;   Parent Loop BB1_280 Depth=1
                                        ; =>  This Inner Loop Header: Depth=2
	s_delay_alu instid0(SALU_CYCLE_1)
	v_add_co_u32 v15, vcc_lo, v22, s4
	v_add_co_ci_u32_e32 v16, vcc_lo, s5, v23, vcc_lo
	s_add_u32 s4, s4, 1
	s_addc_u32 s5, s5, 0
	v_cmp_eq_u32_e32 vcc_lo, s4, v14
	flat_load_u8 v6, v[15:16]
	s_waitcnt vmcnt(0) lgkmcnt(0)
	v_dual_mov_b32 v16, s12 :: v_dual_and_b32 v15, 0xffff, v6
	s_delay_alu instid0(VALU_DEP_1) | instskip(SKIP_3) | instid1(VALU_DEP_1)
	v_lshlrev_b64 v[15:16], s0, v[15:16]
	s_add_u32 s0, s0, 8
	s_addc_u32 s1, s1, 0
	s_or_b32 s13, vcc_lo, s13
	v_or_b32_e32 v13, v16, v13
	s_delay_alu instid0(VALU_DEP_2)
	v_or_b32_e32 v12, v15, v12
	s_and_not1_b32 exec_lo, exec_lo, s13
	s_cbranch_execnz .LBB1_299
; %bb.300:                              ;   in Loop: Header=BB1_280 Depth=1
	s_or_b32 exec_lo, exec_lo, s13
.LBB1_301:                              ;   in Loop: Header=BB1_280 Depth=1
	s_delay_alu instid0(SALU_CYCLE_1)
	s_or_b32 exec_lo, exec_lo, s7
	s_mov_b32 s1, 0
                                        ; implicit-def: $vgpr14
.LBB1_302:                              ;   in Loop: Header=BB1_280 Depth=1
	s_or_saveexec_b32 s0, s6
	v_mov_b32_e32 v6, s1
	s_xor_b32 exec_lo, exec_lo, s0
	s_cbranch_execz .LBB1_304
; %bb.303:                              ;   in Loop: Header=BB1_280 Depth=1
	flat_load_b64 v[12:13], v[22:23]
	v_add_co_u32 v22, vcc_lo, v22, 8
	v_add_co_ci_u32_e32 v23, vcc_lo, 0, v23, vcc_lo
	s_waitcnt vmcnt(0) lgkmcnt(0)
	v_and_b32_e32 v6, 0xff, v13
	v_and_b32_e32 v15, 0xff00, v13
	;; [unrolled: 1-line block ×4, first 2 shown]
	v_or3_b32 v12, v12, 0, 0
	s_delay_alu instid0(VALU_DEP_4) | instskip(SKIP_1) | instid1(VALU_DEP_2)
	v_or_b32_e32 v15, v6, v15
	v_add_nc_u32_e32 v6, -8, v14
	v_or3_b32 v13, v15, v16, v13
.LBB1_304:                              ;   in Loop: Header=BB1_280 Depth=1
	s_or_b32 exec_lo, exec_lo, s0
                                        ; implicit-def: $vgpr14_vgpr15
                                        ; implicit-def: $sgpr1
	s_delay_alu instid0(SALU_CYCLE_1) | instskip(NEXT) | instid1(VALU_DEP_1)
	s_mov_b32 s0, exec_lo
	v_cmpx_gt_u32_e32 8, v6
	s_xor_b32 s6, exec_lo, s0
	s_cbranch_execz .LBB1_310
; %bb.305:                              ;   in Loop: Header=BB1_280 Depth=1
	v_mov_b32_e32 v14, 0
	v_mov_b32_e32 v15, 0
	s_mov_b32 s7, exec_lo
	v_cmpx_ne_u32_e32 0, v6
	s_cbranch_execz .LBB1_309
; %bb.306:                              ;   in Loop: Header=BB1_280 Depth=1
	v_mov_b32_e32 v14, 0
	v_mov_b32_e32 v15, 0
	s_mov_b64 s[0:1], 0
	s_mov_b32 s13, 0
	s_mov_b64 s[4:5], 0
	.p2align	6
.LBB1_307:                              ;   Parent Loop BB1_280 Depth=1
                                        ; =>  This Inner Loop Header: Depth=2
	s_delay_alu instid0(SALU_CYCLE_1)
	v_add_co_u32 v16, vcc_lo, v22, s4
	v_add_co_ci_u32_e32 v17, vcc_lo, s5, v23, vcc_lo
	s_add_u32 s4, s4, 1
	s_addc_u32 s5, s5, 0
	v_cmp_eq_u32_e32 vcc_lo, s4, v6
	flat_load_u8 v16, v[16:17]
	s_waitcnt vmcnt(0) lgkmcnt(0)
	v_dual_mov_b32 v17, s12 :: v_dual_and_b32 v16, 0xffff, v16
	s_delay_alu instid0(VALU_DEP_1) | instskip(SKIP_3) | instid1(VALU_DEP_1)
	v_lshlrev_b64 v[16:17], s0, v[16:17]
	s_add_u32 s0, s0, 8
	s_addc_u32 s1, s1, 0
	s_or_b32 s13, vcc_lo, s13
	v_or_b32_e32 v15, v17, v15
	s_delay_alu instid0(VALU_DEP_2)
	v_or_b32_e32 v14, v16, v14
	s_and_not1_b32 exec_lo, exec_lo, s13
	s_cbranch_execnz .LBB1_307
; %bb.308:                              ;   in Loop: Header=BB1_280 Depth=1
	s_or_b32 exec_lo, exec_lo, s13
.LBB1_309:                              ;   in Loop: Header=BB1_280 Depth=1
	s_delay_alu instid0(SALU_CYCLE_1)
	s_or_b32 exec_lo, exec_lo, s7
	s_mov_b32 s1, 0
                                        ; implicit-def: $vgpr6
.LBB1_310:                              ;   in Loop: Header=BB1_280 Depth=1
	s_or_saveexec_b32 s0, s6
	v_mov_b32_e32 v18, s1
	s_xor_b32 exec_lo, exec_lo, s0
	s_cbranch_execz .LBB1_312
; %bb.311:                              ;   in Loop: Header=BB1_280 Depth=1
	flat_load_b64 v[14:15], v[22:23]
	v_add_co_u32 v22, vcc_lo, v22, 8
	v_add_nc_u32_e32 v18, -8, v6
	v_add_co_ci_u32_e32 v23, vcc_lo, 0, v23, vcc_lo
	s_waitcnt vmcnt(0) lgkmcnt(0)
	v_and_b32_e32 v16, 0xff, v15
	v_and_b32_e32 v17, 0xff00, v15
	;; [unrolled: 1-line block ×4, first 2 shown]
	v_or3_b32 v14, v14, 0, 0
	s_delay_alu instid0(VALU_DEP_4) | instskip(NEXT) | instid1(VALU_DEP_1)
	v_or_b32_e32 v16, v16, v17
	v_or3_b32 v15, v16, v19, v15
.LBB1_312:                              ;   in Loop: Header=BB1_280 Depth=1
	s_or_b32 exec_lo, exec_lo, s0
                                        ; implicit-def: $sgpr1
	s_delay_alu instid0(SALU_CYCLE_1)
	s_mov_b32 s0, exec_lo
	v_cmpx_gt_u32_e32 8, v18
	s_xor_b32 s6, exec_lo, s0
	s_cbranch_execz .LBB1_318
; %bb.313:                              ;   in Loop: Header=BB1_280 Depth=1
	v_mov_b32_e32 v16, 0
	v_mov_b32_e32 v17, 0
	s_mov_b32 s7, exec_lo
	v_cmpx_ne_u32_e32 0, v18
	s_cbranch_execz .LBB1_317
; %bb.314:                              ;   in Loop: Header=BB1_280 Depth=1
	v_mov_b32_e32 v16, 0
	v_mov_b32_e32 v17, 0
	s_mov_b64 s[0:1], 0
	s_mov_b32 s13, 0
	s_mov_b64 s[4:5], 0
	.p2align	6
.LBB1_315:                              ;   Parent Loop BB1_280 Depth=1
                                        ; =>  This Inner Loop Header: Depth=2
	s_delay_alu instid0(SALU_CYCLE_1)
	v_add_co_u32 v19, vcc_lo, v22, s4
	v_add_co_ci_u32_e32 v20, vcc_lo, s5, v23, vcc_lo
	s_add_u32 s4, s4, 1
	s_addc_u32 s5, s5, 0
	v_cmp_eq_u32_e32 vcc_lo, s4, v18
	flat_load_u8 v6, v[19:20]
	s_waitcnt vmcnt(0) lgkmcnt(0)
	v_dual_mov_b32 v20, s12 :: v_dual_and_b32 v19, 0xffff, v6
	s_delay_alu instid0(VALU_DEP_1) | instskip(SKIP_3) | instid1(VALU_DEP_1)
	v_lshlrev_b64 v[19:20], s0, v[19:20]
	s_add_u32 s0, s0, 8
	s_addc_u32 s1, s1, 0
	s_or_b32 s13, vcc_lo, s13
	v_or_b32_e32 v17, v20, v17
	s_delay_alu instid0(VALU_DEP_2)
	v_or_b32_e32 v16, v19, v16
	s_and_not1_b32 exec_lo, exec_lo, s13
	s_cbranch_execnz .LBB1_315
; %bb.316:                              ;   in Loop: Header=BB1_280 Depth=1
	s_or_b32 exec_lo, exec_lo, s13
.LBB1_317:                              ;   in Loop: Header=BB1_280 Depth=1
	s_delay_alu instid0(SALU_CYCLE_1)
	s_or_b32 exec_lo, exec_lo, s7
	s_mov_b32 s1, 0
                                        ; implicit-def: $vgpr18
.LBB1_318:                              ;   in Loop: Header=BB1_280 Depth=1
	s_or_saveexec_b32 s0, s6
	v_mov_b32_e32 v6, s1
	s_xor_b32 exec_lo, exec_lo, s0
	s_cbranch_execz .LBB1_320
; %bb.319:                              ;   in Loop: Header=BB1_280 Depth=1
	flat_load_b64 v[16:17], v[22:23]
	v_add_co_u32 v22, vcc_lo, v22, 8
	v_add_co_ci_u32_e32 v23, vcc_lo, 0, v23, vcc_lo
	s_waitcnt vmcnt(0) lgkmcnt(0)
	v_and_b32_e32 v6, 0xff, v17
	v_and_b32_e32 v19, 0xff00, v17
	v_and_b32_e32 v20, 0xff0000, v17
	v_and_b32_e32 v17, 0xff000000, v17
	v_or3_b32 v16, v16, 0, 0
	s_delay_alu instid0(VALU_DEP_4) | instskip(SKIP_1) | instid1(VALU_DEP_2)
	v_or_b32_e32 v19, v6, v19
	v_add_nc_u32_e32 v6, -8, v18
	v_or3_b32 v17, v19, v20, v17
.LBB1_320:                              ;   in Loop: Header=BB1_280 Depth=1
	s_or_b32 exec_lo, exec_lo, s0
                                        ; implicit-def: $vgpr18_vgpr19
                                        ; implicit-def: $sgpr1
	s_delay_alu instid0(SALU_CYCLE_1) | instskip(NEXT) | instid1(VALU_DEP_1)
	s_mov_b32 s0, exec_lo
	v_cmpx_gt_u32_e32 8, v6
	s_xor_b32 s6, exec_lo, s0
	s_cbranch_execz .LBB1_326
; %bb.321:                              ;   in Loop: Header=BB1_280 Depth=1
	v_mov_b32_e32 v18, 0
	v_mov_b32_e32 v19, 0
	s_mov_b32 s7, exec_lo
	v_cmpx_ne_u32_e32 0, v6
	s_cbranch_execz .LBB1_325
; %bb.322:                              ;   in Loop: Header=BB1_280 Depth=1
	v_mov_b32_e32 v18, 0
	v_mov_b32_e32 v19, 0
	s_mov_b64 s[0:1], 0
	s_mov_b32 s13, 0
	s_mov_b64 s[4:5], 0
	.p2align	6
.LBB1_323:                              ;   Parent Loop BB1_280 Depth=1
                                        ; =>  This Inner Loop Header: Depth=2
	s_delay_alu instid0(SALU_CYCLE_1)
	v_add_co_u32 v20, vcc_lo, v22, s4
	v_add_co_ci_u32_e32 v21, vcc_lo, s5, v23, vcc_lo
	s_add_u32 s4, s4, 1
	s_addc_u32 s5, s5, 0
	v_cmp_eq_u32_e32 vcc_lo, s4, v6
	flat_load_u8 v20, v[20:21]
	s_waitcnt vmcnt(0) lgkmcnt(0)
	v_dual_mov_b32 v21, s12 :: v_dual_and_b32 v20, 0xffff, v20
	s_delay_alu instid0(VALU_DEP_1) | instskip(SKIP_3) | instid1(VALU_DEP_1)
	v_lshlrev_b64 v[20:21], s0, v[20:21]
	s_add_u32 s0, s0, 8
	s_addc_u32 s1, s1, 0
	s_or_b32 s13, vcc_lo, s13
	v_or_b32_e32 v19, v21, v19
	s_delay_alu instid0(VALU_DEP_2)
	v_or_b32_e32 v18, v20, v18
	s_and_not1_b32 exec_lo, exec_lo, s13
	s_cbranch_execnz .LBB1_323
; %bb.324:                              ;   in Loop: Header=BB1_280 Depth=1
	s_or_b32 exec_lo, exec_lo, s13
.LBB1_325:                              ;   in Loop: Header=BB1_280 Depth=1
	s_delay_alu instid0(SALU_CYCLE_1)
	s_or_b32 exec_lo, exec_lo, s7
	s_mov_b32 s1, 0
                                        ; implicit-def: $vgpr6
.LBB1_326:                              ;   in Loop: Header=BB1_280 Depth=1
	s_or_saveexec_b32 s0, s6
	v_mov_b32_e32 v24, s1
	s_xor_b32 exec_lo, exec_lo, s0
	s_cbranch_execz .LBB1_328
; %bb.327:                              ;   in Loop: Header=BB1_280 Depth=1
	flat_load_b64 v[18:19], v[22:23]
	v_add_co_u32 v22, vcc_lo, v22, 8
	v_add_nc_u32_e32 v24, -8, v6
	v_add_co_ci_u32_e32 v23, vcc_lo, 0, v23, vcc_lo
	s_waitcnt vmcnt(0) lgkmcnt(0)
	v_and_b32_e32 v20, 0xff, v19
	v_and_b32_e32 v21, 0xff00, v19
	;; [unrolled: 1-line block ×4, first 2 shown]
	v_or3_b32 v18, v18, 0, 0
	s_delay_alu instid0(VALU_DEP_4) | instskip(NEXT) | instid1(VALU_DEP_1)
	v_or_b32_e32 v20, v20, v21
	v_or3_b32 v19, v20, v25, v19
.LBB1_328:                              ;   in Loop: Header=BB1_280 Depth=1
	s_or_b32 exec_lo, exec_lo, s0
	s_delay_alu instid0(SALU_CYCLE_1)
	s_mov_b32 s0, exec_lo
	v_cmpx_gt_u32_e32 8, v24
	s_xor_b32 s4, exec_lo, s0
	s_cbranch_execz .LBB1_334
; %bb.329:                              ;   in Loop: Header=BB1_280 Depth=1
	v_mov_b32_e32 v20, 0
	v_mov_b32_e32 v21, 0
	s_mov_b32 s5, exec_lo
	v_cmpx_ne_u32_e32 0, v24
	s_cbranch_execz .LBB1_333
; %bb.330:                              ;   in Loop: Header=BB1_280 Depth=1
	v_mov_b32_e32 v20, 0
	v_mov_b32_e32 v21, 0
	s_mov_b64 s[0:1], 0
	s_mov_b32 s6, 0
	.p2align	6
.LBB1_331:                              ;   Parent Loop BB1_280 Depth=1
                                        ; =>  This Inner Loop Header: Depth=2
	flat_load_u8 v6, v[22:23]
	v_dual_mov_b32 v31, s12 :: v_dual_add_nc_u32 v24, -1, v24
	v_add_co_u32 v22, vcc_lo, v22, 1
	v_add_co_ci_u32_e32 v23, vcc_lo, 0, v23, vcc_lo
	s_delay_alu instid0(VALU_DEP_3) | instskip(SKIP_2) | instid1(VALU_DEP_1)
	v_cmp_eq_u32_e32 vcc_lo, 0, v24
	s_waitcnt vmcnt(0) lgkmcnt(0)
	v_and_b32_e32 v30, 0xffff, v6
	v_lshlrev_b64 v[30:31], s0, v[30:31]
	s_add_u32 s0, s0, 8
	s_addc_u32 s1, s1, 0
	s_or_b32 s6, vcc_lo, s6
	s_delay_alu instid0(VALU_DEP_1) | instskip(NEXT) | instid1(VALU_DEP_2)
	v_or_b32_e32 v21, v31, v21
	v_or_b32_e32 v20, v30, v20
	s_and_not1_b32 exec_lo, exec_lo, s6
	s_cbranch_execnz .LBB1_331
; %bb.332:                              ;   in Loop: Header=BB1_280 Depth=1
	s_or_b32 exec_lo, exec_lo, s6
.LBB1_333:                              ;   in Loop: Header=BB1_280 Depth=1
	s_delay_alu instid0(SALU_CYCLE_1)
	s_or_b32 exec_lo, exec_lo, s5
                                        ; implicit-def: $vgpr22_vgpr23
.LBB1_334:                              ;   in Loop: Header=BB1_280 Depth=1
	s_and_not1_saveexec_b32 s0, s4
	s_cbranch_execz .LBB1_336
; %bb.335:                              ;   in Loop: Header=BB1_280 Depth=1
	flat_load_b64 v[20:21], v[22:23]
	s_waitcnt vmcnt(0) lgkmcnt(0)
	v_and_b32_e32 v6, 0xff, v21
	v_and_b32_e32 v22, 0xff00, v21
	;; [unrolled: 1-line block ×4, first 2 shown]
	v_or3_b32 v20, v20, 0, 0
	s_delay_alu instid0(VALU_DEP_4) | instskip(NEXT) | instid1(VALU_DEP_1)
	v_or_b32_e32 v6, v6, v22
	v_or3_b32 v21, v6, v23, v21
.LBB1_336:                              ;   in Loop: Header=BB1_280 Depth=1
	s_or_b32 exec_lo, exec_lo, s0
	v_readfirstlane_b32 s0, v35
	v_mov_b32_e32 v30, 0
	v_mov_b32_e32 v31, 0
	s_delay_alu instid0(VALU_DEP_3) | instskip(NEXT) | instid1(VALU_DEP_1)
	v_cmp_eq_u32_e64 s0, s0, v35
	s_and_saveexec_b32 s1, s0
	s_cbranch_execz .LBB1_342
; %bb.337:                              ;   in Loop: Header=BB1_280 Depth=1
	global_load_b64 v[24:25], v7, s[2:3] offset:24 glc
	s_waitcnt vmcnt(0)
	buffer_gl1_inv
	buffer_gl0_inv
	s_clause 0x1
	global_load_b64 v[22:23], v7, s[2:3] offset:40
	global_load_b64 v[30:31], v7, s[2:3]
	s_mov_b32 s4, exec_lo
	s_waitcnt vmcnt(1)
	v_and_b32_e32 v6, v23, v25
	v_and_b32_e32 v22, v22, v24
	s_delay_alu instid0(VALU_DEP_2) | instskip(NEXT) | instid1(VALU_DEP_2)
	v_mul_lo_u32 v6, v6, 24
	v_mul_hi_u32 v23, v22, 24
	v_mul_lo_u32 v22, v22, 24
	s_delay_alu instid0(VALU_DEP_2) | instskip(SKIP_1) | instid1(VALU_DEP_2)
	v_add_nc_u32_e32 v6, v23, v6
	s_waitcnt vmcnt(0)
	v_add_co_u32 v22, vcc_lo, v30, v22
	s_delay_alu instid0(VALU_DEP_2)
	v_add_co_ci_u32_e32 v23, vcc_lo, v31, v6, vcc_lo
	global_load_b64 v[22:23], v[22:23], off glc
	s_waitcnt vmcnt(0)
	global_atomic_cmpswap_b64 v[30:31], v7, v[22:25], s[2:3] offset:24 glc
	s_waitcnt vmcnt(0)
	buffer_gl1_inv
	buffer_gl0_inv
	v_cmpx_ne_u64_e64 v[30:31], v[24:25]
	s_cbranch_execz .LBB1_341
; %bb.338:                              ;   in Loop: Header=BB1_280 Depth=1
	s_mov_b32 s5, 0
	.p2align	6
.LBB1_339:                              ;   Parent Loop BB1_280 Depth=1
                                        ; =>  This Inner Loop Header: Depth=2
	s_sleep 1
	s_clause 0x1
	global_load_b64 v[22:23], v7, s[2:3] offset:40
	global_load_b64 v[36:37], v7, s[2:3]
	v_dual_mov_b32 v24, v30 :: v_dual_mov_b32 v25, v31
	s_waitcnt vmcnt(1)
	s_delay_alu instid0(VALU_DEP_1) | instskip(NEXT) | instid1(VALU_DEP_2)
	v_and_b32_e32 v6, v22, v24
	v_and_b32_e32 v33, v23, v25
	s_waitcnt vmcnt(0)
	s_delay_alu instid0(VALU_DEP_2) | instskip(NEXT) | instid1(VALU_DEP_1)
	v_mad_u64_u32 v[30:31], null, v6, 24, v[36:37]
	v_mov_b32_e32 v6, v31
	s_delay_alu instid0(VALU_DEP_1) | instskip(NEXT) | instid1(VALU_DEP_1)
	v_mad_u64_u32 v[22:23], null, v33, 24, v[6:7]
	v_mov_b32_e32 v31, v22
	global_load_b64 v[22:23], v[30:31], off glc
	s_waitcnt vmcnt(0)
	global_atomic_cmpswap_b64 v[30:31], v7, v[22:25], s[2:3] offset:24 glc
	s_waitcnt vmcnt(0)
	buffer_gl1_inv
	buffer_gl0_inv
	v_cmp_eq_u64_e32 vcc_lo, v[30:31], v[24:25]
	s_or_b32 s5, vcc_lo, s5
	s_delay_alu instid0(SALU_CYCLE_1)
	s_and_not1_b32 exec_lo, exec_lo, s5
	s_cbranch_execnz .LBB1_339
; %bb.340:                              ;   in Loop: Header=BB1_280 Depth=1
	s_or_b32 exec_lo, exec_lo, s5
.LBB1_341:                              ;   in Loop: Header=BB1_280 Depth=1
	s_delay_alu instid0(SALU_CYCLE_1)
	s_or_b32 exec_lo, exec_lo, s4
.LBB1_342:                              ;   in Loop: Header=BB1_280 Depth=1
	s_delay_alu instid0(SALU_CYCLE_1)
	s_or_b32 exec_lo, exec_lo, s1
	s_clause 0x1
	global_load_b64 v[36:37], v7, s[2:3] offset:40
	global_load_b128 v[22:25], v7, s[2:3]
	v_readfirstlane_b32 s4, v30
	v_readfirstlane_b32 s5, v31
	s_mov_b32 s1, exec_lo
	s_waitcnt vmcnt(1)
	v_readfirstlane_b32 s6, v36
	v_readfirstlane_b32 s7, v37
	s_delay_alu instid0(VALU_DEP_1) | instskip(NEXT) | instid1(SALU_CYCLE_1)
	s_and_b64 s[6:7], s[4:5], s[6:7]
	s_mul_i32 s13, s7, 24
	s_mul_hi_u32 s14, s6, 24
	s_mul_i32 s15, s6, 24
	s_add_i32 s14, s14, s13
	s_waitcnt vmcnt(0)
	v_add_co_u32 v30, vcc_lo, v22, s15
	v_add_co_ci_u32_e32 v31, vcc_lo, s14, v23, vcc_lo
	s_and_saveexec_b32 s13, s0
	s_cbranch_execz .LBB1_344
; %bb.343:                              ;   in Loop: Header=BB1_280 Depth=1
	v_mov_b32_e32 v6, s1
	global_store_b128 v[30:31], v[6:9], off offset:8
.LBB1_344:                              ;   in Loop: Header=BB1_280 Depth=1
	s_or_b32 exec_lo, exec_lo, s13
	v_cmp_lt_u64_e32 vcc_lo, 56, v[26:27]
	v_or_b32_e32 v6, 0, v1
	v_or_b32_e32 v33, v0, v32
	v_lshl_add_u32 v36, v28, 2, 28
	s_lshl_b64 s[6:7], s[6:7], 12
	s_delay_alu instid0(SALU_CYCLE_1) | instskip(NEXT) | instid1(VALU_DEP_1)
	v_add_co_u32 v24, s1, v24, s6
	v_add_co_ci_u32_e64 v25, s1, s7, v25, s1
	v_dual_cndmask_b32 v1, v6, v1 :: v_dual_cndmask_b32 v0, v33, v0
	v_and_b32_e32 v6, 0x1e0, v36
	s_delay_alu instid0(VALU_DEP_4) | instskip(NEXT) | instid1(VALU_DEP_4)
	v_readfirstlane_b32 s6, v24
	v_readfirstlane_b32 s7, v25
	s_delay_alu instid0(VALU_DEP_3)
	v_and_or_b32 v0, 0xffffff1f, v0, v6
	s_clause 0x3
	global_store_b128 v34, v[0:3], s[6:7]
	global_store_b128 v34, v[10:13], s[6:7] offset:16
	global_store_b128 v34, v[14:17], s[6:7] offset:32
	;; [unrolled: 1-line block ×3, first 2 shown]
	s_and_saveexec_b32 s1, s0
	s_cbranch_execz .LBB1_352
; %bb.345:                              ;   in Loop: Header=BB1_280 Depth=1
	s_clause 0x1
	global_load_b64 v[14:15], v7, s[2:3] offset:32 glc
	global_load_b64 v[0:1], v7, s[2:3] offset:40
	v_dual_mov_b32 v12, s4 :: v_dual_mov_b32 v13, s5
	s_waitcnt vmcnt(0)
	v_readfirstlane_b32 s6, v0
	v_readfirstlane_b32 s7, v1
	s_delay_alu instid0(VALU_DEP_1) | instskip(NEXT) | instid1(SALU_CYCLE_1)
	s_and_b64 s[6:7], s[6:7], s[4:5]
	s_mul_i32 s7, s7, 24
	s_mul_hi_u32 s13, s6, 24
	s_mul_i32 s6, s6, 24
	s_add_i32 s13, s13, s7
	v_add_co_u32 v10, vcc_lo, v22, s6
	v_add_co_ci_u32_e32 v11, vcc_lo, s13, v23, vcc_lo
	s_mov_b32 s6, exec_lo
	global_store_b64 v[10:11], v[14:15], off
	s_waitcnt_vscnt null, 0x0
	global_atomic_cmpswap_b64 v[2:3], v7, v[12:15], s[2:3] offset:32 glc
	s_waitcnt vmcnt(0)
	v_cmpx_ne_u64_e64 v[2:3], v[14:15]
	s_cbranch_execz .LBB1_348
; %bb.346:                              ;   in Loop: Header=BB1_280 Depth=1
	s_mov_b32 s7, 0
.LBB1_347:                              ;   Parent Loop BB1_280 Depth=1
                                        ; =>  This Inner Loop Header: Depth=2
	v_dual_mov_b32 v0, s4 :: v_dual_mov_b32 v1, s5
	s_sleep 1
	global_store_b64 v[10:11], v[2:3], off
	s_waitcnt_vscnt null, 0x0
	global_atomic_cmpswap_b64 v[0:1], v7, v[0:3], s[2:3] offset:32 glc
	s_waitcnt vmcnt(0)
	v_cmp_eq_u64_e32 vcc_lo, v[0:1], v[2:3]
	v_dual_mov_b32 v3, v1 :: v_dual_mov_b32 v2, v0
	s_or_b32 s7, vcc_lo, s7
	s_delay_alu instid0(SALU_CYCLE_1)
	s_and_not1_b32 exec_lo, exec_lo, s7
	s_cbranch_execnz .LBB1_347
.LBB1_348:                              ;   in Loop: Header=BB1_280 Depth=1
	s_or_b32 exec_lo, exec_lo, s6
	global_load_b64 v[0:1], v7, s[2:3] offset:16
	s_mov_b32 s7, exec_lo
	s_mov_b32 s6, exec_lo
	v_mbcnt_lo_u32_b32 v2, s7, 0
	s_delay_alu instid0(VALU_DEP_1)
	v_cmpx_eq_u32_e32 0, v2
	s_cbranch_execz .LBB1_350
; %bb.349:                              ;   in Loop: Header=BB1_280 Depth=1
	s_bcnt1_i32_b32 s7, s7
	s_delay_alu instid0(SALU_CYCLE_1)
	v_mov_b32_e32 v6, s7
	s_waitcnt vmcnt(0)
	global_atomic_add_u64 v[0:1], v[6:7], off offset:8
.LBB1_350:                              ;   in Loop: Header=BB1_280 Depth=1
	s_or_b32 exec_lo, exec_lo, s6
	s_waitcnt vmcnt(0)
	global_load_b64 v[2:3], v[0:1], off offset:16
	s_waitcnt vmcnt(0)
	v_cmp_eq_u64_e32 vcc_lo, 0, v[2:3]
	s_cbranch_vccnz .LBB1_352
; %bb.351:                              ;   in Loop: Header=BB1_280 Depth=1
	global_load_b32 v6, v[0:1], off offset:24
	s_waitcnt vmcnt(0)
	v_and_b32_e32 v0, 0xffffff, v6
	s_waitcnt_vscnt null, 0x0
	global_store_b64 v[2:3], v[6:7], off
	v_readfirstlane_b32 m0, v0
	s_sendmsg sendmsg(MSG_INTERRUPT)
.LBB1_352:                              ;   in Loop: Header=BB1_280 Depth=1
	s_or_b32 exec_lo, exec_lo, s1
	v_add_co_u32 v0, vcc_lo, v24, v34
	v_add_co_ci_u32_e32 v1, vcc_lo, 0, v25, vcc_lo
	s_branch .LBB1_356
	.p2align	6
.LBB1_353:                              ;   in Loop: Header=BB1_356 Depth=2
	s_or_b32 exec_lo, exec_lo, s1
	s_delay_alu instid0(VALU_DEP_1) | instskip(NEXT) | instid1(VALU_DEP_1)
	v_readfirstlane_b32 s1, v2
	s_cmp_eq_u32 s1, 0
	s_cbranch_scc1 .LBB1_355
; %bb.354:                              ;   in Loop: Header=BB1_356 Depth=2
	s_sleep 1
	s_cbranch_execnz .LBB1_356
	s_branch .LBB1_358
	.p2align	6
.LBB1_355:                              ;   in Loop: Header=BB1_280 Depth=1
	s_branch .LBB1_358
.LBB1_356:                              ;   Parent Loop BB1_280 Depth=1
                                        ; =>  This Inner Loop Header: Depth=2
	v_mov_b32_e32 v2, 1
	s_and_saveexec_b32 s1, s0
	s_cbranch_execz .LBB1_353
; %bb.357:                              ;   in Loop: Header=BB1_356 Depth=2
	global_load_b32 v2, v[30:31], off offset:20 glc
	s_waitcnt vmcnt(0)
	buffer_gl1_inv
	buffer_gl0_inv
	v_and_b32_e32 v2, 1, v2
	s_branch .LBB1_353
.LBB1_358:                              ;   in Loop: Header=BB1_280 Depth=1
	global_load_b128 v[0:3], v[0:1], off
	s_and_saveexec_b32 s1, s0
	s_cbranch_execz .LBB1_279
; %bb.359:                              ;   in Loop: Header=BB1_280 Depth=1
	s_clause 0x2
	global_load_b64 v[2:3], v7, s[2:3] offset:40
	global_load_b64 v[14:15], v7, s[2:3] offset:24 glc
	global_load_b64 v[12:13], v7, s[2:3]
	s_waitcnt vmcnt(2)
	v_add_co_u32 v6, vcc_lo, v2, 1
	v_add_co_ci_u32_e32 v16, vcc_lo, 0, v3, vcc_lo
	s_delay_alu instid0(VALU_DEP_2) | instskip(NEXT) | instid1(VALU_DEP_2)
	v_add_co_u32 v10, vcc_lo, v6, s4
	v_add_co_ci_u32_e32 v11, vcc_lo, s5, v16, vcc_lo
	s_delay_alu instid0(VALU_DEP_1) | instskip(SKIP_1) | instid1(VALU_DEP_1)
	v_cmp_eq_u64_e32 vcc_lo, 0, v[10:11]
	v_dual_cndmask_b32 v11, v11, v16 :: v_dual_cndmask_b32 v10, v10, v6
	v_and_b32_e32 v3, v11, v3
	s_delay_alu instid0(VALU_DEP_2) | instskip(NEXT) | instid1(VALU_DEP_1)
	v_and_b32_e32 v2, v10, v2
	v_mul_hi_u32 v6, v2, 24
	v_mul_lo_u32 v2, v2, 24
	s_waitcnt vmcnt(0)
	s_delay_alu instid0(VALU_DEP_1) | instskip(SKIP_2) | instid1(VALU_DEP_1)
	v_add_co_u32 v2, vcc_lo, v12, v2
	v_mov_b32_e32 v12, v14
	v_mul_lo_u32 v3, v3, 24
	v_add_nc_u32_e32 v3, v6, v3
	s_delay_alu instid0(VALU_DEP_1)
	v_add_co_ci_u32_e32 v3, vcc_lo, v13, v3, vcc_lo
	v_mov_b32_e32 v13, v15
	global_store_b64 v[2:3], v[14:15], off
	s_waitcnt_vscnt null, 0x0
	global_atomic_cmpswap_b64 v[12:13], v7, v[10:13], s[2:3] offset:24 glc
	s_waitcnt vmcnt(0)
	v_cmp_ne_u64_e32 vcc_lo, v[12:13], v[14:15]
	s_and_b32 exec_lo, exec_lo, vcc_lo
	s_cbranch_execz .LBB1_279
; %bb.360:                              ;   in Loop: Header=BB1_280 Depth=1
	s_mov_b32 s0, 0
.LBB1_361:                              ;   Parent Loop BB1_280 Depth=1
                                        ; =>  This Inner Loop Header: Depth=2
	s_sleep 1
	global_store_b64 v[2:3], v[12:13], off
	s_waitcnt_vscnt null, 0x0
	global_atomic_cmpswap_b64 v[14:15], v7, v[10:13], s[2:3] offset:24 glc
	s_waitcnt vmcnt(0)
	v_cmp_eq_u64_e32 vcc_lo, v[14:15], v[12:13]
	v_dual_mov_b32 v12, v14 :: v_dual_mov_b32 v13, v15
	s_or_b32 s0, vcc_lo, s0
	s_delay_alu instid0(SALU_CYCLE_1)
	s_and_not1_b32 exec_lo, exec_lo, s0
	s_cbranch_execnz .LBB1_361
	s_branch .LBB1_279
.LBB1_362:
	s_or_b32 exec_lo, exec_lo, s11
                                        ; implicit-def: $vgpr34
                                        ; implicit-def: $vgpr35
.LBB1_363:
	s_and_not1_saveexec_b32 s1, s10
	s_cbranch_execz .LBB1_391
; %bb.364:
	v_readfirstlane_b32 s0, v35
	v_mov_b32_e32 v8, 0
	v_mov_b32_e32 v9, 0
	s_delay_alu instid0(VALU_DEP_3) | instskip(NEXT) | instid1(VALU_DEP_1)
	v_cmp_eq_u32_e64 s0, s0, v35
	s_and_saveexec_b32 s4, s0
	s_cbranch_execz .LBB1_370
; %bb.365:
	s_waitcnt vmcnt(0)
	v_mov_b32_e32 v2, 0
	s_mov_b32 s5, exec_lo
	global_load_b64 v[5:6], v2, s[2:3] offset:24 glc
	s_waitcnt vmcnt(0)
	buffer_gl1_inv
	buffer_gl0_inv
	s_clause 0x1
	global_load_b64 v[3:4], v2, s[2:3] offset:40
	global_load_b64 v[7:8], v2, s[2:3]
	s_waitcnt vmcnt(1)
	v_and_b32_e32 v3, v3, v5
	v_and_b32_e32 v4, v4, v6
	s_delay_alu instid0(VALU_DEP_2) | instskip(NEXT) | instid1(VALU_DEP_2)
	v_mul_hi_u32 v9, v3, 24
	v_mul_lo_u32 v4, v4, 24
	v_mul_lo_u32 v3, v3, 24
	s_delay_alu instid0(VALU_DEP_2) | instskip(SKIP_1) | instid1(VALU_DEP_2)
	v_add_nc_u32_e32 v4, v9, v4
	s_waitcnt vmcnt(0)
	v_add_co_u32 v3, vcc_lo, v7, v3
	s_delay_alu instid0(VALU_DEP_2)
	v_add_co_ci_u32_e32 v4, vcc_lo, v8, v4, vcc_lo
	global_load_b64 v[3:4], v[3:4], off glc
	s_waitcnt vmcnt(0)
	global_atomic_cmpswap_b64 v[8:9], v2, v[3:6], s[2:3] offset:24 glc
	s_waitcnt vmcnt(0)
	buffer_gl1_inv
	buffer_gl0_inv
	v_cmpx_ne_u64_e64 v[8:9], v[5:6]
	s_cbranch_execz .LBB1_369
; %bb.366:
	s_mov_b32 s6, 0
	.p2align	6
.LBB1_367:                              ; =>This Inner Loop Header: Depth=1
	s_sleep 1
	s_clause 0x1
	global_load_b64 v[3:4], v2, s[2:3] offset:40
	global_load_b64 v[10:11], v2, s[2:3]
	v_dual_mov_b32 v5, v8 :: v_dual_mov_b32 v6, v9
	s_waitcnt vmcnt(1)
	s_delay_alu instid0(VALU_DEP_1) | instskip(NEXT) | instid1(VALU_DEP_2)
	v_and_b32_e32 v3, v3, v5
	v_and_b32_e32 v4, v4, v6
	s_waitcnt vmcnt(0)
	s_delay_alu instid0(VALU_DEP_2) | instskip(NEXT) | instid1(VALU_DEP_1)
	v_mad_u64_u32 v[7:8], null, v3, 24, v[10:11]
	v_mov_b32_e32 v3, v8
	s_delay_alu instid0(VALU_DEP_1)
	v_mad_u64_u32 v[8:9], null, v4, 24, v[3:4]
	global_load_b64 v[3:4], v[7:8], off glc
	s_waitcnt vmcnt(0)
	global_atomic_cmpswap_b64 v[8:9], v2, v[3:6], s[2:3] offset:24 glc
	s_waitcnt vmcnt(0)
	buffer_gl1_inv
	buffer_gl0_inv
	v_cmp_eq_u64_e32 vcc_lo, v[8:9], v[5:6]
	s_or_b32 s6, vcc_lo, s6
	s_delay_alu instid0(SALU_CYCLE_1)
	s_and_not1_b32 exec_lo, exec_lo, s6
	s_cbranch_execnz .LBB1_367
; %bb.368:
	s_or_b32 exec_lo, exec_lo, s6
.LBB1_369:
	s_delay_alu instid0(SALU_CYCLE_1)
	s_or_b32 exec_lo, exec_lo, s5
.LBB1_370:
	s_delay_alu instid0(SALU_CYCLE_1)
	s_or_b32 exec_lo, exec_lo, s4
	s_waitcnt vmcnt(0)
	v_mov_b32_e32 v2, 0
	v_readfirstlane_b32 s4, v8
	v_readfirstlane_b32 s5, v9
	s_mov_b32 s10, exec_lo
	s_clause 0x1
	global_load_b64 v[10:11], v2, s[2:3] offset:40
	global_load_b128 v[4:7], v2, s[2:3]
	s_waitcnt vmcnt(1)
	v_readfirstlane_b32 s6, v10
	v_readfirstlane_b32 s7, v11
	s_delay_alu instid0(VALU_DEP_1) | instskip(NEXT) | instid1(SALU_CYCLE_1)
	s_and_b64 s[6:7], s[4:5], s[6:7]
	s_mul_i32 s11, s7, 24
	s_mul_hi_u32 s12, s6, 24
	s_mul_i32 s13, s6, 24
	s_add_i32 s12, s12, s11
	s_waitcnt vmcnt(0)
	v_add_co_u32 v8, vcc_lo, v4, s13
	v_add_co_ci_u32_e32 v9, vcc_lo, s12, v5, vcc_lo
	s_and_saveexec_b32 s11, s0
	s_cbranch_execz .LBB1_372
; %bb.371:
	v_dual_mov_b32 v10, s10 :: v_dual_mov_b32 v11, v2
	v_dual_mov_b32 v12, 2 :: v_dual_mov_b32 v13, 1
	global_store_b128 v[8:9], v[10:13], off offset:8
.LBB1_372:
	s_or_b32 exec_lo, exec_lo, s11
	s_lshl_b64 s[6:7], s[6:7], 12
	s_mov_b32 s12, 0
	v_add_co_u32 v6, vcc_lo, v6, s6
	v_add_co_ci_u32_e32 v7, vcc_lo, s7, v7, vcc_lo
	s_mov_b32 s13, s12
	s_delay_alu instid0(VALU_DEP_2)
	v_readfirstlane_b32 s6, v6
	v_add_co_u32 v6, vcc_lo, v6, v34
	s_mov_b32 s14, s12
	s_mov_b32 s15, s12
	v_and_or_b32 v0, 0xffffff1f, v0, 32
	v_dual_mov_b32 v3, v2 :: v_dual_mov_b32 v10, s12
	v_readfirstlane_b32 s7, v7
	v_add_co_ci_u32_e32 v7, vcc_lo, 0, v7, vcc_lo
	v_dual_mov_b32 v11, s13 :: v_dual_mov_b32 v12, s14
	v_mov_b32_e32 v13, s15
	s_clause 0x3
	global_store_b128 v34, v[0:3], s[6:7]
	global_store_b128 v34, v[10:13], s[6:7] offset:16
	global_store_b128 v34, v[10:13], s[6:7] offset:32
	;; [unrolled: 1-line block ×3, first 2 shown]
	s_and_saveexec_b32 s6, s0
	s_cbranch_execz .LBB1_380
; %bb.373:
	v_dual_mov_b32 v10, 0 :: v_dual_mov_b32 v11, s4
	v_mov_b32_e32 v12, s5
	s_clause 0x1
	global_load_b64 v[13:14], v10, s[2:3] offset:32 glc
	global_load_b64 v[0:1], v10, s[2:3] offset:40
	s_waitcnt vmcnt(0)
	v_readfirstlane_b32 s10, v0
	v_readfirstlane_b32 s11, v1
	s_delay_alu instid0(VALU_DEP_1) | instskip(NEXT) | instid1(SALU_CYCLE_1)
	s_and_b64 s[10:11], s[10:11], s[4:5]
	s_mul_i32 s7, s11, 24
	s_mul_hi_u32 s11, s10, 24
	s_mul_i32 s10, s10, 24
	s_add_i32 s11, s11, s7
	v_add_co_u32 v4, vcc_lo, v4, s10
	v_add_co_ci_u32_e32 v5, vcc_lo, s11, v5, vcc_lo
	s_mov_b32 s7, exec_lo
	global_store_b64 v[4:5], v[13:14], off
	s_waitcnt_vscnt null, 0x0
	global_atomic_cmpswap_b64 v[2:3], v10, v[11:14], s[2:3] offset:32 glc
	s_waitcnt vmcnt(0)
	v_cmpx_ne_u64_e64 v[2:3], v[13:14]
	s_cbranch_execz .LBB1_376
; %bb.374:
	s_mov_b32 s10, 0
.LBB1_375:                              ; =>This Inner Loop Header: Depth=1
	v_dual_mov_b32 v0, s4 :: v_dual_mov_b32 v1, s5
	s_sleep 1
	global_store_b64 v[4:5], v[2:3], off
	s_waitcnt_vscnt null, 0x0
	global_atomic_cmpswap_b64 v[0:1], v10, v[0:3], s[2:3] offset:32 glc
	s_waitcnt vmcnt(0)
	v_cmp_eq_u64_e32 vcc_lo, v[0:1], v[2:3]
	v_dual_mov_b32 v3, v1 :: v_dual_mov_b32 v2, v0
	s_or_b32 s10, vcc_lo, s10
	s_delay_alu instid0(SALU_CYCLE_1)
	s_and_not1_b32 exec_lo, exec_lo, s10
	s_cbranch_execnz .LBB1_375
.LBB1_376:
	s_or_b32 exec_lo, exec_lo, s7
	v_mov_b32_e32 v3, 0
	s_mov_b32 s10, exec_lo
	s_mov_b32 s7, exec_lo
	v_mbcnt_lo_u32_b32 v2, s10, 0
	global_load_b64 v[0:1], v3, s[2:3] offset:16
	v_cmpx_eq_u32_e32 0, v2
	s_cbranch_execz .LBB1_378
; %bb.377:
	s_bcnt1_i32_b32 s10, s10
	s_delay_alu instid0(SALU_CYCLE_1)
	v_mov_b32_e32 v2, s10
	s_waitcnt vmcnt(0)
	global_atomic_add_u64 v[0:1], v[2:3], off offset:8
.LBB1_378:
	s_or_b32 exec_lo, exec_lo, s7
	s_waitcnt vmcnt(0)
	global_load_b64 v[2:3], v[0:1], off offset:16
	s_waitcnt vmcnt(0)
	v_cmp_eq_u64_e32 vcc_lo, 0, v[2:3]
	s_cbranch_vccnz .LBB1_380
; %bb.379:
	global_load_b32 v0, v[0:1], off offset:24
	s_waitcnt vmcnt(0)
	v_dual_mov_b32 v1, 0 :: v_dual_and_b32 v4, 0xffffff, v0
	s_waitcnt_vscnt null, 0x0
	global_store_b64 v[2:3], v[0:1], off
	v_readfirstlane_b32 m0, v4
	s_sendmsg sendmsg(MSG_INTERRUPT)
.LBB1_380:
	s_or_b32 exec_lo, exec_lo, s6
	s_branch .LBB1_384
	.p2align	6
.LBB1_381:                              ;   in Loop: Header=BB1_384 Depth=1
	s_or_b32 exec_lo, exec_lo, s6
	s_delay_alu instid0(VALU_DEP_1) | instskip(NEXT) | instid1(VALU_DEP_1)
	v_readfirstlane_b32 s6, v0
	s_cmp_eq_u32 s6, 0
	s_cbranch_scc1 .LBB1_383
; %bb.382:                              ;   in Loop: Header=BB1_384 Depth=1
	s_sleep 1
	s_cbranch_execnz .LBB1_384
	s_branch .LBB1_386
	.p2align	6
.LBB1_383:
	s_branch .LBB1_386
.LBB1_384:                              ; =>This Inner Loop Header: Depth=1
	v_mov_b32_e32 v0, 1
	s_and_saveexec_b32 s6, s0
	s_cbranch_execz .LBB1_381
; %bb.385:                              ;   in Loop: Header=BB1_384 Depth=1
	global_load_b32 v0, v[8:9], off offset:20 glc
	s_waitcnt vmcnt(0)
	buffer_gl1_inv
	buffer_gl0_inv
	v_and_b32_e32 v0, 1, v0
	s_branch .LBB1_381
.LBB1_386:
	global_load_b64 v[0:1], v[6:7], off
	s_and_saveexec_b32 s6, s0
	s_cbranch_execz .LBB1_390
; %bb.387:
	v_mov_b32_e32 v8, 0
	s_clause 0x2
	global_load_b64 v[4:5], v8, s[2:3] offset:40
	global_load_b64 v[9:10], v8, s[2:3] offset:24 glc
	global_load_b64 v[6:7], v8, s[2:3]
	s_waitcnt vmcnt(2)
	v_add_co_u32 v11, vcc_lo, v4, 1
	v_add_co_ci_u32_e32 v12, vcc_lo, 0, v5, vcc_lo
	s_delay_alu instid0(VALU_DEP_2) | instskip(NEXT) | instid1(VALU_DEP_2)
	v_add_co_u32 v2, vcc_lo, v11, s4
	v_add_co_ci_u32_e32 v3, vcc_lo, s5, v12, vcc_lo
	s_delay_alu instid0(VALU_DEP_1) | instskip(SKIP_1) | instid1(VALU_DEP_1)
	v_cmp_eq_u64_e32 vcc_lo, 0, v[2:3]
	v_dual_cndmask_b32 v3, v3, v12 :: v_dual_cndmask_b32 v2, v2, v11
	v_and_b32_e32 v5, v3, v5
	s_delay_alu instid0(VALU_DEP_2) | instskip(NEXT) | instid1(VALU_DEP_2)
	v_and_b32_e32 v4, v2, v4
	v_mul_lo_u32 v5, v5, 24
	s_delay_alu instid0(VALU_DEP_2) | instskip(SKIP_1) | instid1(VALU_DEP_2)
	v_mul_hi_u32 v11, v4, 24
	v_mul_lo_u32 v4, v4, 24
	v_add_nc_u32_e32 v5, v11, v5
	s_waitcnt vmcnt(0)
	s_delay_alu instid0(VALU_DEP_2) | instskip(SKIP_1) | instid1(VALU_DEP_3)
	v_add_co_u32 v6, vcc_lo, v6, v4
	v_mov_b32_e32 v4, v9
	v_add_co_ci_u32_e32 v7, vcc_lo, v7, v5, vcc_lo
	v_mov_b32_e32 v5, v10
	global_store_b64 v[6:7], v[9:10], off
	s_waitcnt_vscnt null, 0x0
	global_atomic_cmpswap_b64 v[4:5], v8, v[2:5], s[2:3] offset:24 glc
	s_waitcnt vmcnt(0)
	v_cmp_ne_u64_e32 vcc_lo, v[4:5], v[9:10]
	s_and_b32 exec_lo, exec_lo, vcc_lo
	s_cbranch_execz .LBB1_390
; %bb.388:
	s_mov_b32 s0, 0
.LBB1_389:                              ; =>This Inner Loop Header: Depth=1
	s_sleep 1
	global_store_b64 v[6:7], v[4:5], off
	s_waitcnt_vscnt null, 0x0
	global_atomic_cmpswap_b64 v[9:10], v8, v[2:5], s[2:3] offset:24 glc
	s_waitcnt vmcnt(0)
	v_cmp_eq_u64_e32 vcc_lo, v[9:10], v[4:5]
	v_dual_mov_b32 v4, v9 :: v_dual_mov_b32 v5, v10
	s_or_b32 s0, vcc_lo, s0
	s_delay_alu instid0(SALU_CYCLE_1)
	s_and_not1_b32 exec_lo, exec_lo, s0
	s_cbranch_execnz .LBB1_389
.LBB1_390:
	s_or_b32 exec_lo, exec_lo, s6
.LBB1_391:
	s_delay_alu instid0(SALU_CYCLE_1)
	s_or_b32 exec_lo, exec_lo, s1
	s_getpc_b64 s[0:1]
	s_add_u32 s0, s0, .str.1@rel32@lo+4
	s_addc_u32 s1, s1, .str.1@rel32@hi+12
	s_getpc_b64 s[2:3]
	s_add_u32 s2, s2, .str.1@rel32@lo+32
	s_addc_u32 s3, s3, .str.1@rel32@hi+40
	s_sub_i32 s4, s2, s0
	s_getpc_b64 s[2:3]
	s_add_u32 s2, s2, __ockl_fprintf_append_string_n@rel32@lo+4
	s_addc_u32 s3, s3, __ockl_fprintf_append_string_n@rel32@hi+12
	s_ashr_i32 s5, s4, 31
	s_waitcnt vmcnt(0)
	v_dual_mov_b32 v2, s0 :: v_dual_mov_b32 v3, s1
	v_dual_mov_b32 v4, s4 :: v_dual_mov_b32 v5, s5
	v_mov_b32_e32 v6, 1
	s_swappc_b64 s[30:31], s[2:3]
	s_trap 2
	s_sendmsg_rtn_b32 s0, sendmsg(MSG_RTN_GET_DOORBELL)
	s_mov_b32 ttmp2, m0
	s_waitcnt lgkmcnt(0)
	s_and_b32 s0, s0, 0x3ff
	s_delay_alu instid0(SALU_CYCLE_1) | instskip(NEXT) | instid1(SALU_CYCLE_1)
	s_bitset1_b32 s0, 10
	s_mov_b32 m0, s0
	s_sendmsg sendmsg(MSG_INTERRUPT)
	s_mov_b32 m0, ttmp2
.LBB1_392:                              ; =>This Inner Loop Header: Depth=1
	s_sethalt 5
	s_branch .LBB1_392
.Lfunc_end1:
	.size	__assert_fail, .Lfunc_end1-__assert_fail
                                        ; -- End function
	.section	.AMDGPU.csdata,"",@progbits
; Function info:
; codeLenInByte = 16148
; NumSgprs: 36
; NumVgprs: 41
; ScratchSize: 64
; MemoryBound: 0
	.text
	.p2align	2                               ; -- Begin function _ZN12_GLOBAL__N_17runRingI12rccl_bfloat88FuncProdIS1_E11ProtoSimpleILi1ELi1ELi0ELi1ELi0ELi0EELi0ELi1ELi0EEEviiP15ncclDevWorkColl
	.type	_ZN12_GLOBAL__N_17runRingI12rccl_bfloat88FuncProdIS1_E11ProtoSimpleILi1ELi1ELi0ELi1ELi0ELi0EELi0ELi1ELi0EEEviiP15ncclDevWorkColl,@function
_ZN12_GLOBAL__N_17runRingI12rccl_bfloat88FuncProdIS1_E11ProtoSimpleILi1ELi1ELi0ELi1ELi0ELi0EELi0ELi1ELi0EEEviiP15ncclDevWorkColl: ; @_ZN12_GLOBAL__N_17runRingI12rccl_bfloat88FuncProdIS1_E11ProtoSimpleILi1ELi1ELi0ELi1ELi0ELi0EELi0ELi1ELi0EEEviiP15ncclDevWorkColl
; %bb.0:
	s_waitcnt vmcnt(0) expcnt(0) lgkmcnt(0)
	s_mov_b32 s0, s33
	s_mov_b32 s33, s32
	s_or_saveexec_b32 s1, -1
	scratch_store_b32 off, v41, s33 offset:4 ; 4-byte Folded Spill
	s_mov_b32 exec_lo, s1
	v_writelane_b32 v41, s0, 2
	s_add_i32 s32, s32, 16
	scratch_store_b32 off, v40, s33         ; 4-byte Folded Spill
	v_writelane_b32 v41, s30, 0
	v_writelane_b32 v41, s31, 1
	s_cbranch_execnz .LBB2_2619
; %bb.1:
	ds_load_b64 v[14:15], v0
	ds_load_b32 v9, v0
	flat_load_b64 v[6:7], v[2:3]
	s_mov_b32 s0, exec_lo
                                        ; implicit-def: $vgpr28_vgpr29
                                        ; implicit-def: $vgpr18_vgpr19
	s_waitcnt lgkmcnt(2)
	v_ashrrev_i32_e32 v5, 31, v15
	v_mov_b32_e32 v4, v15
	s_delay_alu instid0(VALU_DEP_1) | instskip(NEXT) | instid1(VALU_DEP_1)
	v_lshlrev_b64 v[4:5], 2, v[4:5]
	v_add_co_u32 v4, vcc_lo, v14, v4
	s_delay_alu instid0(VALU_DEP_2) | instskip(NEXT) | instid1(VALU_DEP_2)
	v_add_co_ci_u32_e32 v5, vcc_lo, v15, v5, vcc_lo
	v_add_co_u32 v4, vcc_lo, -4, v4
	s_delay_alu instid0(VALU_DEP_2) | instskip(SKIP_4) | instid1(VALU_DEP_1)
	v_add_co_ci_u32_e32 v5, vcc_lo, -1, v5, vcc_lo
	flat_load_u16 v16, v[2:3] offset:8
	flat_load_b32 v36, v[4:5]
                                        ; implicit-def: $vgpr4_vgpr5
	s_waitcnt vmcnt(2) lgkmcnt(2)
	v_dual_mov_b32 v15, v7 :: v_dual_and_b32 v8, 0xff, v6
	v_cmpx_ne_u32_e64 v8, v9
	s_xor_b32 s0, exec_lo, s0
	s_cbranch_execnz .LBB2_2621
; %bb.2:
	s_and_not1_saveexec_b32 s0, s0
	s_cbranch_execnz .LBB2_2626
.LBB2_3:
	s_or_b32 exec_lo, exec_lo, s0
	s_cbranch_execnz .LBB2_2627
.LBB2_4:
	ds_load_b64 v[6:7], v0
	s_mov_b32 s1, exec_lo
	s_waitcnt lgkmcnt(0)
	v_cmp_ne_u32_e32 vcc_lo, -1, v6
	v_cndmask_b32_e64 v17, 0, 1, vcc_lo
	v_cmp_ne_u32_e32 vcc_lo, -1, v7
	s_delay_alu instid0(VALU_DEP_2) | instskip(NEXT) | instid1(VALU_DEP_1)
	v_add_co_ci_u32_e64 v6, s0, 0, v17, vcc_lo
	v_lshlrev_b32_e32 v7, 1, v6
	s_delay_alu instid0(VALU_DEP_1)
	v_cmpx_le_i32_e64 v7, v1
	s_xor_b32 s13, exec_lo, s1
	s_cbranch_execz .LBB2_2838
; %bb.5:
	s_clause 0x1
	flat_load_b128 v[10:13], v[2:3] offset:16
	flat_load_b64 v[29:30], v[2:3] offset:104
	s_cbranch_execnz .LBB2_2629
; %bb.6:
	s_load_b32 s0, s[8:9], 0x0
	v_mov_b32_e32 v2, 0
	v_mov_b32_e32 v64, 4
	s_waitcnt lgkmcnt(0)
	s_cmp_lt_u32 s12, s0
	s_cselect_b32 s0, 12, 18
	s_delay_alu instid0(SALU_CYCLE_1)
	s_add_u32 s0, s8, s0
	s_addc_u32 s1, s9, 0
	global_load_u16 v37, v2, s[0:1]
	ds_load_b32 v2, v0
	s_mov_b32 s1, exec_lo
	s_waitcnt lgkmcnt(0)
	v_readfirstlane_b32 s14, v2
	v_cmpx_ge_i32_e64 v0, v17
	s_cbranch_execz .LBB2_16
; %bb.7:
	v_cmp_le_u32_e64 s0, v6, v0
                                        ; implicit-def: $vgpr64
	s_delay_alu instid0(VALU_DEP_1) | instskip(NEXT) | instid1(SALU_CYCLE_1)
	s_and_saveexec_b32 s2, s0
	s_xor_b32 s0, exec_lo, s2
	s_cbranch_execz .LBB2_13
; %bb.8:
	v_cndmask_b32_e64 v2, 0, 1, vcc_lo
	s_mov_b32 s2, exec_lo
                                        ; implicit-def: $sgpr3
	s_delay_alu instid0(VALU_DEP_1) | instskip(NEXT) | instid1(VALU_DEP_1)
	v_sub_nc_u32_e32 v2, v1, v2
	v_cmpx_ge_u32_e64 v0, v2
	s_xor_b32 s2, exec_lo, s2
; %bb.9:
	s_mov_b32 s3, 16
                                        ; implicit-def: $vgpr6
; %bb.10:
	s_or_saveexec_b32 s2, s2
	v_mov_b32_e32 v64, s3
	s_xor_b32 exec_lo, exec_lo, s2
; %bb.11:
	v_sub_nc_u32_e32 v2, v1, v6
	s_delay_alu instid0(VALU_DEP_1) | instskip(SKIP_1) | instid1(VALU_DEP_1)
	v_cmp_ge_i32_e32 vcc_lo, v0, v2
	v_cndmask_b32_e64 v2, 0, 1, vcc_lo
	v_lshlrev_b32_e32 v64, 5, v2
; %bb.12:
	s_or_b32 exec_lo, exec_lo, s2
.LBB2_13:
	s_and_not1_saveexec_b32 s0, s0
; %bb.14:
	v_mov_b32_e32 v64, 8
; %bb.15:
	s_or_b32 exec_lo, exec_lo, s0
.LBB2_16:
	s_delay_alu instid0(SALU_CYCLE_1) | instskip(NEXT) | instid1(VALU_DEP_1)
	s_or_b32 exec_lo, exec_lo, s1
	v_and_b32_e32 v2, 36, v64
	v_mov_b32_e32 v32, -1
	s_delay_alu instid0(VALU_DEP_2)
	v_cmp_ne_u32_e32 vcc_lo, 0, v2
	s_and_saveexec_b32 s0, vcc_lo
	s_cbranch_execz .LBB2_19
; %bb.17:
	s_cbranch_execnz .LBB2_2631
; %bb.18:
	ds_load_b32 v32, v0
.LBB2_19:
	s_or_b32 exec_lo, exec_lo, s0
	v_and_b32_e32 v2, 24, v64
	s_mov_b32 s1, exec_lo
	s_delay_alu instid0(VALU_DEP_1)
	v_cmpx_ne_u32_e32 0, v2
	s_cbranch_execz .LBB2_22
; %bb.20:
	s_cbranch_execnz .LBB2_2633
; %bb.21:
	s_waitcnt lgkmcnt(0)
	ds_load_b32 v32, v0
.LBB2_22:
	s_or_b32 exec_lo, exec_lo, s1
	s_waitcnt vmcnt(4)
	v_lshrrev_b64 v[2:3], 31, v[15:16]
	v_mov_b32_e32 v20, 0
	v_mov_b32_e32 v21, 0
                                        ; implicit-def: $vgpr65
                                        ; implicit-def: $vgpr26_vgpr27
                                        ; implicit-def: $vgpr24_vgpr25
                                        ; implicit-def: $vgpr22_vgpr23
	s_delay_alu instid0(VALU_DEP_3) | instskip(NEXT) | instid1(VALU_DEP_2)
	v_and_b32_e32 v16, 3, v2
	v_dual_mov_b32 v6, v20 :: v_dual_mov_b32 v7, v21
                                        ; implicit-def: $vgpr2_vgpr3
	s_and_saveexec_b32 s0, vcc_lo
	s_cbranch_execz .LBB2_35
; %bb.23:
	s_cbranch_execnz .LBB2_2635
; %bb.24:
	ds_load_b64 v[2:3], v0
	s_waitcnt lgkmcnt(1)
	v_ashrrev_i32_e32 v33, 31, v32
	v_and_b32_e32 v8, 0xffff, v16
	s_delay_alu instid0(VALU_DEP_2) | instskip(SKIP_1) | instid1(VALU_DEP_1)
	v_lshlrev_b64 v[6:7], 3, v[32:33]
	s_waitcnt lgkmcnt(0)
	v_add_co_u32 v2, vcc_lo, v2, v6
	s_delay_alu instid0(VALU_DEP_2)
	v_add_co_ci_u32_e32 v3, vcc_lo, v3, v7, vcc_lo
	flat_load_b64 v[2:3], v[2:3]
	s_waitcnt vmcnt(0) lgkmcnt(0)
	v_mad_u64_u32 v[6:7], null, 0xa8, v8, v[2:3]
	flat_load_b32 v2, v[6:7] offset:640
	v_add_co_u32 v20, vcc_lo, 0x1f8, v6
	v_add_co_ci_u32_e32 v21, vcc_lo, 0, v7, vcc_lo
	s_waitcnt vmcnt(0) lgkmcnt(0)
	v_cmp_eq_u32_e32 vcc_lo, 1, v2
                                        ; implicit-def: $vgpr2_vgpr3
	s_and_saveexec_b32 s1, vcc_lo
	s_cbranch_execz .LBB2_27
; %bb.25:
	flat_load_b64 v[2:3], v[20:21] offset:144
	s_waitcnt vmcnt(0) lgkmcnt(0)
	flat_load_b64 v[6:7], v[2:3]
	s_cbranch_execnz .LBB2_2641
; %bb.26:
	s_waitcnt vmcnt(0) lgkmcnt(0)
	ds_store_b64 v0, v[6:7]
	flat_load_b64 v[6:7], v[2:3] offset:8
	v_or_b32_e32 v64, 0x2000, v64
	s_waitcnt vmcnt(0) lgkmcnt(0)
	ds_store_b64 v0, v[6:7]
	flat_load_b64 v[6:7], v[2:3] offset:16
	s_waitcnt vmcnt(0) lgkmcnt(0)
	ds_store_b64 v0, v[6:7]
.LBB2_27:
	s_or_b32 exec_lo, exec_lo, s1
	flat_load_b64 v[8:9], v[20:21] offset:104
	v_and_b32_e32 v6, 32, v64
	s_mov_b32 s1, exec_lo
                                        ; implicit-def: $vgpr22_vgpr23
	s_delay_alu instid0(VALU_DEP_1)
	v_cmpx_ne_u32_e32 0, v6
	s_cbranch_execz .LBB2_29
; %bb.28:
	flat_load_b64 v[22:23], v[20:21] offset:56
	s_waitcnt vmcnt(0) lgkmcnt(0)
	s_waitcnt_vscnt null, 0x0
	flat_store_b64 v[22:23], v[8:9]
.LBB2_29:
	s_or_b32 exec_lo, exec_lo, s1
	v_and_b32_e32 v24, 4, v64
	v_mov_b32_e32 v6, 0
	v_mov_b32_e32 v7, 0
                                        ; implicit-def: $vgpr65
                                        ; implicit-def: $vgpr26_vgpr27
	s_delay_alu instid0(VALU_DEP_3)
	v_cmp_ne_u32_e32 vcc_lo, 0, v24
                                        ; implicit-def: $vgpr24_vgpr25
	s_and_saveexec_b32 s1, vcc_lo
	s_cbranch_execz .LBB2_34
; %bb.30:
	v_and_b32_e32 v6, 0x800, v64
	s_mov_b32 s2, exec_lo
	s_delay_alu instid0(VALU_DEP_1)
	v_cmpx_eq_u32_e32 0, v6
	s_cbranch_execz .LBB2_33
; %bb.31:
	s_cbranch_execnz .LBB2_2645
; %bb.32:
	ds_store_b64 v0, v[20:21]
.LBB2_33:
	s_or_b32 exec_lo, exec_lo, s2
	flat_load_b64 v[22:23], v[20:21] offset:48
	v_or_b32_e32 v33, 0x100, v64
	s_waitcnt vmcnt(0) lgkmcnt(0)
	flat_load_b64 v[26:27], v[22:23] glc
	s_clause 0x2
	flat_load_b64 v[6:7], v[20:21] offset:96
	flat_load_b32 v65, v[20:21] offset:72
	flat_load_b64 v[24:25], v[20:21] offset:16
	s_waitcnt vmcnt(2) lgkmcnt(2)
	v_cmp_eq_u64_e32 vcc_lo, 0, v[6:7]
	v_cndmask_b32_e32 v64, v33, v64, vcc_lo
.LBB2_34:
	s_or_b32 exec_lo, exec_lo, s1
.LBB2_35:
	s_delay_alu instid0(SALU_CYCLE_1) | instskip(NEXT) | instid1(VALU_DEP_1)
	s_or_b32 exec_lo, exec_lo, s0
	v_and_b32_e32 v33, 24, v64
	s_mov_b32 s0, exec_lo
                                        ; implicit-def: $vgpr34_vgpr35
	s_delay_alu instid0(VALU_DEP_1)
	v_cmpx_ne_u32_e32 0, v33
	s_cbranch_execz .LBB2_45
; %bb.36:
	s_cbranch_execnz .LBB2_2637
; %bb.37:
	ds_load_b64 v[6:7], v0
	s_waitcnt lgkmcnt(1)
	v_ashrrev_i32_e32 v33, 31, v32
	s_mov_b32 s1, exec_lo
                                        ; implicit-def: $vgpr34_vgpr35
	s_waitcnt vmcnt(0)
	s_delay_alu instid0(VALU_DEP_1) | instskip(SKIP_1) | instid1(VALU_DEP_1)
	v_lshlrev_b64 v[8:9], 3, v[32:33]
	s_waitcnt lgkmcnt(0)
	v_add_co_u32 v6, vcc_lo, v6, v8
	s_delay_alu instid0(VALU_DEP_2)
	v_add_co_ci_u32_e32 v7, vcc_lo, v7, v9, vcc_lo
	v_and_b32_e32 v8, 0xffff, v16
	v_or_b32_e32 v16, 0x100, v64
	flat_load_b64 v[6:7], v[6:7]
	s_waitcnt vmcnt(0) lgkmcnt(0)
	v_mad_u64_u32 v[20:21], null, 0xa8, v8, v[6:7]
	flat_load_b128 v[6:9], v[20:21] offset:96
	s_waitcnt vmcnt(0) lgkmcnt(0)
	v_cmp_eq_u64_e32 vcc_lo, 0, v[6:7]
	v_cndmask_b32_e32 v64, v16, v64, vcc_lo
	s_delay_alu instid0(VALU_DEP_1) | instskip(NEXT) | instid1(VALU_DEP_1)
	v_and_b32_e32 v16, 16, v64
	v_cmpx_ne_u32_e32 0, v16
; %bb.38:
	s_clause 0x2
	flat_load_b64 v[34:35], v[20:21] offset:120
	flat_load_b64 v[22:23], v[20:21] offset:48
	;; [unrolled: 1-line block ×3, first 2 shown]
; %bb.39:
	s_or_b32 exec_lo, exec_lo, s1
	v_and_b32_e32 v16, 8, v64
	s_mov_b32 s1, exec_lo
	s_delay_alu instid0(VALU_DEP_1)
	v_cmpx_ne_u32_e32 0, v16
	s_cbranch_execz .LBB2_44
; %bb.40:
	v_and_b32_e32 v16, 0x800, v64
	s_mov_b32 s2, exec_lo
	s_delay_alu instid0(VALU_DEP_1)
	v_cmpx_eq_u32_e32 0, v16
	s_cbranch_execz .LBB2_43
; %bb.41:
	s_cbranch_execnz .LBB2_2662
; %bb.42:
	ds_store_b64 v0, v[20:21]
.LBB2_43:
	s_or_b32 exec_lo, exec_lo, s2
	s_waitcnt vmcnt(1) lgkmcnt(1)
	flat_load_b64 v[22:23], v[20:21] offset:56
	s_waitcnt vmcnt(0) lgkmcnt(0)
	flat_load_b64 v[26:27], v[22:23] glc
	s_clause 0x1
	flat_load_b32 v65, v[20:21] offset:72
	flat_load_b64 v[24:25], v[20:21] offset:16
.LBB2_44:
	s_or_b32 exec_lo, exec_lo, s1
.LBB2_45:
	s_delay_alu instid0(SALU_CYCLE_1) | instskip(SKIP_1) | instid1(VALU_DEP_1)
	s_or_b32 exec_lo, exec_lo, s0
	v_cmp_eq_u32_e64 s0, 0, v0
	s_and_saveexec_b32 s1, s0
	s_cbranch_execz .LBB2_48
; %bb.46:
	s_waitcnt vmcnt(2)
	ds_store_2addr_b64 v0, v[12:13], v[10:11] offset1:1
	s_cbranch_execnz .LBB2_2639
; %bb.47:
	v_mov_b32_e32 v10, 0
	s_delay_alu instid0(VALU_DEP_1)
	v_mov_b32_e32 v11, v10
	ds_store_b64 v0, v[10:11]
	s_waitcnt vmcnt(1)
	ds_store_b64 v0, v[29:30]
.LBB2_48:
	s_or_b32 exec_lo, exec_lo, s1
	s_waitcnt vmcnt(2)
	v_bfe_u32 v10, v15, 1, 30
	s_waitcnt lgkmcnt(0)
	v_dual_mov_b32 v33, 0 :: v_dual_and_b32 v32, 0x3ffffe00, v28
	s_waitcnt vmcnt(0)
	v_and_b32_e32 v30, 0xffff, v37
                                        ; implicit-def: $vgpr28_vgpr29
	s_mov_b32 s1, exec_lo
	v_cmpx_ne_u32_e64 v36, v10
	s_xor_b32 s15, exec_lo, s1
	s_cbranch_execz .LBB2_2416
; %bb.49:
	v_cmp_ne_u64_e64 s1, 0, v[4:5]
                                        ; implicit-def: $vgpr28_vgpr29
	s_mov_b32 s2, exec_lo
	v_cmpx_ne_u32_e64 v14, v10
	s_xor_b32 s16, exec_lo, s2
	s_cbranch_execz .LBB2_1239
; %bb.50:
	v_mov_b32_e32 v28, 0
	v_mov_b32_e32 v29, 0
	s_and_saveexec_b32 s17, s1
	s_cbranch_execz .LBB2_1238
; %bb.51:
	v_cmp_ge_i32_e64 s2, v0, v1
	s_cbranch_execnz .LBB2_2660
; %bb.52:
	v_ashrrev_i32_e32 v10, 31, v0
	v_lshrrev_b32_e32 v67, 5, v1
	v_dual_mov_b32 v38, 0 :: v_dual_and_b32 v11, 31, v31
	v_dual_mov_b32 v39, 0 :: v_dual_lshlrev_b32 v68, 4, v0
	s_delay_alu instid0(VALU_DEP_4) | instskip(NEXT) | instid1(VALU_DEP_3)
	v_lshrrev_b32_e32 v10, 27, v10
	v_dual_mov_b32 v28, v38 :: v_dual_lshlrev_b32 v69, 9, v67
	s_ashr_i32 s5, s14, 31
	s_delay_alu instid0(VALU_DEP_2)
	v_dual_mov_b32 v37, 0 :: v_dual_add_nc_u32 v10, v0, v10
	s_lshr_b32 s5, s5, 24
	v_and_b32_e32 v83, 0xffffffe0, v1
	s_add_i32 s11, s14, s5
	v_cmp_eq_u32_e64 s5, 0, v11
	v_dual_mov_b32 v87, 1 :: v_dual_and_b32 v12, 0xffffffe0, v10
	v_add_nc_u32_e32 v11, 0xfffffe00, v69
	v_ashrrev_i32_e32 v10, 5, v10
	v_cmp_eq_u32_e32 vcc_lo, 32, v1
	s_delay_alu instid0(VALU_DEP_4) | instskip(SKIP_4) | instid1(VALU_DEP_4)
	v_sub_nc_u32_e32 v70, v0, v12
	v_lshl_add_u32 v12, v67, 8, 0xffffff00
	v_ashrrev_i32_e32 v13, 31, v11
	v_sub_nc_u32_e32 v80, 0, v10
	v_add_co_u32 v81, s10, 0x200, v11
	v_ashrrev_i32_e32 v10, 31, v12
	s_delay_alu instid0(VALU_DEP_4) | instskip(SKIP_1) | instid1(VALU_DEP_1)
	v_add_co_ci_u32_e64 v82, s10, 0, v13, s10
	v_add_co_u32 v84, s10, 0x100, v12
	v_add_co_ci_u32_e64 v85, s10, 0, v10, s10
	v_cmp_eq_u64_e64 s10, 0, v[34:35]
	v_ashrrev_i32_e32 v66, 31, v65
	v_cmp_ne_u32_e64 s3, 32, v1
	v_cmp_ne_u32_e64 s4, v30, v1
	v_ashrrev_i32_e32 v71, 31, v68
	v_cmp_le_i32_e64 s6, v70, v17
	v_cmp_lt_i32_e64 s7, v70, v17
	v_ashrrev_i32_e32 v86, 31, v83
	v_mov_b32_e32 v29, v39
	s_ashr_i32 s19, s11, 8
	s_mov_b32 s18, 0
	s_xor_b32 s20, vcc_lo, -1
.LBB2_53:                               ; =>This Loop Header: Depth=1
                                        ;     Child Loop BB2_63 Depth 2
                                        ;     Child Loop BB2_95 Depth 2
                                        ;     Child Loop BB2_118 Depth 2
                                        ;     Child Loop BB2_144 Depth 2
                                        ;     Child Loop BB2_534 Depth 2
                                        ;     Child Loop BB2_926 Depth 2
                                        ;     Child Loop BB2_1124 Depth 2
                                        ;     Child Loop BB2_1156 Depth 2
                                        ;     Child Loop BB2_1183 Depth 2
                                        ;     Child Loop BB2_1215 Depth 2
	v_sub_co_u32 v10, vcc_lo, v4, v38
	v_sub_co_ci_u32_e32 v11, vcc_lo, v5, v39, vcc_lo
	v_mov_b32_e32 v12, 0
	s_delay_alu instid0(VALU_DEP_2) | instskip(SKIP_2) | instid1(VALU_DEP_2)
	v_cmp_lt_u64_e32 vcc_lo, v[32:33], v[10:11]
	v_cndmask_b32_e32 v48, v10, v32, vcc_lo
	v_cndmask_b32_e64 v49, v11, 0, vcc_lo
	v_add_nc_u32_e32 v10, 15, v48
	s_delay_alu instid0(VALU_DEP_2) | instskip(NEXT) | instid1(VALU_DEP_2)
	v_cmp_eq_u64_e32 vcc_lo, 0, v[48:49]
	v_and_b32_e32 v10, 0x7ffffff0, v10
	s_or_b32 s21, s2, vcc_lo
	s_delay_alu instid0(SALU_CYCLE_1) | instskip(NEXT) | instid1(VALU_DEP_1)
	s_xor_b32 s11, s21, -1
	v_max_i32_e32 v49, s19, v10
	s_and_saveexec_b32 s22, s11
	s_cbranch_execz .LBB2_1176
; %bb.54:                               ;   in Loop: Header=BB2_53 Depth=1
	s_and_saveexec_b32 s11, s0
	s_cbranch_execz .LBB2_57
; %bb.55:                               ;   in Loop: Header=BB2_53 Depth=1
	s_cbranch_execnz .LBB2_2688
; %bb.56:                               ;   in Loop: Header=BB2_53 Depth=1
	ds_load_b64 v[10:11], v0
	v_mov_b32_e32 v36, v37
	s_waitcnt lgkmcnt(0)
	v_add_co_u32 v10, vcc_lo, v10, v18
	v_add_co_ci_u32_e32 v11, vcc_lo, v11, v19, vcc_lo
	s_delay_alu instid0(VALU_DEP_2) | instskip(NEXT) | instid1(VALU_DEP_2)
	v_add_co_u32 v10, vcc_lo, v10, v38
	v_add_co_ci_u32_e32 v11, vcc_lo, v11, v39, vcc_lo
	ds_store_b64 v0, v[10:11]
	ds_store_b64 v0, v[36:37]
.LBB2_57:                               ;   in Loop: Header=BB2_53 Depth=1
	s_or_b32 exec_lo, exec_lo, s11
	v_and_b32_e32 v10, 12, v64
	s_mov_b32 s12, -1
	s_mov_b32 s11, exec_lo
	s_delay_alu instid0(VALU_DEP_1)
	v_cmpx_ne_u32_e32 0, v10
	s_cbranch_execz .LBB2_71
; %bb.58:                               ;   in Loop: Header=BB2_53 Depth=1
	v_and_b32_e32 v12, 8, v64
	s_delay_alu instid0(VALU_DEP_1) | instskip(SKIP_3) | instid1(VALU_DEP_1)
	v_add_co_u32 v13, vcc_lo, v26, v12
	v_add_co_ci_u32_e32 v14, vcc_lo, 0, v27, vcc_lo
	v_add_co_u32 v10, vcc_lo, v8, 1
	v_add_co_ci_u32_e32 v11, vcc_lo, 0, v9, vcc_lo
	v_cmp_lt_u64_e32 vcc_lo, v[13:14], v[10:11]
	v_mov_b32_e32 v13, 1
	s_and_saveexec_b32 s12, vcc_lo
	s_cbranch_execz .LBB2_70
; %bb.59:                               ;   in Loop: Header=BB2_53 Depth=1
	v_mov_b32_e32 v13, 0
	s_mov_b32 s23, 0
                                        ; implicit-def: $sgpr24
	s_branch .LBB2_63
.LBB2_60:                               ;   in Loop: Header=BB2_63 Depth=2
	s_or_b32 exec_lo, exec_lo, s28
	v_mov_b32_e32 v14, 0
	s_or_not1_b32 s27, s27, exec_lo
.LBB2_61:                               ;   in Loop: Header=BB2_63 Depth=2
	s_or_b32 exec_lo, exec_lo, s26
	s_delay_alu instid0(VALU_DEP_1) | instskip(SKIP_2) | instid1(SALU_CYCLE_1)
	v_mov_b32_e32 v13, v14
	s_and_not1_b32 s24, s24, exec_lo
	s_and_b32 s26, s27, exec_lo
	s_or_b32 s24, s24, s26
.LBB2_62:                               ;   in Loop: Header=BB2_63 Depth=2
	s_or_b32 exec_lo, exec_lo, s25
	s_waitcnt vmcnt(0) lgkmcnt(0)
	v_add_co_u32 v14, vcc_lo, v26, v12
	v_add_co_ci_u32_e32 v15, vcc_lo, 0, v27, vcc_lo
	s_xor_b32 s25, s24, -1
	s_delay_alu instid0(VALU_DEP_1) | instskip(SKIP_1) | instid1(SALU_CYCLE_1)
	v_cmp_ge_u64_e32 vcc_lo, v[14:15], v[10:11]
	s_or_b32 s25, s25, vcc_lo
	s_and_b32 s25, exec_lo, s25
	s_delay_alu instid0(SALU_CYCLE_1) | instskip(NEXT) | instid1(SALU_CYCLE_1)
	s_or_b32 s23, s25, s23
	s_and_not1_b32 exec_lo, exec_lo, s23
	s_cbranch_execz .LBB2_69
.LBB2_63:                               ;   Parent Loop BB2_53 Depth=1
                                        ; =>  This Inner Loop Header: Depth=2
	s_sleep 1
	flat_load_b64 v[26:27], v[22:23] glc
	v_and_b32_e32 v14, 64, v64
	s_and_not1_b32 s24, s24, exec_lo
	s_mov_b32 s25, exec_lo
	s_delay_alu instid0(VALU_DEP_1)
	v_cmpx_eq_u32_e32 0, v14
	s_cbranch_execz .LBB2_62
; %bb.64:                               ;   in Loop: Header=BB2_63 Depth=2
	v_add_nc_u32_e32 v14, 1, v13
	s_mov_b32 s27, -1
	s_mov_b32 s26, exec_lo
	v_cmpx_lt_i32_e32 0x270e, v13
	s_cbranch_execz .LBB2_61
; %bb.65:                               ;   in Loop: Header=BB2_63 Depth=2
	s_cbranch_execnz .LBB2_2710
; %bb.66:                               ;   in Loop: Header=BB2_63 Depth=2
	ds_load_b64 v[13:14], v0
	s_mov_b32 s28, exec_lo
	s_waitcnt vmcnt(0) lgkmcnt(0)
	s_waitcnt_vscnt null, 0x0
	flat_load_b32 v13, v[13:14] glc
	s_waitcnt vmcnt(0) lgkmcnt(0)
	buffer_gl1_inv
	buffer_gl0_inv
	v_cmpx_ne_u32_e32 0, v13
	s_cbranch_execz .LBB2_60
; %bb.67:                               ;   in Loop: Header=BB2_63 Depth=2
	ds_store_b32 v0, v13
	s_cbranch_execnz .LBB2_2743
; %bb.68:                               ;   in Loop: Header=BB2_63 Depth=2
	v_or_b32_e32 v64, 64, v64
	s_xor_b32 s27, exec_lo, -1
	s_branch .LBB2_60
.LBB2_69:                               ;   in Loop: Header=BB2_53 Depth=1
	s_or_b32 exec_lo, exec_lo, s23
	v_and_b32_e32 v13, 12, v64
.LBB2_70:                               ;   in Loop: Header=BB2_53 Depth=1
	s_or_b32 exec_lo, exec_lo, s12
	s_delay_alu instid0(VALU_DEP_1)
	v_cmp_eq_u32_e32 vcc_lo, 0, v13
	;;#ASMSTART
	s_wakeup
	;;#ASMEND
	s_or_not1_b32 s12, vcc_lo, exec_lo
.LBB2_71:                               ;   in Loop: Header=BB2_53 Depth=1
	s_or_b32 exec_lo, exec_lo, s11
	v_min_u32_e32 v49, v49, v48
	s_xor_b32 s11, s12, -1
	s_delay_alu instid0(SALU_CYCLE_1)
	s_and_saveexec_b32 s12, s11
	s_cbranch_execz .LBB2_86
; %bb.72:                               ;   in Loop: Header=BB2_53 Depth=1
	v_and_b32_e32 v10, 0x108, v64
	s_mov_b32 s11, exec_lo
	s_delay_alu instid0(VALU_DEP_1)
	v_cmpx_ne_u32_e32 0x108, v10
	s_xor_b32 s11, exec_lo, s11
                                        ; implicit-def: $vgpr10_vgpr11
; %bb.73:                               ;   in Loop: Header=BB2_53 Depth=1
	v_and_b32_e32 v10, 7, v8
; %bb.74:                               ;   in Loop: Header=BB2_53 Depth=1
	s_and_not1_saveexec_b32 s11, s11
	s_cbranch_execz .LBB2_76
; %bb.75:                               ;   in Loop: Header=BB2_53 Depth=1
	v_and_b32_e32 v10, 7, v8
	v_mov_b32_e32 v50, v37
	s_delay_alu instid0(VALU_DEP_2)
	v_mad_u64_u32 v[11:12], null, v10, 24, v[6:7]
	flat_store_b64 v[11:12], v[49:50] offset:8
.LBB2_76:                               ;   in Loop: Header=BB2_53 Depth=1
	s_or_b32 exec_lo, exec_lo, s11
	v_and_b32_e32 v11, 0x100, v64
	s_mov_b32 s11, -1
	s_delay_alu instid0(VALU_DEP_1)
	v_cmp_ne_u32_e32 vcc_lo, 0, v11
                                        ; implicit-def: $vgpr11_vgpr12
	s_and_saveexec_b32 s23, vcc_lo
	s_cbranch_execnz .LBB2_79
; %bb.77:                               ;   in Loop: Header=BB2_53 Depth=1
	s_or_b32 exec_lo, exec_lo, s23
	s_and_saveexec_b32 s23, s11
	s_cbranch_execnz .LBB2_82
.LBB2_78:                               ;   in Loop: Header=BB2_53 Depth=1
	s_or_b32 exec_lo, exec_lo, s23
	s_cbranch_execnz .LBB2_2704
	s_branch .LBB2_83
.LBB2_79:                               ;   in Loop: Header=BB2_53 Depth=1
	v_mad_u64_u32 v[13:14], null, v10, 24, v[6:7]
	s_delay_alu instid0(VALU_DEP_1) | instskip(NEXT) | instid1(VALU_DEP_1)
	v_mov_b32_e32 v11, v14
	v_mad_u64_u32 v[14:15], null, v37, 24, v[11:12]
	flat_load_b32 v11, v[13:14]
	s_waitcnt vmcnt(0) lgkmcnt(0)
	v_cmp_ne_u32_e32 vcc_lo, 1, v11
	v_cmp_eq_u32_e64 s11, 1, v11
                                        ; implicit-def: $vgpr11_vgpr12
	s_delay_alu instid0(VALU_DEP_1)
	s_and_saveexec_b32 s24, s11
	s_cbranch_execz .LBB2_81
; %bb.80:                               ;   in Loop: Header=BB2_53 Depth=1
	flat_load_b32 v11, v[13:14] offset:4 glc
	s_waitcnt vmcnt(0) lgkmcnt(0)
	v_ashrrev_i32_e32 v12, 31, v11
.LBB2_81:                               ;   in Loop: Header=BB2_53 Depth=1
	s_or_b32 exec_lo, exec_lo, s24
	s_delay_alu instid0(SALU_CYCLE_1)
	s_or_not1_b32 s11, vcc_lo, exec_lo
	s_or_b32 exec_lo, exec_lo, s23
	s_and_saveexec_b32 s23, s11
	s_cbranch_execz .LBB2_78
.LBB2_82:                               ;   in Loop: Header=BB2_53 Depth=1
	v_mul_lo_u32 v13, v37, v65
	v_mul_lo_u32 v14, v10, v66
	v_mad_u64_u32 v[11:12], null, v10, v65, 0
	s_delay_alu instid0(VALU_DEP_1)
	v_add3_u32 v12, v12, v14, v13
	s_or_b32 exec_lo, exec_lo, s23
	s_cbranch_execnz .LBB2_2704
.LBB2_83:                               ;   in Loop: Header=BB2_53 Depth=1
	s_delay_alu instid0(VALU_DEP_2)
	v_add_co_u32 v10, vcc_lo, v24, v11
	v_and_b32_e32 v13, 0x2000, v64
	v_add_co_ci_u32_e32 v11, vcc_lo, v25, v12, vcc_lo
	s_mov_b32 s11, exec_lo
	ds_store_b64 v0, v[10:11]
	v_cmpx_ne_u32_e32 0, v13
	s_cbranch_execz .LBB2_85
; %bb.84:                               ;   in Loop: Header=BB2_53 Depth=1
	ds_load_b64 v[10:11], v0 offset:584
	s_waitcnt lgkmcnt(0)
	v_add_co_u32 v10, vcc_lo, v10, 1
	v_add_co_ci_u32_e32 v11, vcc_lo, 0, v11, vcc_lo
	ds_store_b64 v0, v[10:11] offset:584
.LBB2_85:                               ;   in Loop: Header=BB2_53 Depth=1
	s_or_b32 exec_lo, exec_lo, s11
	v_add_co_u32 v8, vcc_lo, v8, 1
	v_add_co_ci_u32_e32 v9, vcc_lo, 0, v9, vcc_lo
.LBB2_86:                               ;   in Loop: Header=BB2_53 Depth=1
	s_or_b32 exec_lo, exec_lo, s12
	s_and_saveexec_b32 s11, s3
	s_cbranch_execz .LBB2_108
; %bb.87:                               ;   in Loop: Header=BB2_53 Depth=1
	s_and_saveexec_b32 s12, s4
	s_delay_alu instid0(SALU_CYCLE_1)
	s_xor_b32 s12, exec_lo, s12
	s_cbranch_execz .LBB2_105
; %bb.88:                               ;   in Loop: Header=BB2_53 Depth=1
	s_and_saveexec_b32 s23, s5
	s_cbranch_execz .LBB2_104
; %bb.89:                               ;   in Loop: Header=BB2_53 Depth=1
	s_mov_b32 s25, exec_lo
	s_mov_b32 s24, exec_lo
	v_mbcnt_lo_u32_b32 v10, s25, 0
	s_waitcnt lgkmcnt(0)
	s_waitcnt_vscnt null, 0x0
	buffer_gl1_inv
	buffer_gl0_inv
	v_cmpx_eq_u32_e32 0, v10
	s_cbranch_execz .LBB2_91
; %bb.90:                               ;   in Loop: Header=BB2_53 Depth=1
	s_bcnt1_i32_b32 s25, s25
	s_delay_alu instid0(SALU_CYCLE_1)
	v_mov_b32_e32 v36, s25
	ds_add_u64 v0, v[36:37]
	s_cbranch_execnz .LBB2_2769
.LBB2_91:                               ;   in Loop: Header=BB2_53 Depth=1
	s_or_b32 exec_lo, exec_lo, s24
	s_cbranch_execnz .LBB2_2757
; %bb.92:                               ;   in Loop: Header=BB2_53 Depth=1
	ds_load_b64 v[10:11], v0
	v_add_co_u32 v28, vcc_lo, v28, v67
	v_add_co_ci_u32_e32 v29, vcc_lo, 0, v29, vcc_lo
	s_mov_b32 s24, exec_lo
	s_waitcnt lgkmcnt(0)
	s_delay_alu instid0(VALU_DEP_1)
	v_cmpx_lt_u64_e64 v[10:11], v[28:29]
	s_cbranch_execz .LBB2_103
; %bb.93:                               ;   in Loop: Header=BB2_53 Depth=1
	s_mov_b32 s25, 0
	s_mov_b32 s28, 0
                                        ; implicit-def: $sgpr26
                                        ; implicit-def: $sgpr27
	s_branch .LBB2_95
.LBB2_94:                               ;   in Loop: Header=BB2_95 Depth=2
	s_or_b32 exec_lo, exec_lo, vcc_hi
	s_delay_alu instid0(SALU_CYCLE_1) | instskip(NEXT) | instid1(SALU_CYCLE_1)
	s_and_b32 s29, exec_lo, vcc_lo
	s_or_b32 s25, s29, s25
	s_and_not1_b32 s26, s26, exec_lo
	s_and_b32 s29, s27, exec_lo
	s_delay_alu instid0(SALU_CYCLE_1)
	s_or_b32 s26, s26, s29
	s_and_not1_b32 exec_lo, exec_lo, s25
	s_cbranch_execz .LBB2_101
.LBB2_95:                               ;   Parent Loop BB2_53 Depth=1
                                        ; =>  This Inner Loop Header: Depth=2
	s_add_i32 s28, s28, 1
                                        ; implicit-def: $vcc_hi
	s_delay_alu instid0(SALU_CYCLE_1) | instskip(SKIP_1) | instid1(SALU_CYCLE_1)
	s_cmpk_lg_i32 s28, 0x2710
	s_cselect_b32 s29, -1, 0
	s_and_b32 vcc_lo, exec_lo, s29
	s_cbranch_vccz .LBB2_99
.LBB2_96:                               ;   in Loop: Header=BB2_95 Depth=2
	s_and_not1_b32 s27, s27, exec_lo
	s_and_b32 vcc_hi, vcc_hi, exec_lo
	s_mov_b32 vcc_lo, -1
	s_or_b32 s27, s27, vcc_hi
	s_and_saveexec_b32 vcc_hi, s29
	s_cbranch_execz .LBB2_94
; %bb.97:                               ;   in Loop: Header=BB2_95 Depth=2
	s_sleep 1
	s_cbranch_execnz .LBB2_2801
; %bb.98:                               ;   in Loop: Header=BB2_95 Depth=2
	ds_load_b64 v[10:11], v0
	s_and_not1_b32 s27, s27, exec_lo
	s_waitcnt lgkmcnt(0)
	v_cmp_ge_u64_e32 vcc_lo, v[10:11], v[28:29]
	s_or_not1_b32 vcc_lo, vcc_lo, exec_lo
	s_branch .LBB2_94
.LBB2_99:                               ;   in Loop: Header=BB2_95 Depth=2
	s_cbranch_execnz .LBB2_2815
; %bb.100:                              ;   in Loop: Header=BB2_95 Depth=2
	ds_load_b64 v[10:11], v0
	s_and_not1_b32 s29, s29, exec_lo
	s_mov_b32 s28, 0
	s_waitcnt lgkmcnt(0)
	flat_load_b32 v10, v[10:11] glc
	s_waitcnt vmcnt(0) lgkmcnt(0)
	buffer_gl1_inv
	buffer_gl0_inv
	v_cmp_eq_u32_e32 vcc_lo, 0, v10
	s_mov_b32 vcc_hi, -1
	s_and_b32 vcc_lo, vcc_lo, exec_lo
	s_delay_alu instid0(SALU_CYCLE_1)
	s_or_b32 s29, s29, vcc_lo
	s_branch .LBB2_96
.LBB2_101:                              ;   in Loop: Header=BB2_53 Depth=1
	s_or_b32 exec_lo, exec_lo, s25
	s_and_saveexec_b32 s25, s26
	s_delay_alu instid0(SALU_CYCLE_1)
	s_xor_b32 s25, exec_lo, s25
	s_cbranch_execz .LBB2_103
; %bb.102:                              ;   in Loop: Header=BB2_53 Depth=1
	ds_store_b32 v0, v87
	s_cbranch_execnz .LBB2_2887
.LBB2_103:                              ;   in Loop: Header=BB2_53 Depth=1
	s_or_b32 exec_lo, exec_lo, s24
	;;#ASMSTART
	s_wakeup
	;;#ASMEND
.LBB2_104:                              ;   in Loop: Header=BB2_53 Depth=1
	s_or_b32 exec_lo, exec_lo, s23
.LBB2_105:                              ;   in Loop: Header=BB2_53 Depth=1
	s_and_not1_saveexec_b32 s12, s12
	s_cbranch_execz .LBB2_107
; %bb.106:                              ;   in Loop: Header=BB2_53 Depth=1
	s_waitcnt lgkmcnt(0)
	s_waitcnt_vscnt null, 0x0
	buffer_gl1_inv
	buffer_gl0_inv
	s_barrier
.LBB2_107:                              ;   in Loop: Header=BB2_53 Depth=1
	s_or_b32 exec_lo, exec_lo, s12
.LBB2_108:                              ;   in Loop: Header=BB2_53 Depth=1
	s_delay_alu instid0(SALU_CYCLE_1)
	s_or_b32 exec_lo, exec_lo, s11
	s_cbranch_execnz .LBB2_2694
; %bb.109:                              ;   in Loop: Header=BB2_53 Depth=1
	ds_load_b32 v10, v0
	v_and_b32_e32 v11, 0x4000, v64
	s_delay_alu instid0(VALU_DEP_1) | instskip(SKIP_1) | instid1(SALU_CYCLE_1)
	v_cmp_ne_u32_e32 vcc_lo, 0, v11
	s_and_b32 s12, s20, vcc_lo
	s_and_saveexec_b32 s11, s12
	s_cbranch_execz .LBB2_131
; %bb.110:                              ;   in Loop: Header=BB2_53 Depth=1
	s_and_saveexec_b32 s12, s4
	s_delay_alu instid0(SALU_CYCLE_1)
	s_xor_b32 s12, exec_lo, s12
	s_cbranch_execz .LBB2_128
; %bb.111:                              ;   in Loop: Header=BB2_53 Depth=1
	s_and_saveexec_b32 s23, s5
	s_cbranch_execz .LBB2_127
; %bb.112:                              ;   in Loop: Header=BB2_53 Depth=1
	s_mov_b32 s25, exec_lo
	s_mov_b32 s24, exec_lo
	v_mbcnt_lo_u32_b32 v11, s25, 0
	s_waitcnt lgkmcnt(0)
	s_waitcnt_vscnt null, 0x0
	buffer_gl1_inv
	buffer_gl0_inv
	v_cmpx_eq_u32_e32 0, v11
	s_cbranch_execz .LBB2_114
; %bb.113:                              ;   in Loop: Header=BB2_53 Depth=1
	s_bcnt1_i32_b32 s25, s25
	s_delay_alu instid0(SALU_CYCLE_1)
	v_mov_b32_e32 v36, s25
	ds_add_u64 v0, v[36:37]
	s_cbranch_execnz .LBB2_2797
.LBB2_114:                              ;   in Loop: Header=BB2_53 Depth=1
	s_or_b32 exec_lo, exec_lo, s24
	s_cbranch_execnz .LBB2_2785
; %bb.115:                              ;   in Loop: Header=BB2_53 Depth=1
	ds_load_b64 v[11:12], v0
	v_add_co_u32 v28, vcc_lo, v28, v67
	v_add_co_ci_u32_e32 v29, vcc_lo, 0, v29, vcc_lo
	s_mov_b32 s24, exec_lo
	s_waitcnt lgkmcnt(0)
	s_delay_alu instid0(VALU_DEP_1)
	v_cmpx_lt_u64_e64 v[11:12], v[28:29]
	s_cbranch_execz .LBB2_126
; %bb.116:                              ;   in Loop: Header=BB2_53 Depth=1
	s_mov_b32 s25, 0
	s_mov_b32 s28, 0
                                        ; implicit-def: $sgpr26
                                        ; implicit-def: $sgpr27
	s_branch .LBB2_118
.LBB2_117:                              ;   in Loop: Header=BB2_118 Depth=2
	s_or_b32 exec_lo, exec_lo, vcc_hi
	s_delay_alu instid0(SALU_CYCLE_1) | instskip(NEXT) | instid1(SALU_CYCLE_1)
	s_and_b32 s29, exec_lo, vcc_lo
	s_or_b32 s25, s29, s25
	s_and_not1_b32 s26, s26, exec_lo
	s_and_b32 s29, s27, exec_lo
	s_delay_alu instid0(SALU_CYCLE_1)
	s_or_b32 s26, s26, s29
	s_and_not1_b32 exec_lo, exec_lo, s25
	s_cbranch_execz .LBB2_124
.LBB2_118:                              ;   Parent Loop BB2_53 Depth=1
                                        ; =>  This Inner Loop Header: Depth=2
	s_add_i32 s28, s28, 1
                                        ; implicit-def: $vcc_hi
	s_delay_alu instid0(SALU_CYCLE_1) | instskip(SKIP_1) | instid1(SALU_CYCLE_1)
	s_cmpk_lg_i32 s28, 0x2710
	s_cselect_b32 s29, -1, 0
	s_and_b32 vcc_lo, exec_lo, s29
	s_cbranch_vccz .LBB2_122
.LBB2_119:                              ;   in Loop: Header=BB2_118 Depth=2
	s_and_not1_b32 s27, s27, exec_lo
	s_and_b32 vcc_hi, vcc_hi, exec_lo
	s_mov_b32 vcc_lo, -1
	s_or_b32 s27, s27, vcc_hi
	s_and_saveexec_b32 vcc_hi, s29
	s_cbranch_execz .LBB2_117
; %bb.120:                              ;   in Loop: Header=BB2_118 Depth=2
	s_sleep 1
	s_cbranch_execnz .LBB2_2851
; %bb.121:                              ;   in Loop: Header=BB2_118 Depth=2
	ds_load_b64 v[11:12], v0
	s_and_not1_b32 s27, s27, exec_lo
	s_waitcnt lgkmcnt(0)
	v_cmp_ge_u64_e32 vcc_lo, v[11:12], v[28:29]
	s_or_not1_b32 vcc_lo, vcc_lo, exec_lo
	s_branch .LBB2_117
.LBB2_122:                              ;   in Loop: Header=BB2_118 Depth=2
	s_cbranch_execnz .LBB2_2859
; %bb.123:                              ;   in Loop: Header=BB2_118 Depth=2
	ds_load_b64 v[11:12], v0
	s_and_not1_b32 s29, s29, exec_lo
	s_mov_b32 s28, 0
	s_waitcnt lgkmcnt(0)
	flat_load_b32 v11, v[11:12] glc
	s_waitcnt vmcnt(0) lgkmcnt(0)
	buffer_gl1_inv
	buffer_gl0_inv
	v_cmp_eq_u32_e32 vcc_lo, 0, v11
	s_mov_b32 vcc_hi, -1
	s_and_b32 vcc_lo, vcc_lo, exec_lo
	s_delay_alu instid0(SALU_CYCLE_1)
	s_or_b32 s29, s29, vcc_lo
	s_branch .LBB2_119
.LBB2_124:                              ;   in Loop: Header=BB2_53 Depth=1
	s_or_b32 exec_lo, exec_lo, s25
	s_and_saveexec_b32 s25, s26
	s_delay_alu instid0(SALU_CYCLE_1)
	s_xor_b32 s25, exec_lo, s25
	s_cbranch_execz .LBB2_126
; %bb.125:                              ;   in Loop: Header=BB2_53 Depth=1
	ds_store_b32 v0, v87
	s_cbranch_execnz .LBB2_2897
.LBB2_126:                              ;   in Loop: Header=BB2_53 Depth=1
	s_or_b32 exec_lo, exec_lo, s24
	;;#ASMSTART
	s_wakeup
	;;#ASMEND
.LBB2_127:                              ;   in Loop: Header=BB2_53 Depth=1
	s_or_b32 exec_lo, exec_lo, s23
.LBB2_128:                              ;   in Loop: Header=BB2_53 Depth=1
	s_and_not1_saveexec_b32 s12, s12
	s_cbranch_execz .LBB2_130
; %bb.129:                              ;   in Loop: Header=BB2_53 Depth=1
	s_waitcnt lgkmcnt(0)
	s_waitcnt_vscnt null, 0x0
	buffer_gl1_inv
	buffer_gl0_inv
	s_barrier
.LBB2_130:                              ;   in Loop: Header=BB2_53 Depth=1
	s_or_b32 exec_lo, exec_lo, s12
.LBB2_131:                              ;   in Loop: Header=BB2_53 Depth=1
	s_delay_alu instid0(SALU_CYCLE_1)
	s_or_b32 exec_lo, exec_lo, s11
	s_cbranch_execnz .LBB2_2729
; %bb.132:                              ;   in Loop: Header=BB2_53 Depth=1
	ds_load_b64 v[11:12], v0
	s_waitcnt lgkmcnt(0)
	v_cmp_eq_u64_e32 vcc_lo, 0, v[11:12]
	s_or_b32 s11, vcc_lo, vcc_lo
	s_delay_alu instid0(SALU_CYCLE_1)
	s_and_b32 vcc_lo, exec_lo, s11
	s_mov_b32 s11, 0
	s_cbranch_vccnz .LBB2_1147
; %bb.133:                              ;   in Loop: Header=BB2_53 Depth=1
	s_mov_b32 s11, -1
	s_and_saveexec_b32 s12, s6
	s_cbranch_execz .LBB2_135
; %bb.134:                              ;   in Loop: Header=BB2_53 Depth=1
	ds_load_b32 v11, v0 offset:720
	s_waitcnt lgkmcnt(0)
	v_and_b32_e32 v11, 15, v11
	s_delay_alu instid0(VALU_DEP_1)
	v_cmp_eq_u32_e32 vcc_lo, 0, v11
	s_or_not1_b32 s11, vcc_lo, exec_lo
.LBB2_135:                              ;   in Loop: Header=BB2_53 Depth=1
	s_or_b32 exec_lo, exec_lo, s12
	s_and_saveexec_b32 s12, s7
	s_cbranch_execz .LBB2_137
; %bb.136:                              ;   in Loop: Header=BB2_53 Depth=1
	ds_load_b32 v11, v0 offset:784
	s_waitcnt lgkmcnt(0)
	v_and_b32_e32 v11, 15, v11
	s_delay_alu instid0(VALU_DEP_1) | instskip(SKIP_3) | instid1(SALU_CYCLE_1)
	v_cmp_eq_u32_e32 vcc_lo, 0, v11
	s_and_b32 s23, s11, vcc_lo
	s_and_not1_b32 s11, s11, exec_lo
	s_and_b32 s23, s23, exec_lo
	s_or_b32 s11, s11, s23
.LBB2_137:                              ;   in Loop: Header=BB2_53 Depth=1
	s_or_b32 exec_lo, exec_lo, s12
	v_cmp_eq_u32_e32 vcc_lo, 0, v10
	s_xor_b32 s11, s11, -1
	v_mov_b32_e32 v16, v0
	v_cndmask_b32_e64 v11, 0, 1, s11
	;;#ASMSTART
	;;#ASMEND
	v_cndmask_b32_e32 v36, 0, v49, vcc_lo
	s_delay_alu instid0(VALU_DEP_2) | instskip(SKIP_2) | instid1(VALU_DEP_3)
	v_cmp_ne_u32_e32 vcc_lo, 0, v11
	v_mov_b32_e32 v96, 0
	s_mov_b32 s23, -1
	v_mov_b32_e32 v97, v36
	s_cbranch_vccnz .LBB2_919
; %bb.138:                              ;   in Loop: Header=BB2_53 Depth=1
	v_and_b32_e32 v98, 0x1ff, v36
	v_lshrrev_b32_e32 v10, 9, v36
	v_sub_nc_u32_e32 v96, v36, v68
	s_mov_b32 s23, exec_lo
	s_delay_alu instid0(VALU_DEP_3) | instskip(NEXT) | instid1(VALU_DEP_3)
	v_cmp_lt_u32_e32 vcc_lo, 15, v98
	v_add_co_ci_u32_e64 v99, s11, v10, v80, vcc_lo
	s_delay_alu instid0(VALU_DEP_3)
	v_cmpx_lt_i32_e32 15, v96
	s_cbranch_execz .LBB2_527
; %bb.139:                              ;   in Loop: Header=BB2_53 Depth=1
	s_cbranch_execnz .LBB2_2819
; %bb.140:                              ;   in Loop: Header=BB2_53 Depth=1
	ds_load_b128 v[10:13], v0
	ds_load_b64 v[14:15], v0
	s_mov_b32 s24, 0
	s_waitcnt lgkmcnt(1)
	v_add_co_u32 v50, s11, v10, v68
	s_delay_alu instid0(VALU_DEP_1) | instskip(SKIP_1) | instid1(VALU_DEP_1)
	v_add_co_ci_u32_e64 v51, s11, v11, v71, s11
	v_add_co_u32 v52, s11, v12, v68
	v_add_co_ci_u32_e64 v53, s11, v13, v71, s11
	s_waitcnt lgkmcnt(0)
	v_add_co_u32 v54, s11, v14, v68
	s_delay_alu instid0(VALU_DEP_1)
	v_add_co_ci_u32_e64 v55, s11, v15, v71, s11
	s_branch .LBB2_144
.LBB2_141:                              ;   in Loop: Header=BB2_144 Depth=2
	s_or_b32 exec_lo, exec_lo, s11
	s_delay_alu instid0(VALU_DEP_1) | instskip(NEXT) | instid1(VALU_DEP_2)
	v_lshrrev_b32_e32 v116, 21, v116
	v_min_i32_e32 v117, 31, v17
	v_cmp_gt_i32_e64 s11, 32, v17
	v_lshrrev_b32_e32 v13, 24, v13
	s_delay_alu instid0(VALU_DEP_3) | instskip(NEXT) | instid1(VALU_DEP_3)
	v_lshlrev_b32_e32 v117, 2, v117
	v_cndmask_b32_e64 v116, 3, v116, s11
	s_delay_alu instid0(VALU_DEP_3) | instskip(NEXT) | instid1(VALU_DEP_3)
	v_and_b32_e32 v13, 0x80, v13
	v_and_b32_e32 v117, 0xfc, v117
	s_delay_alu instid0(VALU_DEP_3) | instskip(SKIP_1) | instid1(VALU_DEP_2)
	v_and_b32_e32 v118, 3, v116
	v_or_b32_e32 v17, v17, v116
	v_or3_b32 v13, v13, v117, v118
	s_delay_alu instid0(VALU_DEP_2) | instskip(NEXT) | instid1(VALU_DEP_2)
	v_cmp_ne_u32_e64 s11, 0, v17
	v_lshlrev_b32_e32 v13, 8, v13
	s_delay_alu instid0(VALU_DEP_1)
	v_cndmask_b32_e64 v17, 0, v13, s11
.LBB2_142:                              ;   in Loop: Header=BB2_144 Depth=2
	s_or_b32 exec_lo, exec_lo, s26
.LBB2_143:                              ;   in Loop: Header=BB2_144 Depth=2
	s_delay_alu instid0(SALU_CYCLE_1)
	s_or_b32 exec_lo, exec_lo, s25
	v_or_b32_e32 v11, v11, v103
	v_and_b32_e32 v13, 0xff, v101
	v_lshlrev_b32_e32 v100, 8, v100
	v_and_b32_e32 v101, 0xff, v113
	v_lshlrev_b32_e32 v103, 8, v112
	v_or_b32_e32 v17, v17, v115
	v_and_b32_e32 v14, 0xff, v14
	v_lshlrev_b32_e32 v10, 24, v10
	v_lshlrev_b32_e32 v11, 16, v11
	v_lshlrev_b32_e32 v13, 16, v13
	v_perm_b32 v97, v100, v97, 0xc0c0500
	v_lshlrev_b32_e32 v12, 24, v12
	v_lshlrev_b32_e32 v100, 16, v101
	v_perm_b32 v15, v103, v15, 0xc0c0500
	v_and_b32_e32 v16, 0xff, v16
	v_lshlrev_b32_e32 v17, 16, v17
	v_add_co_u32 v50, s11, v50, v81
	v_or3_b32 v11, v102, v14, v11
	v_or3_b32 v10, v10, v13, v97
	;; [unrolled: 1-line block ×4, first 2 shown]
	v_sub_nc_u32_e32 v96, v96, v69
	v_add_co_ci_u32_e64 v51, s11, v51, v82, s11
	v_add_co_u32 v52, s11, v52, v81
	s_delay_alu instid0(VALU_DEP_1) | instskip(SKIP_3) | instid1(VALU_DEP_1)
	v_add_co_ci_u32_e64 v53, s11, v53, v82, s11
	global_store_b128 v[54:55], v[10:13], off glc slc dlc
	v_cmp_gt_i32_e64 s11, 16, v96
	v_add_co_u32 v54, s12, v54, v81
	v_add_co_ci_u32_e64 v55, s12, v55, v82, s12
	v_sub_nc_u32_e32 v99, v99, v67
	s_delay_alu instid0(VALU_DEP_4) | instskip(NEXT) | instid1(SALU_CYCLE_1)
	s_or_b32 s24, s11, s24
	s_and_not1_b32 exec_lo, exec_lo, s24
	s_cbranch_execz .LBB2_526
.LBB2_144:                              ;   Parent Loop BB2_53 Depth=1
                                        ; =>  This Inner Loop Header: Depth=2
	global_load_b128 v[14:17], v[50:51], off slc dlc
	global_load_b128 v[10:13], v[52:53], off slc dlc
	s_mov_b32 s12, 0
	s_mov_b32 s26, exec_lo
                                        ; implicit-def: $sgpr25
	s_waitcnt vmcnt(1)
	v_and_b32_e32 v100, 0xff, v14
	s_delay_alu instid0(VALU_DEP_1)
	v_cmpx_lt_i16_e32 0x7f, v100
	s_xor_b32 s26, exec_lo, s26
	s_cbranch_execnz .LBB2_398
; %bb.145:                              ;   in Loop: Header=BB2_144 Depth=2
	s_or_saveexec_b32 s26, s26
	v_mov_b32_e32 v97, s25
	s_xor_b32 exec_lo, exec_lo, s26
	s_cbranch_execnz .LBB2_401
.LBB2_146:                              ;   in Loop: Header=BB2_144 Depth=2
	s_or_b32 exec_lo, exec_lo, s26
	s_and_saveexec_b32 s25, s12
	s_cbranch_execz .LBB2_148
.LBB2_147:                              ;   in Loop: Header=BB2_144 Depth=2
	v_and_b32_e32 v97, 3, v14
	v_bfe_u32 v102, v14, 2, 5
	v_lshlrev_b32_e32 v103, 24, v14
	s_delay_alu instid0(VALU_DEP_3) | instskip(NEXT) | instid1(VALU_DEP_3)
	v_clz_i32_u32_e32 v100, v97
	v_cmp_eq_u32_e64 s11, 0, v102
	s_delay_alu instid0(VALU_DEP_2) | instskip(NEXT) | instid1(VALU_DEP_1)
	v_min_u32_e32 v100, 32, v100
	v_subrev_nc_u32_e32 v101, 29, v100
	v_sub_nc_u32_e32 v100, 30, v100
	s_delay_alu instid0(VALU_DEP_2) | instskip(NEXT) | instid1(VALU_DEP_2)
	v_lshlrev_b32_e32 v101, v101, v14
	v_cndmask_b32_e64 v100, v102, v100, s11
	s_delay_alu instid0(VALU_DEP_2) | instskip(NEXT) | instid1(VALU_DEP_2)
	v_and_b32_e32 v101, 3, v101
	v_lshl_add_u32 v100, v100, 23, 0x37800000
	s_delay_alu instid0(VALU_DEP_2) | instskip(SKIP_1) | instid1(VALU_DEP_2)
	v_cndmask_b32_e64 v97, v97, v101, s11
	v_and_b32_e32 v101, 0x80000000, v103
	v_lshlrev_b32_e32 v97, 21, v97
	s_delay_alu instid0(VALU_DEP_1)
	v_or3_b32 v97, v101, v100, v97
.LBB2_148:                              ;   in Loop: Header=BB2_144 Depth=2
	s_or_b32 exec_lo, exec_lo, s25
	s_waitcnt vmcnt(0)
	v_and_b32_e32 v101, 0xff, v10
	s_mov_b32 s12, 0
	s_mov_b32 s26, exec_lo
                                        ; implicit-def: $sgpr25
	s_delay_alu instid0(VALU_DEP_1)
	v_cmpx_lt_i16_e32 0x7f, v101
	s_xor_b32 s26, exec_lo, s26
	s_cbranch_execnz .LBB2_402
; %bb.149:                              ;   in Loop: Header=BB2_144 Depth=2
	s_or_saveexec_b32 s26, s26
	v_mov_b32_e32 v100, s25
	s_xor_b32 exec_lo, exec_lo, s26
	s_cbranch_execnz .LBB2_405
.LBB2_150:                              ;   in Loop: Header=BB2_144 Depth=2
	s_or_b32 exec_lo, exec_lo, s26
	s_and_saveexec_b32 s25, s12
	s_cbranch_execz .LBB2_152
.LBB2_151:                              ;   in Loop: Header=BB2_144 Depth=2
	v_and_b32_e32 v100, 3, v10
	v_bfe_u32 v103, v10, 2, 5
	v_lshlrev_b32_e32 v112, 24, v10
	s_delay_alu instid0(VALU_DEP_3) | instskip(NEXT) | instid1(VALU_DEP_3)
	v_clz_i32_u32_e32 v101, v100
	v_cmp_eq_u32_e64 s11, 0, v103
	s_delay_alu instid0(VALU_DEP_2) | instskip(NEXT) | instid1(VALU_DEP_1)
	v_min_u32_e32 v101, 32, v101
	v_subrev_nc_u32_e32 v102, 29, v101
	v_sub_nc_u32_e32 v101, 30, v101
	s_delay_alu instid0(VALU_DEP_2) | instskip(NEXT) | instid1(VALU_DEP_2)
	v_lshlrev_b32_e32 v102, v102, v10
	v_cndmask_b32_e64 v101, v103, v101, s11
	s_delay_alu instid0(VALU_DEP_2) | instskip(NEXT) | instid1(VALU_DEP_2)
	v_and_b32_e32 v102, 3, v102
	v_lshl_add_u32 v101, v101, 23, 0x37800000
	s_delay_alu instid0(VALU_DEP_2) | instskip(SKIP_1) | instid1(VALU_DEP_2)
	v_cndmask_b32_e64 v100, v100, v102, s11
	v_and_b32_e32 v102, 0x80000000, v112
	v_lshlrev_b32_e32 v100, 21, v100
	s_delay_alu instid0(VALU_DEP_1)
	v_or3_b32 v100, v102, v101, v100
.LBB2_152:                              ;   in Loop: Header=BB2_144 Depth=2
	s_or_b32 exec_lo, exec_lo, s25
	s_delay_alu instid0(VALU_DEP_1) | instskip(NEXT) | instid1(VALU_DEP_1)
	v_mul_f32_e32 v100, v97, v100
	v_and_b32_e32 v97, 0x7f800000, v100
	s_delay_alu instid0(VALU_DEP_1) | instskip(SKIP_1) | instid1(VALU_DEP_2)
	v_cmp_ne_u32_e64 s11, 0x7f800000, v97
	v_mov_b32_e32 v97, 0x80
	s_and_saveexec_b32 s25, s11
	s_cbranch_execz .LBB2_160
; %bb.153:                              ;   in Loop: Header=BB2_144 Depth=2
	v_mov_b32_e32 v97, 0
	s_mov_b32 s26, exec_lo
	v_cmpx_ne_u32_e32 0, v100
	s_cbranch_execz .LBB2_159
; %bb.154:                              ;   in Loop: Header=BB2_144 Depth=2
	v_bfe_u32 v97, v100, 23, 8
	v_and_b32_e32 v101, 0x7fffff, v100
	s_delay_alu instid0(VALU_DEP_2) | instskip(SKIP_1) | instid1(VALU_DEP_3)
	v_sub_nc_u32_e32 v102, 0x70, v97
	v_cmp_gt_u32_e64 s11, 0x71, v97
	v_or_b32_e32 v103, 0x800000, v101
	s_delay_alu instid0(VALU_DEP_2) | instskip(SKIP_2) | instid1(VALU_DEP_2)
	v_cndmask_b32_e64 v102, 0, v102, s11
	v_cmp_eq_u32_e64 s11, 0, v97
	v_add_nc_u32_e32 v97, 0xffffff91, v97
	v_cndmask_b32_e64 v102, v102, 0x6f, s11
	v_cndmask_b32_e64 v101, v103, v101, s11
	s_delay_alu instid0(VALU_DEP_3) | instskip(NEXT) | instid1(VALU_DEP_3)
	v_cndmask_b32_e64 v97, v97, 0xffffff92, s11
	v_lshl_add_u32 v103, 0x200000, v102, -1
	s_delay_alu instid0(VALU_DEP_3) | instskip(SKIP_1) | instid1(VALU_DEP_4)
	v_lshrrev_b32_e32 v112, v102, v101
	v_lshlrev_b32_e64 v114, v102, 0x100000
	v_add_nc_u32_e32 v102, v102, v97
	s_delay_alu instid0(VALU_DEP_4) | instskip(NEXT) | instid1(VALU_DEP_4)
	v_and_b32_e32 v101, v103, v101
	v_bfe_u32 v113, v112, 21, 1
	s_delay_alu instid0(VALU_DEP_2) | instskip(NEXT) | instid1(VALU_DEP_2)
	v_cmp_eq_u32_e64 s12, v101, v114
	v_add_nc_u32_e32 v103, -1, v113
	s_delay_alu instid0(VALU_DEP_1) | instskip(SKIP_2) | instid1(VALU_DEP_2)
	v_cndmask_b32_e64 v101, 0, v103, s12
	v_lshrrev_b32_e32 v103, 23, v112
	s_mov_b32 s12, exec_lo
	v_add_nc_u32_e32 v101, v101, v112
	s_delay_alu instid0(VALU_DEP_2) | instskip(NEXT) | instid1(VALU_DEP_2)
	v_xor_b32_e32 v103, 1, v103
	v_and_b32_e32 v97, 0x1fffff, v101
	s_delay_alu instid0(VALU_DEP_1) | instskip(NEXT) | instid1(VALU_DEP_3)
	v_add_nc_u32_e32 v101, v97, v112
                                        ; implicit-def: $vgpr97
	v_cmpx_ne_u32_e64 v102, v103
	s_xor_b32 s12, exec_lo, s12
; %bb.155:                              ;   in Loop: Header=BB2_144 Depth=2
	s_delay_alu instid0(VALU_DEP_2) | instskip(SKIP_1) | instid1(VALU_DEP_2)
	v_cmp_lt_u32_e64 s11, 0xffffff, v101
	v_sub_nc_u32_e32 v97, v102, v103
	v_cndmask_b32_e64 v102, 0, 1, s11
	s_delay_alu instid0(VALU_DEP_2) | instskip(NEXT) | instid1(VALU_DEP_2)
	v_add_co_ci_u32_e64 v97, s11, 0, v97, s11
	v_lshrrev_b32_e32 v101, v102, v101
; %bb.156:                              ;   in Loop: Header=BB2_144 Depth=2
	s_and_not1_saveexec_b32 s11, s12
; %bb.157:                              ;   in Loop: Header=BB2_144 Depth=2
	s_delay_alu instid0(VALU_DEP_1)
	v_bfe_u32 v97, v101, 23, 1
; %bb.158:                              ;   in Loop: Header=BB2_144 Depth=2
	s_or_b32 exec_lo, exec_lo, s11
	v_lshrrev_b32_e32 v101, 21, v101
	s_delay_alu instid0(VALU_DEP_2) | instskip(SKIP_2) | instid1(VALU_DEP_3)
	v_cmp_gt_i32_e64 s11, 32, v97
	v_lshrrev_b32_e32 v100, 24, v100
	v_min_i32_e32 v102, 31, v97
	v_cndmask_b32_e64 v101, 3, v101, s11
	s_delay_alu instid0(VALU_DEP_3) | instskip(NEXT) | instid1(VALU_DEP_3)
	v_and_b32_e32 v100, 0x80, v100
	v_lshlrev_b32_e32 v102, 2, v102
	s_delay_alu instid0(VALU_DEP_3) | instskip(SKIP_1) | instid1(VALU_DEP_2)
	v_and_b32_e32 v103, 3, v101
	v_or_b32_e32 v97, v97, v101
	v_or3_b32 v100, v102, v100, v103
	s_delay_alu instid0(VALU_DEP_2) | instskip(NEXT) | instid1(VALU_DEP_1)
	v_cmp_ne_u32_e64 s11, 0, v97
	v_cndmask_b32_e64 v97, 0, v100, s11
.LBB2_159:                              ;   in Loop: Header=BB2_144 Depth=2
	s_or_b32 exec_lo, exec_lo, s26
.LBB2_160:                              ;   in Loop: Header=BB2_144 Depth=2
	s_delay_alu instid0(SALU_CYCLE_1) | instskip(SKIP_3) | instid1(VALU_DEP_1)
	s_or_b32 exec_lo, exec_lo, s25
	v_lshrrev_b16 v101, 8, v14
	s_mov_b32 s12, 0
	s_mov_b32 s26, exec_lo
                                        ; implicit-def: $sgpr25
	v_cmpx_lt_i16_e32 0x7f, v101
	s_xor_b32 s26, exec_lo, s26
	s_cbranch_execnz .LBB2_406
; %bb.161:                              ;   in Loop: Header=BB2_144 Depth=2
	s_or_saveexec_b32 s26, s26
	v_mov_b32_e32 v100, s25
	s_xor_b32 exec_lo, exec_lo, s26
	s_cbranch_execnz .LBB2_409
.LBB2_162:                              ;   in Loop: Header=BB2_144 Depth=2
	s_or_b32 exec_lo, exec_lo, s26
	s_and_saveexec_b32 s25, s12
	s_cbranch_execz .LBB2_164
.LBB2_163:                              ;   in Loop: Header=BB2_144 Depth=2
	v_and_b32_e32 v100, 0xffff, v101
	v_lshlrev_b32_e32 v101, 24, v101
	s_delay_alu instid0(VALU_DEP_2) | instskip(NEXT) | instid1(VALU_DEP_2)
	v_and_b32_e32 v102, 3, v100
	v_and_b32_e32 v101, 0x80000000, v101
	s_delay_alu instid0(VALU_DEP_2) | instskip(NEXT) | instid1(VALU_DEP_1)
	v_clz_i32_u32_e32 v103, v102
	v_min_u32_e32 v103, 32, v103
	s_delay_alu instid0(VALU_DEP_1) | instskip(SKIP_1) | instid1(VALU_DEP_2)
	v_subrev_nc_u32_e32 v112, 29, v103
	v_sub_nc_u32_e32 v103, 30, v103
	v_lshlrev_b32_e32 v112, v112, v100
	v_bfe_u32 v100, v100, 2, 5
	s_delay_alu instid0(VALU_DEP_2) | instskip(NEXT) | instid1(VALU_DEP_2)
	v_and_b32_e32 v112, 3, v112
	v_cmp_eq_u32_e64 s11, 0, v100
	s_delay_alu instid0(VALU_DEP_1) | instskip(NEXT) | instid1(VALU_DEP_3)
	v_cndmask_b32_e64 v100, v100, v103, s11
	v_cndmask_b32_e64 v102, v102, v112, s11
	s_delay_alu instid0(VALU_DEP_2) | instskip(NEXT) | instid1(VALU_DEP_2)
	v_lshl_add_u32 v100, v100, 23, 0x37800000
	v_lshlrev_b32_e32 v102, 21, v102
	s_delay_alu instid0(VALU_DEP_1)
	v_or3_b32 v100, v101, v100, v102
.LBB2_164:                              ;   in Loop: Header=BB2_144 Depth=2
	s_or_b32 exec_lo, exec_lo, s25
	v_lshrrev_b16 v101, 8, v10
	s_mov_b32 s12, 0
	s_mov_b32 s26, exec_lo
                                        ; implicit-def: $sgpr25
	s_delay_alu instid0(VALU_DEP_1)
	v_cmpx_lt_i16_e32 0x7f, v101
	s_xor_b32 s26, exec_lo, s26
	s_cbranch_execnz .LBB2_410
; %bb.165:                              ;   in Loop: Header=BB2_144 Depth=2
	s_or_saveexec_b32 s26, s26
	v_mov_b32_e32 v102, s25
	s_xor_b32 exec_lo, exec_lo, s26
	s_cbranch_execnz .LBB2_413
.LBB2_166:                              ;   in Loop: Header=BB2_144 Depth=2
	s_or_b32 exec_lo, exec_lo, s26
	s_and_saveexec_b32 s25, s12
	s_cbranch_execz .LBB2_168
.LBB2_167:                              ;   in Loop: Header=BB2_144 Depth=2
	v_and_b32_e32 v102, 0xffff, v101
	v_lshlrev_b32_e32 v101, 24, v101
	s_delay_alu instid0(VALU_DEP_2) | instskip(NEXT) | instid1(VALU_DEP_2)
	v_and_b32_e32 v103, 3, v102
	v_and_b32_e32 v101, 0x80000000, v101
	s_delay_alu instid0(VALU_DEP_2) | instskip(NEXT) | instid1(VALU_DEP_1)
	v_clz_i32_u32_e32 v112, v103
	v_min_u32_e32 v112, 32, v112
	s_delay_alu instid0(VALU_DEP_1) | instskip(SKIP_1) | instid1(VALU_DEP_2)
	v_subrev_nc_u32_e32 v113, 29, v112
	v_sub_nc_u32_e32 v112, 30, v112
	v_lshlrev_b32_e32 v113, v113, v102
	v_bfe_u32 v102, v102, 2, 5
	s_delay_alu instid0(VALU_DEP_2) | instskip(NEXT) | instid1(VALU_DEP_2)
	v_and_b32_e32 v113, 3, v113
	v_cmp_eq_u32_e64 s11, 0, v102
	s_delay_alu instid0(VALU_DEP_1) | instskip(NEXT) | instid1(VALU_DEP_3)
	v_cndmask_b32_e64 v102, v102, v112, s11
	v_cndmask_b32_e64 v103, v103, v113, s11
	s_delay_alu instid0(VALU_DEP_2) | instskip(NEXT) | instid1(VALU_DEP_2)
	v_lshl_add_u32 v102, v102, 23, 0x37800000
	v_lshlrev_b32_e32 v103, 21, v103
	s_delay_alu instid0(VALU_DEP_1)
	v_or3_b32 v102, v101, v102, v103
.LBB2_168:                              ;   in Loop: Header=BB2_144 Depth=2
	s_or_b32 exec_lo, exec_lo, s25
	s_delay_alu instid0(VALU_DEP_1) | instskip(NEXT) | instid1(VALU_DEP_1)
	v_mul_f32_e32 v101, v100, v102
	v_and_b32_e32 v100, 0x7f800000, v101
	s_delay_alu instid0(VALU_DEP_1) | instskip(SKIP_1) | instid1(VALU_DEP_2)
	v_cmp_ne_u32_e64 s11, 0x7f800000, v100
	v_mov_b32_e32 v100, 0x80
	s_and_saveexec_b32 s25, s11
	s_cbranch_execz .LBB2_176
; %bb.169:                              ;   in Loop: Header=BB2_144 Depth=2
	v_mov_b32_e32 v100, 0
	s_mov_b32 s26, exec_lo
	v_cmpx_ne_u32_e32 0, v101
	s_cbranch_execz .LBB2_175
; %bb.170:                              ;   in Loop: Header=BB2_144 Depth=2
	v_bfe_u32 v100, v101, 23, 8
	v_and_b32_e32 v102, 0x7fffff, v101
	s_delay_alu instid0(VALU_DEP_2) | instskip(SKIP_1) | instid1(VALU_DEP_3)
	v_sub_nc_u32_e32 v103, 0x70, v100
	v_cmp_gt_u32_e64 s11, 0x71, v100
	v_or_b32_e32 v112, 0x800000, v102
	s_delay_alu instid0(VALU_DEP_2) | instskip(SKIP_2) | instid1(VALU_DEP_2)
	v_cndmask_b32_e64 v103, 0, v103, s11
	v_cmp_eq_u32_e64 s11, 0, v100
	v_add_nc_u32_e32 v100, 0xffffff91, v100
	v_cndmask_b32_e64 v103, v103, 0x6f, s11
	v_cndmask_b32_e64 v102, v112, v102, s11
	s_delay_alu instid0(VALU_DEP_3) | instskip(NEXT) | instid1(VALU_DEP_3)
	v_cndmask_b32_e64 v100, v100, 0xffffff92, s11
	v_lshl_add_u32 v112, 0x200000, v103, -1
	s_delay_alu instid0(VALU_DEP_3) | instskip(SKIP_1) | instid1(VALU_DEP_4)
	v_lshrrev_b32_e32 v113, v103, v102
	v_lshlrev_b32_e64 v115, v103, 0x100000
	v_add_nc_u32_e32 v103, v103, v100
	s_delay_alu instid0(VALU_DEP_4) | instskip(NEXT) | instid1(VALU_DEP_4)
	v_and_b32_e32 v102, v112, v102
	v_bfe_u32 v114, v113, 21, 1
	s_delay_alu instid0(VALU_DEP_2) | instskip(NEXT) | instid1(VALU_DEP_2)
	v_cmp_eq_u32_e64 s12, v102, v115
	v_add_nc_u32_e32 v112, -1, v114
	s_delay_alu instid0(VALU_DEP_1) | instskip(SKIP_2) | instid1(VALU_DEP_2)
	v_cndmask_b32_e64 v102, 0, v112, s12
	v_lshrrev_b32_e32 v112, 23, v113
	s_mov_b32 s12, exec_lo
	v_add_nc_u32_e32 v102, v102, v113
	s_delay_alu instid0(VALU_DEP_2) | instskip(NEXT) | instid1(VALU_DEP_2)
	v_xor_b32_e32 v112, 1, v112
	v_and_b32_e32 v100, 0x1fffff, v102
	s_delay_alu instid0(VALU_DEP_1) | instskip(NEXT) | instid1(VALU_DEP_3)
	v_add_nc_u32_e32 v102, v100, v113
                                        ; implicit-def: $vgpr100
	v_cmpx_ne_u32_e64 v103, v112
	s_xor_b32 s12, exec_lo, s12
; %bb.171:                              ;   in Loop: Header=BB2_144 Depth=2
	s_delay_alu instid0(VALU_DEP_2) | instskip(SKIP_1) | instid1(VALU_DEP_2)
	v_cmp_lt_u32_e64 s11, 0xffffff, v102
	v_sub_nc_u32_e32 v100, v103, v112
	v_cndmask_b32_e64 v103, 0, 1, s11
	s_delay_alu instid0(VALU_DEP_2) | instskip(NEXT) | instid1(VALU_DEP_2)
	v_add_co_ci_u32_e64 v100, s11, 0, v100, s11
	v_lshrrev_b32_e32 v102, v103, v102
; %bb.172:                              ;   in Loop: Header=BB2_144 Depth=2
	s_and_not1_saveexec_b32 s11, s12
; %bb.173:                              ;   in Loop: Header=BB2_144 Depth=2
	s_delay_alu instid0(VALU_DEP_1)
	v_bfe_u32 v100, v102, 23, 1
; %bb.174:                              ;   in Loop: Header=BB2_144 Depth=2
	s_or_b32 exec_lo, exec_lo, s11
	v_lshrrev_b32_e32 v102, 21, v102
	s_delay_alu instid0(VALU_DEP_2) | instskip(SKIP_2) | instid1(VALU_DEP_3)
	v_cmp_gt_i32_e64 s11, 32, v100
	v_lshrrev_b32_e32 v101, 24, v101
	v_min_i32_e32 v103, 31, v100
	v_cndmask_b32_e64 v102, 3, v102, s11
	s_delay_alu instid0(VALU_DEP_3) | instskip(NEXT) | instid1(VALU_DEP_3)
	v_and_b32_e32 v101, 0x80, v101
	v_lshlrev_b32_e32 v103, 2, v103
	s_delay_alu instid0(VALU_DEP_3) | instskip(SKIP_1) | instid1(VALU_DEP_2)
	v_and_b32_e32 v112, 3, v102
	v_or_b32_e32 v100, v100, v102
	v_or3_b32 v101, v103, v101, v112
	s_delay_alu instid0(VALU_DEP_2) | instskip(NEXT) | instid1(VALU_DEP_1)
	v_cmp_ne_u32_e64 s11, 0, v100
	v_cndmask_b32_e64 v100, 0, v101, s11
.LBB2_175:                              ;   in Loop: Header=BB2_144 Depth=2
	s_or_b32 exec_lo, exec_lo, s26
.LBB2_176:                              ;   in Loop: Header=BB2_144 Depth=2
	s_delay_alu instid0(SALU_CYCLE_1) | instskip(SKIP_3) | instid1(VALU_DEP_1)
	s_or_b32 exec_lo, exec_lo, s25
	v_lshrrev_b32_e32 v102, 16, v14
	s_mov_b32 s12, 0
	s_mov_b32 s26, exec_lo
                                        ; implicit-def: $sgpr25
	v_and_b32_e32 v103, 0xff, v102
	s_delay_alu instid0(VALU_DEP_1)
	v_cmpx_lt_i16_e32 0x7f, v103
	s_xor_b32 s26, exec_lo, s26
	s_cbranch_execnz .LBB2_414
; %bb.177:                              ;   in Loop: Header=BB2_144 Depth=2
	s_or_saveexec_b32 s26, s26
	v_mov_b32_e32 v101, s25
	s_xor_b32 exec_lo, exec_lo, s26
	s_cbranch_execnz .LBB2_417
.LBB2_178:                              ;   in Loop: Header=BB2_144 Depth=2
	s_or_b32 exec_lo, exec_lo, s26
	s_and_saveexec_b32 s25, s12
	s_cbranch_execz .LBB2_180
.LBB2_179:                              ;   in Loop: Header=BB2_144 Depth=2
	v_bfe_u32 v101, v14, 16, 2
	v_lshlrev_b32_e32 v113, 8, v14
	s_delay_alu instid0(VALU_DEP_2) | instskip(NEXT) | instid1(VALU_DEP_1)
	v_clz_i32_u32_e32 v103, v101
	v_min_u32_e32 v103, 32, v103
	s_delay_alu instid0(VALU_DEP_1) | instskip(SKIP_1) | instid1(VALU_DEP_2)
	v_subrev_nc_u32_e32 v112, 29, v103
	v_sub_nc_u32_e32 v103, 30, v103
	v_lshlrev_b32_e32 v102, v112, v102
	v_bfe_u32 v112, v14, 18, 5
	s_delay_alu instid0(VALU_DEP_2) | instskip(NEXT) | instid1(VALU_DEP_2)
	v_and_b32_e32 v102, 3, v102
	v_cmp_eq_u32_e64 s11, 0, v112
	s_delay_alu instid0(VALU_DEP_1) | instskip(NEXT) | instid1(VALU_DEP_3)
	v_cndmask_b32_e64 v103, v112, v103, s11
	v_cndmask_b32_e64 v101, v101, v102, s11
	v_and_b32_e32 v102, 0x80000000, v113
	s_delay_alu instid0(VALU_DEP_3) | instskip(NEXT) | instid1(VALU_DEP_3)
	v_lshl_add_u32 v103, v103, 23, 0x37800000
	v_lshlrev_b32_e32 v101, 21, v101
	s_delay_alu instid0(VALU_DEP_1)
	v_or3_b32 v101, v102, v103, v101
.LBB2_180:                              ;   in Loop: Header=BB2_144 Depth=2
	s_or_b32 exec_lo, exec_lo, s25
	v_lshrrev_b32_e32 v102, 16, v10
	s_mov_b32 s12, 0
	s_mov_b32 s26, exec_lo
                                        ; implicit-def: $sgpr25
	s_delay_alu instid0(VALU_DEP_1) | instskip(NEXT) | instid1(VALU_DEP_1)
	v_and_b32_e32 v112, 0xff, v102
	v_cmpx_lt_i16_e32 0x7f, v112
	s_xor_b32 s26, exec_lo, s26
	s_cbranch_execnz .LBB2_418
; %bb.181:                              ;   in Loop: Header=BB2_144 Depth=2
	s_or_saveexec_b32 s26, s26
	v_mov_b32_e32 v103, s25
	s_xor_b32 exec_lo, exec_lo, s26
	s_cbranch_execnz .LBB2_421
.LBB2_182:                              ;   in Loop: Header=BB2_144 Depth=2
	s_or_b32 exec_lo, exec_lo, s26
	s_and_saveexec_b32 s25, s12
	s_cbranch_execz .LBB2_184
.LBB2_183:                              ;   in Loop: Header=BB2_144 Depth=2
	v_bfe_u32 v103, v10, 16, 2
	v_lshlrev_b32_e32 v114, 8, v10
	s_delay_alu instid0(VALU_DEP_2) | instskip(NEXT) | instid1(VALU_DEP_1)
	v_clz_i32_u32_e32 v112, v103
	v_min_u32_e32 v112, 32, v112
	s_delay_alu instid0(VALU_DEP_1) | instskip(SKIP_1) | instid1(VALU_DEP_2)
	v_subrev_nc_u32_e32 v113, 29, v112
	v_sub_nc_u32_e32 v112, 30, v112
	v_lshlrev_b32_e32 v102, v113, v102
	v_bfe_u32 v113, v10, 18, 5
	s_delay_alu instid0(VALU_DEP_2) | instskip(NEXT) | instid1(VALU_DEP_2)
	v_and_b32_e32 v102, 3, v102
	v_cmp_eq_u32_e64 s11, 0, v113
	s_delay_alu instid0(VALU_DEP_1) | instskip(NEXT) | instid1(VALU_DEP_3)
	v_cndmask_b32_e64 v112, v113, v112, s11
	v_cndmask_b32_e64 v102, v103, v102, s11
	v_and_b32_e32 v103, 0x80000000, v114
	s_delay_alu instid0(VALU_DEP_3) | instskip(NEXT) | instid1(VALU_DEP_3)
	v_lshl_add_u32 v112, v112, 23, 0x37800000
	v_lshlrev_b32_e32 v102, 21, v102
	s_delay_alu instid0(VALU_DEP_1)
	v_or3_b32 v103, v103, v112, v102
.LBB2_184:                              ;   in Loop: Header=BB2_144 Depth=2
	s_or_b32 exec_lo, exec_lo, s25
	s_delay_alu instid0(VALU_DEP_1) | instskip(NEXT) | instid1(VALU_DEP_1)
	v_mul_f32_e32 v102, v101, v103
	v_and_b32_e32 v101, 0x7f800000, v102
	s_delay_alu instid0(VALU_DEP_1) | instskip(SKIP_1) | instid1(VALU_DEP_2)
	v_cmp_ne_u32_e64 s11, 0x7f800000, v101
	v_mov_b32_e32 v101, 0x80
	s_and_saveexec_b32 s25, s11
	s_cbranch_execz .LBB2_192
; %bb.185:                              ;   in Loop: Header=BB2_144 Depth=2
	v_mov_b32_e32 v101, 0
	s_mov_b32 s26, exec_lo
	v_cmpx_ne_u32_e32 0, v102
	s_cbranch_execz .LBB2_191
; %bb.186:                              ;   in Loop: Header=BB2_144 Depth=2
	v_bfe_u32 v101, v102, 23, 8
	v_and_b32_e32 v103, 0x7fffff, v102
	s_delay_alu instid0(VALU_DEP_2) | instskip(SKIP_1) | instid1(VALU_DEP_3)
	v_sub_nc_u32_e32 v112, 0x70, v101
	v_cmp_gt_u32_e64 s11, 0x71, v101
	v_or_b32_e32 v113, 0x800000, v103
	s_delay_alu instid0(VALU_DEP_2) | instskip(SKIP_2) | instid1(VALU_DEP_2)
	v_cndmask_b32_e64 v112, 0, v112, s11
	v_cmp_eq_u32_e64 s11, 0, v101
	v_add_nc_u32_e32 v101, 0xffffff91, v101
	v_cndmask_b32_e64 v112, v112, 0x6f, s11
	v_cndmask_b32_e64 v103, v113, v103, s11
	s_delay_alu instid0(VALU_DEP_3) | instskip(NEXT) | instid1(VALU_DEP_3)
	v_cndmask_b32_e64 v101, v101, 0xffffff92, s11
	v_lshl_add_u32 v113, 0x200000, v112, -1
	s_delay_alu instid0(VALU_DEP_3) | instskip(SKIP_1) | instid1(VALU_DEP_4)
	v_lshrrev_b32_e32 v114, v112, v103
	v_lshlrev_b32_e64 v116, v112, 0x100000
	v_add_nc_u32_e32 v112, v112, v101
	s_delay_alu instid0(VALU_DEP_4) | instskip(NEXT) | instid1(VALU_DEP_4)
	v_and_b32_e32 v103, v113, v103
	v_bfe_u32 v115, v114, 21, 1
	s_delay_alu instid0(VALU_DEP_2) | instskip(NEXT) | instid1(VALU_DEP_2)
	v_cmp_eq_u32_e64 s12, v103, v116
	v_add_nc_u32_e32 v113, -1, v115
	s_delay_alu instid0(VALU_DEP_1) | instskip(SKIP_2) | instid1(VALU_DEP_2)
	v_cndmask_b32_e64 v103, 0, v113, s12
	v_lshrrev_b32_e32 v113, 23, v114
	s_mov_b32 s12, exec_lo
	v_add_nc_u32_e32 v103, v103, v114
	s_delay_alu instid0(VALU_DEP_2) | instskip(NEXT) | instid1(VALU_DEP_2)
	v_xor_b32_e32 v113, 1, v113
	v_and_b32_e32 v101, 0x1fffff, v103
	s_delay_alu instid0(VALU_DEP_1) | instskip(NEXT) | instid1(VALU_DEP_3)
	v_add_nc_u32_e32 v103, v101, v114
                                        ; implicit-def: $vgpr101
	v_cmpx_ne_u32_e64 v112, v113
	s_xor_b32 s12, exec_lo, s12
; %bb.187:                              ;   in Loop: Header=BB2_144 Depth=2
	s_delay_alu instid0(VALU_DEP_2) | instskip(SKIP_1) | instid1(VALU_DEP_2)
	v_cmp_lt_u32_e64 s11, 0xffffff, v103
	v_sub_nc_u32_e32 v101, v112, v113
	v_cndmask_b32_e64 v112, 0, 1, s11
	s_delay_alu instid0(VALU_DEP_2) | instskip(NEXT) | instid1(VALU_DEP_2)
	v_add_co_ci_u32_e64 v101, s11, 0, v101, s11
	v_lshrrev_b32_e32 v103, v112, v103
; %bb.188:                              ;   in Loop: Header=BB2_144 Depth=2
	s_and_not1_saveexec_b32 s11, s12
; %bb.189:                              ;   in Loop: Header=BB2_144 Depth=2
	s_delay_alu instid0(VALU_DEP_1)
	v_bfe_u32 v101, v103, 23, 1
; %bb.190:                              ;   in Loop: Header=BB2_144 Depth=2
	s_or_b32 exec_lo, exec_lo, s11
	v_lshrrev_b32_e32 v103, 21, v103
	s_delay_alu instid0(VALU_DEP_2) | instskip(SKIP_2) | instid1(VALU_DEP_3)
	v_cmp_gt_i32_e64 s11, 32, v101
	v_lshrrev_b32_e32 v102, 24, v102
	v_min_i32_e32 v112, 31, v101
	v_cndmask_b32_e64 v103, 3, v103, s11
	s_delay_alu instid0(VALU_DEP_3) | instskip(NEXT) | instid1(VALU_DEP_3)
	v_and_b32_e32 v102, 0x80, v102
	v_lshlrev_b32_e32 v112, 2, v112
	s_delay_alu instid0(VALU_DEP_3) | instskip(SKIP_1) | instid1(VALU_DEP_2)
	v_and_b32_e32 v113, 3, v103
	v_or_b32_e32 v101, v101, v103
	v_or3_b32 v102, v112, v102, v113
	s_delay_alu instid0(VALU_DEP_2) | instskip(NEXT) | instid1(VALU_DEP_1)
	v_cmp_ne_u32_e64 s11, 0, v101
	v_cndmask_b32_e64 v101, 0, v102, s11
.LBB2_191:                              ;   in Loop: Header=BB2_144 Depth=2
	s_or_b32 exec_lo, exec_lo, s26
.LBB2_192:                              ;   in Loop: Header=BB2_144 Depth=2
	s_delay_alu instid0(SALU_CYCLE_1) | instskip(SKIP_3) | instid1(VALU_DEP_1)
	s_or_b32 exec_lo, exec_lo, s25
	v_lshrrev_b32_e32 v103, 24, v14
	s_mov_b32 s12, 0
	s_mov_b32 s26, exec_lo
                                        ; implicit-def: $sgpr25
	v_cmpx_lt_i16_e32 0x7f, v103
	s_xor_b32 s26, exec_lo, s26
	s_cbranch_execnz .LBB2_422
; %bb.193:                              ;   in Loop: Header=BB2_144 Depth=2
	s_or_saveexec_b32 s26, s26
	v_mov_b32_e32 v102, s25
	s_xor_b32 exec_lo, exec_lo, s26
	s_cbranch_execnz .LBB2_425
.LBB2_194:                              ;   in Loop: Header=BB2_144 Depth=2
	s_or_b32 exec_lo, exec_lo, s26
	s_and_saveexec_b32 s25, s12
	s_cbranch_execz .LBB2_196
.LBB2_195:                              ;   in Loop: Header=BB2_144 Depth=2
	v_bfe_u32 v102, v14, 24, 2
	s_delay_alu instid0(VALU_DEP_1) | instskip(NEXT) | instid1(VALU_DEP_1)
	v_clz_i32_u32_e32 v112, v102
	v_min_u32_e32 v112, 32, v112
	s_delay_alu instid0(VALU_DEP_1) | instskip(SKIP_1) | instid1(VALU_DEP_2)
	v_subrev_nc_u32_e32 v113, 29, v112
	v_sub_nc_u32_e32 v112, 30, v112
	v_lshlrev_b32_e32 v103, v113, v103
	v_bfe_u32 v113, v14, 26, 5
	v_and_b32_e32 v14, 0x80000000, v14
	s_delay_alu instid0(VALU_DEP_3) | instskip(NEXT) | instid1(VALU_DEP_3)
	v_and_b32_e32 v103, 3, v103
	v_cmp_eq_u32_e64 s11, 0, v113
	s_delay_alu instid0(VALU_DEP_1) | instskip(NEXT) | instid1(VALU_DEP_3)
	v_cndmask_b32_e64 v112, v113, v112, s11
	v_cndmask_b32_e64 v102, v102, v103, s11
	s_delay_alu instid0(VALU_DEP_2) | instskip(NEXT) | instid1(VALU_DEP_2)
	v_lshl_add_u32 v103, v112, 23, 0x37800000
	v_lshlrev_b32_e32 v102, 21, v102
	s_delay_alu instid0(VALU_DEP_1)
	v_or3_b32 v102, v14, v103, v102
.LBB2_196:                              ;   in Loop: Header=BB2_144 Depth=2
	s_or_b32 exec_lo, exec_lo, s25
	v_lshrrev_b32_e32 v14, 24, v10
	s_mov_b32 s12, 0
	s_mov_b32 s26, exec_lo
                                        ; implicit-def: $sgpr25
	s_delay_alu instid0(VALU_DEP_1)
	v_cmpx_lt_i16_e32 0x7f, v14
	s_xor_b32 s26, exec_lo, s26
	s_cbranch_execnz .LBB2_426
; %bb.197:                              ;   in Loop: Header=BB2_144 Depth=2
	s_or_saveexec_b32 s26, s26
	v_mov_b32_e32 v103, s25
	s_xor_b32 exec_lo, exec_lo, s26
	s_cbranch_execnz .LBB2_429
.LBB2_198:                              ;   in Loop: Header=BB2_144 Depth=2
	s_or_b32 exec_lo, exec_lo, s26
	s_and_saveexec_b32 s25, s12
	s_cbranch_execz .LBB2_200
.LBB2_199:                              ;   in Loop: Header=BB2_144 Depth=2
	v_bfe_u32 v103, v10, 24, 2
	s_delay_alu instid0(VALU_DEP_1) | instskip(NEXT) | instid1(VALU_DEP_1)
	v_clz_i32_u32_e32 v112, v103
	v_min_u32_e32 v112, 32, v112
	s_delay_alu instid0(VALU_DEP_1) | instskip(SKIP_1) | instid1(VALU_DEP_2)
	v_subrev_nc_u32_e32 v113, 29, v112
	v_sub_nc_u32_e32 v112, 30, v112
	v_lshlrev_b32_e32 v14, v113, v14
	v_bfe_u32 v113, v10, 26, 5
	v_and_b32_e32 v10, 0x80000000, v10
	s_delay_alu instid0(VALU_DEP_3) | instskip(NEXT) | instid1(VALU_DEP_3)
	v_and_b32_e32 v14, 3, v14
	v_cmp_eq_u32_e64 s11, 0, v113
	s_delay_alu instid0(VALU_DEP_1) | instskip(NEXT) | instid1(VALU_DEP_3)
	v_cndmask_b32_e64 v112, v113, v112, s11
	v_cndmask_b32_e64 v14, v103, v14, s11
	s_delay_alu instid0(VALU_DEP_2) | instskip(NEXT) | instid1(VALU_DEP_2)
	v_lshl_add_u32 v103, v112, 23, 0x37800000
	v_lshlrev_b32_e32 v14, 21, v14
	s_delay_alu instid0(VALU_DEP_1)
	v_or3_b32 v103, v10, v103, v14
.LBB2_200:                              ;   in Loop: Header=BB2_144 Depth=2
	s_or_b32 exec_lo, exec_lo, s25
	s_delay_alu instid0(VALU_DEP_1) | instskip(NEXT) | instid1(VALU_DEP_1)
	v_mul_f32_e32 v14, v102, v103
	v_and_b32_e32 v10, 0x7f800000, v14
	s_delay_alu instid0(VALU_DEP_1) | instskip(SKIP_1) | instid1(VALU_DEP_2)
	v_cmp_ne_u32_e64 s11, 0x7f800000, v10
	v_mov_b32_e32 v10, 0x80
	s_and_saveexec_b32 s25, s11
	s_cbranch_execz .LBB2_208
; %bb.201:                              ;   in Loop: Header=BB2_144 Depth=2
	v_mov_b32_e32 v10, 0
	s_mov_b32 s26, exec_lo
	v_cmpx_ne_u32_e32 0, v14
	s_cbranch_execz .LBB2_207
; %bb.202:                              ;   in Loop: Header=BB2_144 Depth=2
	v_bfe_u32 v10, v14, 23, 8
	v_and_b32_e32 v102, 0x7fffff, v14
	s_delay_alu instid0(VALU_DEP_2) | instskip(SKIP_1) | instid1(VALU_DEP_3)
	v_sub_nc_u32_e32 v103, 0x70, v10
	v_cmp_gt_u32_e64 s11, 0x71, v10
	v_or_b32_e32 v112, 0x800000, v102
	s_delay_alu instid0(VALU_DEP_2) | instskip(SKIP_2) | instid1(VALU_DEP_2)
	v_cndmask_b32_e64 v103, 0, v103, s11
	v_cmp_eq_u32_e64 s11, 0, v10
	v_add_nc_u32_e32 v10, 0xffffff91, v10
	v_cndmask_b32_e64 v103, v103, 0x6f, s11
	v_cndmask_b32_e64 v102, v112, v102, s11
	s_delay_alu instid0(VALU_DEP_3) | instskip(NEXT) | instid1(VALU_DEP_3)
	v_cndmask_b32_e64 v10, v10, 0xffffff92, s11
	v_lshl_add_u32 v112, 0x200000, v103, -1
	s_delay_alu instid0(VALU_DEP_3) | instskip(SKIP_1) | instid1(VALU_DEP_4)
	v_lshrrev_b32_e32 v113, v103, v102
	v_lshlrev_b32_e64 v115, v103, 0x100000
	v_add_nc_u32_e32 v103, v103, v10
	s_delay_alu instid0(VALU_DEP_4) | instskip(NEXT) | instid1(VALU_DEP_4)
	v_and_b32_e32 v102, v112, v102
	v_bfe_u32 v114, v113, 21, 1
	s_delay_alu instid0(VALU_DEP_2) | instskip(NEXT) | instid1(VALU_DEP_2)
	v_cmp_eq_u32_e64 s12, v102, v115
	v_add_nc_u32_e32 v112, -1, v114
	s_delay_alu instid0(VALU_DEP_1) | instskip(SKIP_2) | instid1(VALU_DEP_2)
	v_cndmask_b32_e64 v102, 0, v112, s12
	v_lshrrev_b32_e32 v112, 23, v113
	s_mov_b32 s12, exec_lo
	v_add_nc_u32_e32 v102, v102, v113
	s_delay_alu instid0(VALU_DEP_2) | instskip(NEXT) | instid1(VALU_DEP_2)
	v_xor_b32_e32 v112, 1, v112
	v_and_b32_e32 v10, 0x1fffff, v102
	s_delay_alu instid0(VALU_DEP_1) | instskip(NEXT) | instid1(VALU_DEP_3)
	v_add_nc_u32_e32 v102, v10, v113
                                        ; implicit-def: $vgpr10
	v_cmpx_ne_u32_e64 v103, v112
	s_xor_b32 s12, exec_lo, s12
; %bb.203:                              ;   in Loop: Header=BB2_144 Depth=2
	s_delay_alu instid0(VALU_DEP_2) | instskip(SKIP_1) | instid1(VALU_DEP_2)
	v_cmp_lt_u32_e64 s11, 0xffffff, v102
	v_sub_nc_u32_e32 v10, v103, v112
	v_cndmask_b32_e64 v103, 0, 1, s11
	s_delay_alu instid0(VALU_DEP_2) | instskip(NEXT) | instid1(VALU_DEP_2)
	v_add_co_ci_u32_e64 v10, s11, 0, v10, s11
	v_lshrrev_b32_e32 v102, v103, v102
; %bb.204:                              ;   in Loop: Header=BB2_144 Depth=2
	s_and_not1_saveexec_b32 s11, s12
; %bb.205:                              ;   in Loop: Header=BB2_144 Depth=2
	s_delay_alu instid0(VALU_DEP_1)
	v_bfe_u32 v10, v102, 23, 1
; %bb.206:                              ;   in Loop: Header=BB2_144 Depth=2
	s_or_b32 exec_lo, exec_lo, s11
	v_lshrrev_b32_e32 v102, 21, v102
	s_delay_alu instid0(VALU_DEP_2) | instskip(SKIP_2) | instid1(VALU_DEP_3)
	v_cmp_gt_i32_e64 s11, 32, v10
	v_lshrrev_b32_e32 v14, 24, v14
	v_min_i32_e32 v103, 31, v10
	v_cndmask_b32_e64 v102, 3, v102, s11
	s_delay_alu instid0(VALU_DEP_3) | instskip(NEXT) | instid1(VALU_DEP_3)
	v_and_b32_e32 v14, 0x80, v14
	v_lshlrev_b32_e32 v103, 2, v103
	s_delay_alu instid0(VALU_DEP_3) | instskip(SKIP_1) | instid1(VALU_DEP_2)
	v_and_b32_e32 v112, 3, v102
	v_or_b32_e32 v10, v10, v102
	v_or3_b32 v14, v103, v14, v112
	s_delay_alu instid0(VALU_DEP_2) | instskip(NEXT) | instid1(VALU_DEP_1)
	v_cmp_ne_u32_e64 s11, 0, v10
	v_cndmask_b32_e64 v10, 0, v14, s11
.LBB2_207:                              ;   in Loop: Header=BB2_144 Depth=2
	s_or_b32 exec_lo, exec_lo, s26
.LBB2_208:                              ;   in Loop: Header=BB2_144 Depth=2
	s_delay_alu instid0(SALU_CYCLE_1) | instskip(SKIP_3) | instid1(VALU_DEP_1)
	s_or_b32 exec_lo, exec_lo, s25
	v_and_b32_e32 v102, 0xff, v15
	s_mov_b32 s12, 0
	s_mov_b32 s26, exec_lo
                                        ; implicit-def: $sgpr25
	v_cmpx_lt_i16_e32 0x7f, v102
	s_xor_b32 s26, exec_lo, s26
	s_cbranch_execnz .LBB2_430
; %bb.209:                              ;   in Loop: Header=BB2_144 Depth=2
	s_or_saveexec_b32 s26, s26
	v_mov_b32_e32 v14, s25
	s_xor_b32 exec_lo, exec_lo, s26
	s_cbranch_execnz .LBB2_433
.LBB2_210:                              ;   in Loop: Header=BB2_144 Depth=2
	s_or_b32 exec_lo, exec_lo, s26
	s_and_saveexec_b32 s25, s12
	s_cbranch_execz .LBB2_212
.LBB2_211:                              ;   in Loop: Header=BB2_144 Depth=2
	v_and_b32_e32 v14, 3, v15
	v_bfe_u32 v112, v15, 2, 5
	v_lshlrev_b32_e32 v113, 24, v15
	s_delay_alu instid0(VALU_DEP_3) | instskip(NEXT) | instid1(VALU_DEP_3)
	v_clz_i32_u32_e32 v102, v14
	v_cmp_eq_u32_e64 s11, 0, v112
	s_delay_alu instid0(VALU_DEP_2) | instskip(NEXT) | instid1(VALU_DEP_1)
	v_min_u32_e32 v102, 32, v102
	v_subrev_nc_u32_e32 v103, 29, v102
	v_sub_nc_u32_e32 v102, 30, v102
	s_delay_alu instid0(VALU_DEP_2) | instskip(NEXT) | instid1(VALU_DEP_2)
	v_lshlrev_b32_e32 v103, v103, v15
	v_cndmask_b32_e64 v102, v112, v102, s11
	s_delay_alu instid0(VALU_DEP_2) | instskip(NEXT) | instid1(VALU_DEP_2)
	v_and_b32_e32 v103, 3, v103
	v_lshl_add_u32 v102, v102, 23, 0x37800000
	s_delay_alu instid0(VALU_DEP_2) | instskip(SKIP_1) | instid1(VALU_DEP_2)
	v_cndmask_b32_e64 v14, v14, v103, s11
	v_and_b32_e32 v103, 0x80000000, v113
	v_lshlrev_b32_e32 v14, 21, v14
	s_delay_alu instid0(VALU_DEP_1)
	v_or3_b32 v14, v103, v102, v14
.LBB2_212:                              ;   in Loop: Header=BB2_144 Depth=2
	s_or_b32 exec_lo, exec_lo, s25
	v_and_b32_e32 v103, 0xff, v11
	s_mov_b32 s12, 0
	s_mov_b32 s26, exec_lo
                                        ; implicit-def: $sgpr25
	s_delay_alu instid0(VALU_DEP_1)
	v_cmpx_lt_i16_e32 0x7f, v103
	s_xor_b32 s26, exec_lo, s26
	s_cbranch_execnz .LBB2_434
; %bb.213:                              ;   in Loop: Header=BB2_144 Depth=2
	s_or_saveexec_b32 s26, s26
	v_mov_b32_e32 v102, s25
	s_xor_b32 exec_lo, exec_lo, s26
	s_cbranch_execnz .LBB2_437
.LBB2_214:                              ;   in Loop: Header=BB2_144 Depth=2
	s_or_b32 exec_lo, exec_lo, s26
	s_and_saveexec_b32 s25, s12
	s_cbranch_execz .LBB2_216
.LBB2_215:                              ;   in Loop: Header=BB2_144 Depth=2
	v_and_b32_e32 v102, 3, v11
	v_bfe_u32 v113, v11, 2, 5
	v_lshlrev_b32_e32 v114, 24, v11
	s_delay_alu instid0(VALU_DEP_3) | instskip(NEXT) | instid1(VALU_DEP_3)
	v_clz_i32_u32_e32 v103, v102
	v_cmp_eq_u32_e64 s11, 0, v113
	s_delay_alu instid0(VALU_DEP_2) | instskip(NEXT) | instid1(VALU_DEP_1)
	v_min_u32_e32 v103, 32, v103
	v_subrev_nc_u32_e32 v112, 29, v103
	v_sub_nc_u32_e32 v103, 30, v103
	s_delay_alu instid0(VALU_DEP_2) | instskip(NEXT) | instid1(VALU_DEP_2)
	v_lshlrev_b32_e32 v112, v112, v11
	v_cndmask_b32_e64 v103, v113, v103, s11
	s_delay_alu instid0(VALU_DEP_2) | instskip(NEXT) | instid1(VALU_DEP_2)
	v_and_b32_e32 v112, 3, v112
	v_lshl_add_u32 v103, v103, 23, 0x37800000
	s_delay_alu instid0(VALU_DEP_2) | instskip(SKIP_1) | instid1(VALU_DEP_2)
	v_cndmask_b32_e64 v102, v102, v112, s11
	v_and_b32_e32 v112, 0x80000000, v114
	v_lshlrev_b32_e32 v102, 21, v102
	s_delay_alu instid0(VALU_DEP_1)
	v_or3_b32 v102, v112, v103, v102
.LBB2_216:                              ;   in Loop: Header=BB2_144 Depth=2
	s_or_b32 exec_lo, exec_lo, s25
	s_delay_alu instid0(VALU_DEP_1) | instskip(NEXT) | instid1(VALU_DEP_1)
	v_mul_f32_e32 v102, v14, v102
	v_and_b32_e32 v14, 0x7f800000, v102
	s_delay_alu instid0(VALU_DEP_1) | instskip(SKIP_1) | instid1(VALU_DEP_2)
	v_cmp_ne_u32_e64 s11, 0x7f800000, v14
	v_mov_b32_e32 v14, 0x80
	s_and_saveexec_b32 s25, s11
	s_cbranch_execz .LBB2_224
; %bb.217:                              ;   in Loop: Header=BB2_144 Depth=2
	v_mov_b32_e32 v14, 0
	s_mov_b32 s26, exec_lo
	v_cmpx_ne_u32_e32 0, v102
	s_cbranch_execz .LBB2_223
; %bb.218:                              ;   in Loop: Header=BB2_144 Depth=2
	v_bfe_u32 v14, v102, 23, 8
	v_and_b32_e32 v103, 0x7fffff, v102
	s_delay_alu instid0(VALU_DEP_2) | instskip(SKIP_1) | instid1(VALU_DEP_3)
	v_sub_nc_u32_e32 v112, 0x70, v14
	v_cmp_gt_u32_e64 s11, 0x71, v14
	v_or_b32_e32 v113, 0x800000, v103
	s_delay_alu instid0(VALU_DEP_2) | instskip(SKIP_2) | instid1(VALU_DEP_2)
	v_cndmask_b32_e64 v112, 0, v112, s11
	v_cmp_eq_u32_e64 s11, 0, v14
	v_add_nc_u32_e32 v14, 0xffffff91, v14
	v_cndmask_b32_e64 v112, v112, 0x6f, s11
	v_cndmask_b32_e64 v103, v113, v103, s11
	s_delay_alu instid0(VALU_DEP_3) | instskip(NEXT) | instid1(VALU_DEP_3)
	v_cndmask_b32_e64 v14, v14, 0xffffff92, s11
	v_lshl_add_u32 v113, 0x200000, v112, -1
	s_delay_alu instid0(VALU_DEP_3) | instskip(SKIP_1) | instid1(VALU_DEP_4)
	v_lshrrev_b32_e32 v114, v112, v103
	v_lshlrev_b32_e64 v116, v112, 0x100000
	v_add_nc_u32_e32 v112, v112, v14
	s_delay_alu instid0(VALU_DEP_4) | instskip(NEXT) | instid1(VALU_DEP_4)
	v_and_b32_e32 v103, v113, v103
	v_bfe_u32 v115, v114, 21, 1
	s_delay_alu instid0(VALU_DEP_2) | instskip(NEXT) | instid1(VALU_DEP_2)
	v_cmp_eq_u32_e64 s12, v103, v116
	v_add_nc_u32_e32 v113, -1, v115
	s_delay_alu instid0(VALU_DEP_1) | instskip(SKIP_2) | instid1(VALU_DEP_2)
	v_cndmask_b32_e64 v103, 0, v113, s12
	v_lshrrev_b32_e32 v113, 23, v114
	s_mov_b32 s12, exec_lo
	v_add_nc_u32_e32 v103, v103, v114
	s_delay_alu instid0(VALU_DEP_2) | instskip(NEXT) | instid1(VALU_DEP_2)
	v_xor_b32_e32 v113, 1, v113
	v_and_b32_e32 v14, 0x1fffff, v103
	s_delay_alu instid0(VALU_DEP_1) | instskip(NEXT) | instid1(VALU_DEP_3)
	v_add_nc_u32_e32 v103, v14, v114
                                        ; implicit-def: $vgpr14
	v_cmpx_ne_u32_e64 v112, v113
	s_xor_b32 s12, exec_lo, s12
; %bb.219:                              ;   in Loop: Header=BB2_144 Depth=2
	s_delay_alu instid0(VALU_DEP_2) | instskip(SKIP_1) | instid1(VALU_DEP_2)
	v_cmp_lt_u32_e64 s11, 0xffffff, v103
	v_sub_nc_u32_e32 v14, v112, v113
	v_cndmask_b32_e64 v112, 0, 1, s11
	s_delay_alu instid0(VALU_DEP_2) | instskip(NEXT) | instid1(VALU_DEP_2)
	v_add_co_ci_u32_e64 v14, s11, 0, v14, s11
	v_lshrrev_b32_e32 v103, v112, v103
; %bb.220:                              ;   in Loop: Header=BB2_144 Depth=2
	s_and_not1_saveexec_b32 s11, s12
; %bb.221:                              ;   in Loop: Header=BB2_144 Depth=2
	s_delay_alu instid0(VALU_DEP_1)
	v_bfe_u32 v14, v103, 23, 1
; %bb.222:                              ;   in Loop: Header=BB2_144 Depth=2
	s_or_b32 exec_lo, exec_lo, s11
	v_lshrrev_b32_e32 v103, 21, v103
	s_delay_alu instid0(VALU_DEP_2) | instskip(SKIP_2) | instid1(VALU_DEP_3)
	v_cmp_gt_i32_e64 s11, 32, v14
	v_lshrrev_b32_e32 v102, 24, v102
	v_min_i32_e32 v112, 31, v14
	v_cndmask_b32_e64 v103, 3, v103, s11
	s_delay_alu instid0(VALU_DEP_3) | instskip(NEXT) | instid1(VALU_DEP_3)
	v_and_b32_e32 v102, 0x80, v102
	v_lshlrev_b32_e32 v112, 2, v112
	s_delay_alu instid0(VALU_DEP_3) | instskip(SKIP_1) | instid1(VALU_DEP_2)
	v_and_b32_e32 v113, 3, v103
	v_or_b32_e32 v14, v14, v103
	v_or3_b32 v102, v112, v102, v113
	s_delay_alu instid0(VALU_DEP_2) | instskip(NEXT) | instid1(VALU_DEP_1)
	v_cmp_ne_u32_e64 s11, 0, v14
	v_cndmask_b32_e64 v14, 0, v102, s11
.LBB2_223:                              ;   in Loop: Header=BB2_144 Depth=2
	s_or_b32 exec_lo, exec_lo, s26
.LBB2_224:                              ;   in Loop: Header=BB2_144 Depth=2
	s_delay_alu instid0(SALU_CYCLE_1) | instskip(SKIP_3) | instid1(VALU_DEP_1)
	s_or_b32 exec_lo, exec_lo, s25
	v_lshrrev_b16 v103, 8, v15
	s_mov_b32 s12, 0
	s_mov_b32 s26, exec_lo
                                        ; implicit-def: $sgpr25
	v_cmpx_lt_i16_e32 0x7f, v103
	s_xor_b32 s26, exec_lo, s26
	s_cbranch_execnz .LBB2_438
; %bb.225:                              ;   in Loop: Header=BB2_144 Depth=2
	s_or_saveexec_b32 s26, s26
	v_mov_b32_e32 v102, s25
	s_xor_b32 exec_lo, exec_lo, s26
	s_cbranch_execnz .LBB2_441
.LBB2_226:                              ;   in Loop: Header=BB2_144 Depth=2
	s_or_b32 exec_lo, exec_lo, s26
	s_and_saveexec_b32 s25, s12
	s_cbranch_execz .LBB2_228
.LBB2_227:                              ;   in Loop: Header=BB2_144 Depth=2
	v_and_b32_e32 v102, 0xffff, v103
	v_lshlrev_b32_e32 v103, 24, v103
	s_delay_alu instid0(VALU_DEP_2) | instskip(NEXT) | instid1(VALU_DEP_2)
	v_and_b32_e32 v112, 3, v102
	v_and_b32_e32 v103, 0x80000000, v103
	s_delay_alu instid0(VALU_DEP_2) | instskip(NEXT) | instid1(VALU_DEP_1)
	v_clz_i32_u32_e32 v113, v112
	v_min_u32_e32 v113, 32, v113
	s_delay_alu instid0(VALU_DEP_1) | instskip(SKIP_1) | instid1(VALU_DEP_2)
	v_subrev_nc_u32_e32 v114, 29, v113
	v_sub_nc_u32_e32 v113, 30, v113
	v_lshlrev_b32_e32 v114, v114, v102
	v_bfe_u32 v102, v102, 2, 5
	s_delay_alu instid0(VALU_DEP_2) | instskip(NEXT) | instid1(VALU_DEP_2)
	v_and_b32_e32 v114, 3, v114
	v_cmp_eq_u32_e64 s11, 0, v102
	s_delay_alu instid0(VALU_DEP_1) | instskip(NEXT) | instid1(VALU_DEP_3)
	v_cndmask_b32_e64 v102, v102, v113, s11
	v_cndmask_b32_e64 v112, v112, v114, s11
	s_delay_alu instid0(VALU_DEP_2) | instskip(NEXT) | instid1(VALU_DEP_2)
	v_lshl_add_u32 v102, v102, 23, 0x37800000
	v_lshlrev_b32_e32 v112, 21, v112
	s_delay_alu instid0(VALU_DEP_1)
	v_or3_b32 v102, v103, v102, v112
.LBB2_228:                              ;   in Loop: Header=BB2_144 Depth=2
	s_or_b32 exec_lo, exec_lo, s25
	v_lshrrev_b16 v103, 8, v11
	s_mov_b32 s12, 0
	s_mov_b32 s26, exec_lo
                                        ; implicit-def: $sgpr25
	s_delay_alu instid0(VALU_DEP_1)
	v_cmpx_lt_i16_e32 0x7f, v103
	s_xor_b32 s26, exec_lo, s26
	s_cbranch_execnz .LBB2_442
; %bb.229:                              ;   in Loop: Header=BB2_144 Depth=2
	s_or_saveexec_b32 s26, s26
	v_mov_b32_e32 v112, s25
	s_xor_b32 exec_lo, exec_lo, s26
	s_cbranch_execnz .LBB2_445
.LBB2_230:                              ;   in Loop: Header=BB2_144 Depth=2
	s_or_b32 exec_lo, exec_lo, s26
	s_and_saveexec_b32 s25, s12
	s_cbranch_execz .LBB2_232
.LBB2_231:                              ;   in Loop: Header=BB2_144 Depth=2
	v_and_b32_e32 v112, 0xffff, v103
	v_lshlrev_b32_e32 v103, 24, v103
	s_delay_alu instid0(VALU_DEP_2) | instskip(NEXT) | instid1(VALU_DEP_2)
	v_and_b32_e32 v113, 3, v112
	v_and_b32_e32 v103, 0x80000000, v103
	s_delay_alu instid0(VALU_DEP_2) | instskip(NEXT) | instid1(VALU_DEP_1)
	v_clz_i32_u32_e32 v114, v113
	v_min_u32_e32 v114, 32, v114
	s_delay_alu instid0(VALU_DEP_1) | instskip(SKIP_1) | instid1(VALU_DEP_2)
	v_subrev_nc_u32_e32 v115, 29, v114
	v_sub_nc_u32_e32 v114, 30, v114
	v_lshlrev_b32_e32 v115, v115, v112
	v_bfe_u32 v112, v112, 2, 5
	s_delay_alu instid0(VALU_DEP_2) | instskip(NEXT) | instid1(VALU_DEP_2)
	v_and_b32_e32 v115, 3, v115
	v_cmp_eq_u32_e64 s11, 0, v112
	s_delay_alu instid0(VALU_DEP_1) | instskip(NEXT) | instid1(VALU_DEP_3)
	v_cndmask_b32_e64 v112, v112, v114, s11
	v_cndmask_b32_e64 v113, v113, v115, s11
	s_delay_alu instid0(VALU_DEP_2) | instskip(NEXT) | instid1(VALU_DEP_2)
	v_lshl_add_u32 v112, v112, 23, 0x37800000
	v_lshlrev_b32_e32 v113, 21, v113
	s_delay_alu instid0(VALU_DEP_1)
	v_or3_b32 v112, v103, v112, v113
.LBB2_232:                              ;   in Loop: Header=BB2_144 Depth=2
	s_or_b32 exec_lo, exec_lo, s25
	s_delay_alu instid0(VALU_DEP_1) | instskip(NEXT) | instid1(VALU_DEP_1)
	v_mul_f32_e32 v103, v102, v112
	v_and_b32_e32 v102, 0x7f800000, v103
	s_delay_alu instid0(VALU_DEP_1) | instskip(SKIP_1) | instid1(VALU_DEP_2)
	v_cmp_ne_u32_e64 s11, 0x7f800000, v102
	v_mov_b32_e32 v102, 0x8000
	s_and_saveexec_b32 s25, s11
	s_cbranch_execz .LBB2_240
; %bb.233:                              ;   in Loop: Header=BB2_144 Depth=2
	v_mov_b32_e32 v102, 0
	s_mov_b32 s26, exec_lo
	v_cmpx_ne_u32_e32 0, v103
	s_cbranch_execz .LBB2_239
; %bb.234:                              ;   in Loop: Header=BB2_144 Depth=2
	v_bfe_u32 v102, v103, 23, 8
	v_and_b32_e32 v112, 0x7fffff, v103
	s_delay_alu instid0(VALU_DEP_2) | instskip(SKIP_1) | instid1(VALU_DEP_3)
	v_sub_nc_u32_e32 v113, 0x70, v102
	v_cmp_gt_u32_e64 s11, 0x71, v102
	v_or_b32_e32 v114, 0x800000, v112
	s_delay_alu instid0(VALU_DEP_2) | instskip(SKIP_2) | instid1(VALU_DEP_2)
	v_cndmask_b32_e64 v113, 0, v113, s11
	v_cmp_eq_u32_e64 s11, 0, v102
	v_add_nc_u32_e32 v102, 0xffffff91, v102
	v_cndmask_b32_e64 v113, v113, 0x6f, s11
	v_cndmask_b32_e64 v112, v114, v112, s11
	s_delay_alu instid0(VALU_DEP_3) | instskip(NEXT) | instid1(VALU_DEP_3)
	v_cndmask_b32_e64 v102, v102, 0xffffff92, s11
	v_lshl_add_u32 v114, 0x200000, v113, -1
	s_delay_alu instid0(VALU_DEP_3) | instskip(SKIP_1) | instid1(VALU_DEP_4)
	v_lshrrev_b32_e32 v115, v113, v112
	v_lshlrev_b32_e64 v117, v113, 0x100000
	v_add_nc_u32_e32 v113, v113, v102
	s_delay_alu instid0(VALU_DEP_4) | instskip(NEXT) | instid1(VALU_DEP_4)
	v_and_b32_e32 v112, v114, v112
	v_bfe_u32 v116, v115, 21, 1
	s_delay_alu instid0(VALU_DEP_2) | instskip(NEXT) | instid1(VALU_DEP_2)
	v_cmp_eq_u32_e64 s12, v112, v117
	v_add_nc_u32_e32 v114, -1, v116
	s_delay_alu instid0(VALU_DEP_1) | instskip(SKIP_2) | instid1(VALU_DEP_2)
	v_cndmask_b32_e64 v112, 0, v114, s12
	v_lshrrev_b32_e32 v114, 23, v115
	s_mov_b32 s12, exec_lo
	v_add_nc_u32_e32 v112, v112, v115
	s_delay_alu instid0(VALU_DEP_2) | instskip(NEXT) | instid1(VALU_DEP_2)
	v_xor_b32_e32 v114, 1, v114
	v_and_b32_e32 v102, 0x1fffff, v112
	s_delay_alu instid0(VALU_DEP_1) | instskip(NEXT) | instid1(VALU_DEP_3)
	v_add_nc_u32_e32 v112, v102, v115
                                        ; implicit-def: $vgpr102
	v_cmpx_ne_u32_e64 v113, v114
	s_xor_b32 s12, exec_lo, s12
; %bb.235:                              ;   in Loop: Header=BB2_144 Depth=2
	s_delay_alu instid0(VALU_DEP_2) | instskip(SKIP_1) | instid1(VALU_DEP_2)
	v_cmp_lt_u32_e64 s11, 0xffffff, v112
	v_sub_nc_u32_e32 v102, v113, v114
	v_cndmask_b32_e64 v113, 0, 1, s11
	s_delay_alu instid0(VALU_DEP_2) | instskip(NEXT) | instid1(VALU_DEP_2)
	v_add_co_ci_u32_e64 v102, s11, 0, v102, s11
	v_lshrrev_b32_e32 v112, v113, v112
; %bb.236:                              ;   in Loop: Header=BB2_144 Depth=2
	s_and_not1_saveexec_b32 s11, s12
; %bb.237:                              ;   in Loop: Header=BB2_144 Depth=2
	s_delay_alu instid0(VALU_DEP_1)
	v_bfe_u32 v102, v112, 23, 1
; %bb.238:                              ;   in Loop: Header=BB2_144 Depth=2
	s_or_b32 exec_lo, exec_lo, s11
	v_lshrrev_b32_e32 v112, 21, v112
	s_delay_alu instid0(VALU_DEP_2) | instskip(SKIP_2) | instid1(VALU_DEP_3)
	v_min_i32_e32 v113, 31, v102
	v_cmp_gt_i32_e64 s11, 32, v102
	v_lshrrev_b32_e32 v103, 24, v103
	v_lshlrev_b32_e32 v113, 2, v113
	s_delay_alu instid0(VALU_DEP_3) | instskip(NEXT) | instid1(VALU_DEP_3)
	v_cndmask_b32_e64 v112, 3, v112, s11
	v_and_b32_e32 v103, 0x80, v103
	s_delay_alu instid0(VALU_DEP_3) | instskip(NEXT) | instid1(VALU_DEP_3)
	v_and_b32_e32 v113, 0xfc, v113
	v_and_b32_e32 v114, 3, v112
	v_or_b32_e32 v102, v102, v112
	s_delay_alu instid0(VALU_DEP_2) | instskip(NEXT) | instid1(VALU_DEP_2)
	v_or3_b32 v103, v103, v113, v114
	v_cmp_ne_u32_e64 s11, 0, v102
	s_delay_alu instid0(VALU_DEP_2) | instskip(NEXT) | instid1(VALU_DEP_1)
	v_lshlrev_b32_e32 v103, 8, v103
	v_cndmask_b32_e64 v102, 0, v103, s11
.LBB2_239:                              ;   in Loop: Header=BB2_144 Depth=2
	s_or_b32 exec_lo, exec_lo, s26
.LBB2_240:                              ;   in Loop: Header=BB2_144 Depth=2
	s_delay_alu instid0(SALU_CYCLE_1) | instskip(SKIP_3) | instid1(VALU_DEP_1)
	s_or_b32 exec_lo, exec_lo, s25
	v_lshrrev_b32_e32 v112, 16, v15
	s_mov_b32 s12, 0
	s_mov_b32 s26, exec_lo
                                        ; implicit-def: $sgpr25
	v_and_b32_e32 v113, 0xff, v112
	s_delay_alu instid0(VALU_DEP_1)
	v_cmpx_lt_i16_e32 0x7f, v113
	s_xor_b32 s26, exec_lo, s26
	s_cbranch_execnz .LBB2_446
; %bb.241:                              ;   in Loop: Header=BB2_144 Depth=2
	s_or_saveexec_b32 s26, s26
	v_mov_b32_e32 v103, s25
	s_xor_b32 exec_lo, exec_lo, s26
	s_cbranch_execnz .LBB2_449
.LBB2_242:                              ;   in Loop: Header=BB2_144 Depth=2
	s_or_b32 exec_lo, exec_lo, s26
	s_and_saveexec_b32 s25, s12
	s_cbranch_execz .LBB2_244
.LBB2_243:                              ;   in Loop: Header=BB2_144 Depth=2
	v_bfe_u32 v103, v15, 16, 2
	v_lshlrev_b32_e32 v115, 8, v15
	s_delay_alu instid0(VALU_DEP_2) | instskip(NEXT) | instid1(VALU_DEP_1)
	v_clz_i32_u32_e32 v113, v103
	v_min_u32_e32 v113, 32, v113
	s_delay_alu instid0(VALU_DEP_1) | instskip(SKIP_1) | instid1(VALU_DEP_2)
	v_subrev_nc_u32_e32 v114, 29, v113
	v_sub_nc_u32_e32 v113, 30, v113
	v_lshlrev_b32_e32 v112, v114, v112
	v_bfe_u32 v114, v15, 18, 5
	s_delay_alu instid0(VALU_DEP_2) | instskip(NEXT) | instid1(VALU_DEP_2)
	v_and_b32_e32 v112, 3, v112
	v_cmp_eq_u32_e64 s11, 0, v114
	s_delay_alu instid0(VALU_DEP_1) | instskip(NEXT) | instid1(VALU_DEP_3)
	v_cndmask_b32_e64 v113, v114, v113, s11
	v_cndmask_b32_e64 v103, v103, v112, s11
	v_and_b32_e32 v112, 0x80000000, v115
	s_delay_alu instid0(VALU_DEP_3) | instskip(NEXT) | instid1(VALU_DEP_3)
	v_lshl_add_u32 v113, v113, 23, 0x37800000
	v_lshlrev_b32_e32 v103, 21, v103
	s_delay_alu instid0(VALU_DEP_1)
	v_or3_b32 v103, v112, v113, v103
.LBB2_244:                              ;   in Loop: Header=BB2_144 Depth=2
	s_or_b32 exec_lo, exec_lo, s25
	v_lshrrev_b32_e32 v112, 16, v11
	s_mov_b32 s12, 0
	s_mov_b32 s26, exec_lo
                                        ; implicit-def: $sgpr25
	s_delay_alu instid0(VALU_DEP_1) | instskip(NEXT) | instid1(VALU_DEP_1)
	v_and_b32_e32 v114, 0xff, v112
	v_cmpx_lt_i16_e32 0x7f, v114
	s_xor_b32 s26, exec_lo, s26
	s_cbranch_execnz .LBB2_450
; %bb.245:                              ;   in Loop: Header=BB2_144 Depth=2
	s_or_saveexec_b32 s26, s26
	v_mov_b32_e32 v113, s25
	s_xor_b32 exec_lo, exec_lo, s26
	s_cbranch_execnz .LBB2_453
.LBB2_246:                              ;   in Loop: Header=BB2_144 Depth=2
	s_or_b32 exec_lo, exec_lo, s26
	s_and_saveexec_b32 s25, s12
	s_cbranch_execz .LBB2_248
.LBB2_247:                              ;   in Loop: Header=BB2_144 Depth=2
	v_bfe_u32 v113, v11, 16, 2
	v_lshlrev_b32_e32 v116, 8, v11
	s_delay_alu instid0(VALU_DEP_2) | instskip(NEXT) | instid1(VALU_DEP_1)
	v_clz_i32_u32_e32 v114, v113
	v_min_u32_e32 v114, 32, v114
	s_delay_alu instid0(VALU_DEP_1) | instskip(SKIP_1) | instid1(VALU_DEP_2)
	v_subrev_nc_u32_e32 v115, 29, v114
	v_sub_nc_u32_e32 v114, 30, v114
	v_lshlrev_b32_e32 v112, v115, v112
	v_bfe_u32 v115, v11, 18, 5
	s_delay_alu instid0(VALU_DEP_2) | instskip(NEXT) | instid1(VALU_DEP_2)
	v_and_b32_e32 v112, 3, v112
	v_cmp_eq_u32_e64 s11, 0, v115
	s_delay_alu instid0(VALU_DEP_1) | instskip(NEXT) | instid1(VALU_DEP_3)
	v_cndmask_b32_e64 v114, v115, v114, s11
	v_cndmask_b32_e64 v112, v113, v112, s11
	v_and_b32_e32 v113, 0x80000000, v116
	s_delay_alu instid0(VALU_DEP_3) | instskip(NEXT) | instid1(VALU_DEP_3)
	v_lshl_add_u32 v114, v114, 23, 0x37800000
	v_lshlrev_b32_e32 v112, 21, v112
	s_delay_alu instid0(VALU_DEP_1)
	v_or3_b32 v113, v113, v114, v112
.LBB2_248:                              ;   in Loop: Header=BB2_144 Depth=2
	s_or_b32 exec_lo, exec_lo, s25
	s_delay_alu instid0(VALU_DEP_1) | instskip(NEXT) | instid1(VALU_DEP_1)
	v_mul_f32_e32 v112, v103, v113
	v_and_b32_e32 v103, 0x7f800000, v112
	s_delay_alu instid0(VALU_DEP_1) | instskip(SKIP_1) | instid1(VALU_DEP_2)
	v_cmp_ne_u32_e64 s11, 0x7f800000, v103
	v_mov_b32_e32 v103, 0x80
	s_and_saveexec_b32 s25, s11
	s_cbranch_execz .LBB2_256
; %bb.249:                              ;   in Loop: Header=BB2_144 Depth=2
	v_mov_b32_e32 v103, 0
	s_mov_b32 s26, exec_lo
	v_cmpx_ne_u32_e32 0, v112
	s_cbranch_execz .LBB2_255
; %bb.250:                              ;   in Loop: Header=BB2_144 Depth=2
	v_bfe_u32 v103, v112, 23, 8
	v_and_b32_e32 v113, 0x7fffff, v112
	s_delay_alu instid0(VALU_DEP_2) | instskip(SKIP_1) | instid1(VALU_DEP_3)
	v_sub_nc_u32_e32 v114, 0x70, v103
	v_cmp_gt_u32_e64 s11, 0x71, v103
	v_or_b32_e32 v115, 0x800000, v113
	s_delay_alu instid0(VALU_DEP_2) | instskip(SKIP_2) | instid1(VALU_DEP_2)
	v_cndmask_b32_e64 v114, 0, v114, s11
	v_cmp_eq_u32_e64 s11, 0, v103
	v_add_nc_u32_e32 v103, 0xffffff91, v103
	v_cndmask_b32_e64 v114, v114, 0x6f, s11
	v_cndmask_b32_e64 v113, v115, v113, s11
	s_delay_alu instid0(VALU_DEP_3) | instskip(NEXT) | instid1(VALU_DEP_3)
	v_cndmask_b32_e64 v103, v103, 0xffffff92, s11
	v_lshl_add_u32 v115, 0x200000, v114, -1
	s_delay_alu instid0(VALU_DEP_3) | instskip(SKIP_1) | instid1(VALU_DEP_4)
	v_lshrrev_b32_e32 v116, v114, v113
	v_lshlrev_b32_e64 v118, v114, 0x100000
	v_add_nc_u32_e32 v114, v114, v103
	s_delay_alu instid0(VALU_DEP_4) | instskip(NEXT) | instid1(VALU_DEP_4)
	v_and_b32_e32 v113, v115, v113
	v_bfe_u32 v117, v116, 21, 1
	s_delay_alu instid0(VALU_DEP_2) | instskip(NEXT) | instid1(VALU_DEP_2)
	v_cmp_eq_u32_e64 s12, v113, v118
	v_add_nc_u32_e32 v115, -1, v117
	s_delay_alu instid0(VALU_DEP_1) | instskip(SKIP_2) | instid1(VALU_DEP_2)
	v_cndmask_b32_e64 v113, 0, v115, s12
	v_lshrrev_b32_e32 v115, 23, v116
	s_mov_b32 s12, exec_lo
	v_add_nc_u32_e32 v113, v113, v116
	s_delay_alu instid0(VALU_DEP_2) | instskip(NEXT) | instid1(VALU_DEP_2)
	v_xor_b32_e32 v115, 1, v115
	v_and_b32_e32 v103, 0x1fffff, v113
	s_delay_alu instid0(VALU_DEP_1) | instskip(NEXT) | instid1(VALU_DEP_3)
	v_add_nc_u32_e32 v113, v103, v116
                                        ; implicit-def: $vgpr103
	v_cmpx_ne_u32_e64 v114, v115
	s_xor_b32 s12, exec_lo, s12
; %bb.251:                              ;   in Loop: Header=BB2_144 Depth=2
	s_delay_alu instid0(VALU_DEP_2) | instskip(SKIP_1) | instid1(VALU_DEP_2)
	v_cmp_lt_u32_e64 s11, 0xffffff, v113
	v_sub_nc_u32_e32 v103, v114, v115
	v_cndmask_b32_e64 v114, 0, 1, s11
	s_delay_alu instid0(VALU_DEP_2) | instskip(NEXT) | instid1(VALU_DEP_2)
	v_add_co_ci_u32_e64 v103, s11, 0, v103, s11
	v_lshrrev_b32_e32 v113, v114, v113
; %bb.252:                              ;   in Loop: Header=BB2_144 Depth=2
	s_and_not1_saveexec_b32 s11, s12
; %bb.253:                              ;   in Loop: Header=BB2_144 Depth=2
	s_delay_alu instid0(VALU_DEP_1)
	v_bfe_u32 v103, v113, 23, 1
; %bb.254:                              ;   in Loop: Header=BB2_144 Depth=2
	s_or_b32 exec_lo, exec_lo, s11
	v_lshrrev_b32_e32 v113, 21, v113
	s_delay_alu instid0(VALU_DEP_2) | instskip(SKIP_2) | instid1(VALU_DEP_3)
	v_min_i32_e32 v114, 31, v103
	v_cmp_gt_i32_e64 s11, 32, v103
	v_lshrrev_b32_e32 v112, 24, v112
	v_lshlrev_b32_e32 v114, 2, v114
	s_delay_alu instid0(VALU_DEP_3) | instskip(NEXT) | instid1(VALU_DEP_3)
	v_cndmask_b32_e64 v113, 3, v113, s11
	v_and_b32_e32 v112, 0x80, v112
	s_delay_alu instid0(VALU_DEP_3) | instskip(NEXT) | instid1(VALU_DEP_3)
	v_and_b32_e32 v114, 0xfc, v114
	v_and_b32_e32 v115, 3, v113
	v_or_b32_e32 v103, v103, v113
	s_delay_alu instid0(VALU_DEP_2) | instskip(NEXT) | instid1(VALU_DEP_2)
	v_or3_b32 v112, v114, v112, v115
	v_cmp_ne_u32_e64 s11, 0, v103
	s_delay_alu instid0(VALU_DEP_1)
	v_cndmask_b32_e64 v103, 0, v112, s11
.LBB2_255:                              ;   in Loop: Header=BB2_144 Depth=2
	s_or_b32 exec_lo, exec_lo, s26
.LBB2_256:                              ;   in Loop: Header=BB2_144 Depth=2
	s_delay_alu instid0(SALU_CYCLE_1) | instskip(SKIP_3) | instid1(VALU_DEP_1)
	s_or_b32 exec_lo, exec_lo, s25
	v_lshrrev_b32_e32 v113, 24, v15
	s_mov_b32 s12, 0
	s_mov_b32 s26, exec_lo
                                        ; implicit-def: $sgpr25
	v_cmpx_lt_i16_e32 0x7f, v113
	s_xor_b32 s26, exec_lo, s26
	s_cbranch_execnz .LBB2_454
; %bb.257:                              ;   in Loop: Header=BB2_144 Depth=2
	s_or_saveexec_b32 s26, s26
	v_mov_b32_e32 v112, s25
	s_xor_b32 exec_lo, exec_lo, s26
	s_cbranch_execnz .LBB2_457
.LBB2_258:                              ;   in Loop: Header=BB2_144 Depth=2
	s_or_b32 exec_lo, exec_lo, s26
	s_and_saveexec_b32 s25, s12
	s_cbranch_execz .LBB2_260
.LBB2_259:                              ;   in Loop: Header=BB2_144 Depth=2
	v_bfe_u32 v112, v15, 24, 2
	s_delay_alu instid0(VALU_DEP_1) | instskip(NEXT) | instid1(VALU_DEP_1)
	v_clz_i32_u32_e32 v114, v112
	v_min_u32_e32 v114, 32, v114
	s_delay_alu instid0(VALU_DEP_1) | instskip(SKIP_1) | instid1(VALU_DEP_2)
	v_subrev_nc_u32_e32 v115, 29, v114
	v_sub_nc_u32_e32 v114, 30, v114
	v_lshlrev_b32_e32 v113, v115, v113
	v_bfe_u32 v115, v15, 26, 5
	v_and_b32_e32 v15, 0x80000000, v15
	s_delay_alu instid0(VALU_DEP_3) | instskip(NEXT) | instid1(VALU_DEP_3)
	v_and_b32_e32 v113, 3, v113
	v_cmp_eq_u32_e64 s11, 0, v115
	s_delay_alu instid0(VALU_DEP_1) | instskip(NEXT) | instid1(VALU_DEP_3)
	v_cndmask_b32_e64 v114, v115, v114, s11
	v_cndmask_b32_e64 v112, v112, v113, s11
	s_delay_alu instid0(VALU_DEP_2) | instskip(NEXT) | instid1(VALU_DEP_2)
	v_lshl_add_u32 v113, v114, 23, 0x37800000
	v_lshlrev_b32_e32 v112, 21, v112
	s_delay_alu instid0(VALU_DEP_1)
	v_or3_b32 v112, v15, v113, v112
.LBB2_260:                              ;   in Loop: Header=BB2_144 Depth=2
	s_or_b32 exec_lo, exec_lo, s25
	v_lshrrev_b32_e32 v15, 24, v11
	s_mov_b32 s12, 0
	s_mov_b32 s26, exec_lo
                                        ; implicit-def: $sgpr25
	s_delay_alu instid0(VALU_DEP_1)
	v_cmpx_lt_i16_e32 0x7f, v15
	s_xor_b32 s26, exec_lo, s26
	s_cbranch_execnz .LBB2_458
; %bb.261:                              ;   in Loop: Header=BB2_144 Depth=2
	s_or_saveexec_b32 s26, s26
	v_mov_b32_e32 v113, s25
	s_xor_b32 exec_lo, exec_lo, s26
	s_cbranch_execnz .LBB2_461
.LBB2_262:                              ;   in Loop: Header=BB2_144 Depth=2
	s_or_b32 exec_lo, exec_lo, s26
	s_and_saveexec_b32 s25, s12
	s_cbranch_execz .LBB2_264
.LBB2_263:                              ;   in Loop: Header=BB2_144 Depth=2
	v_bfe_u32 v113, v11, 24, 2
	s_delay_alu instid0(VALU_DEP_1) | instskip(NEXT) | instid1(VALU_DEP_1)
	v_clz_i32_u32_e32 v114, v113
	v_min_u32_e32 v114, 32, v114
	s_delay_alu instid0(VALU_DEP_1) | instskip(SKIP_1) | instid1(VALU_DEP_2)
	v_subrev_nc_u32_e32 v115, 29, v114
	v_sub_nc_u32_e32 v114, 30, v114
	v_lshlrev_b32_e32 v15, v115, v15
	v_bfe_u32 v115, v11, 26, 5
	v_and_b32_e32 v11, 0x80000000, v11
	s_delay_alu instid0(VALU_DEP_3) | instskip(NEXT) | instid1(VALU_DEP_3)
	v_and_b32_e32 v15, 3, v15
	v_cmp_eq_u32_e64 s11, 0, v115
	s_delay_alu instid0(VALU_DEP_1) | instskip(NEXT) | instid1(VALU_DEP_3)
	v_cndmask_b32_e64 v114, v115, v114, s11
	v_cndmask_b32_e64 v15, v113, v15, s11
	s_delay_alu instid0(VALU_DEP_2) | instskip(NEXT) | instid1(VALU_DEP_2)
	v_lshl_add_u32 v113, v114, 23, 0x37800000
	v_lshlrev_b32_e32 v15, 21, v15
	s_delay_alu instid0(VALU_DEP_1)
	v_or3_b32 v113, v11, v113, v15
.LBB2_264:                              ;   in Loop: Header=BB2_144 Depth=2
	s_or_b32 exec_lo, exec_lo, s25
	s_delay_alu instid0(VALU_DEP_1) | instskip(NEXT) | instid1(VALU_DEP_1)
	v_mul_f32_e32 v15, v112, v113
	v_and_b32_e32 v11, 0x7f800000, v15
	s_delay_alu instid0(VALU_DEP_1) | instskip(SKIP_1) | instid1(VALU_DEP_2)
	v_cmp_ne_u32_e64 s11, 0x7f800000, v11
	v_mov_b32_e32 v11, 0x8000
	s_and_saveexec_b32 s25, s11
	s_cbranch_execz .LBB2_272
; %bb.265:                              ;   in Loop: Header=BB2_144 Depth=2
	v_mov_b32_e32 v11, 0
	s_mov_b32 s26, exec_lo
	v_cmpx_ne_u32_e32 0, v15
	s_cbranch_execz .LBB2_271
; %bb.266:                              ;   in Loop: Header=BB2_144 Depth=2
	v_bfe_u32 v11, v15, 23, 8
	v_and_b32_e32 v112, 0x7fffff, v15
	s_delay_alu instid0(VALU_DEP_2) | instskip(SKIP_1) | instid1(VALU_DEP_3)
	v_sub_nc_u32_e32 v113, 0x70, v11
	v_cmp_gt_u32_e64 s11, 0x71, v11
	v_or_b32_e32 v114, 0x800000, v112
	s_delay_alu instid0(VALU_DEP_2) | instskip(SKIP_2) | instid1(VALU_DEP_2)
	v_cndmask_b32_e64 v113, 0, v113, s11
	v_cmp_eq_u32_e64 s11, 0, v11
	v_add_nc_u32_e32 v11, 0xffffff91, v11
	v_cndmask_b32_e64 v113, v113, 0x6f, s11
	v_cndmask_b32_e64 v112, v114, v112, s11
	s_delay_alu instid0(VALU_DEP_3) | instskip(NEXT) | instid1(VALU_DEP_3)
	v_cndmask_b32_e64 v11, v11, 0xffffff92, s11
	v_lshl_add_u32 v114, 0x200000, v113, -1
	s_delay_alu instid0(VALU_DEP_3) | instskip(SKIP_1) | instid1(VALU_DEP_4)
	v_lshrrev_b32_e32 v115, v113, v112
	v_lshlrev_b32_e64 v117, v113, 0x100000
	v_add_nc_u32_e32 v113, v113, v11
	s_delay_alu instid0(VALU_DEP_4) | instskip(NEXT) | instid1(VALU_DEP_4)
	v_and_b32_e32 v112, v114, v112
	v_bfe_u32 v116, v115, 21, 1
	s_delay_alu instid0(VALU_DEP_2) | instskip(NEXT) | instid1(VALU_DEP_2)
	v_cmp_eq_u32_e64 s12, v112, v117
	v_add_nc_u32_e32 v114, -1, v116
	s_delay_alu instid0(VALU_DEP_1) | instskip(SKIP_2) | instid1(VALU_DEP_2)
	v_cndmask_b32_e64 v112, 0, v114, s12
	v_lshrrev_b32_e32 v114, 23, v115
	s_mov_b32 s12, exec_lo
	v_add_nc_u32_e32 v112, v112, v115
	s_delay_alu instid0(VALU_DEP_2) | instskip(NEXT) | instid1(VALU_DEP_2)
	v_xor_b32_e32 v114, 1, v114
	v_and_b32_e32 v11, 0x1fffff, v112
	s_delay_alu instid0(VALU_DEP_1) | instskip(NEXT) | instid1(VALU_DEP_3)
	v_add_nc_u32_e32 v112, v11, v115
                                        ; implicit-def: $vgpr11
	v_cmpx_ne_u32_e64 v113, v114
	s_xor_b32 s12, exec_lo, s12
; %bb.267:                              ;   in Loop: Header=BB2_144 Depth=2
	s_delay_alu instid0(VALU_DEP_2) | instskip(SKIP_1) | instid1(VALU_DEP_2)
	v_cmp_lt_u32_e64 s11, 0xffffff, v112
	v_sub_nc_u32_e32 v11, v113, v114
	v_cndmask_b32_e64 v113, 0, 1, s11
	s_delay_alu instid0(VALU_DEP_2) | instskip(NEXT) | instid1(VALU_DEP_2)
	v_add_co_ci_u32_e64 v11, s11, 0, v11, s11
	v_lshrrev_b32_e32 v112, v113, v112
; %bb.268:                              ;   in Loop: Header=BB2_144 Depth=2
	s_and_not1_saveexec_b32 s11, s12
; %bb.269:                              ;   in Loop: Header=BB2_144 Depth=2
	s_delay_alu instid0(VALU_DEP_1)
	v_bfe_u32 v11, v112, 23, 1
; %bb.270:                              ;   in Loop: Header=BB2_144 Depth=2
	s_or_b32 exec_lo, exec_lo, s11
	v_lshrrev_b32_e32 v112, 21, v112
	s_delay_alu instid0(VALU_DEP_2) | instskip(SKIP_2) | instid1(VALU_DEP_3)
	v_min_i32_e32 v113, 31, v11
	v_cmp_gt_i32_e64 s11, 32, v11
	v_lshrrev_b32_e32 v15, 24, v15
	v_lshlrev_b32_e32 v113, 2, v113
	s_delay_alu instid0(VALU_DEP_3) | instskip(NEXT) | instid1(VALU_DEP_3)
	v_cndmask_b32_e64 v112, 3, v112, s11
	v_and_b32_e32 v15, 0x80, v15
	s_delay_alu instid0(VALU_DEP_3) | instskip(NEXT) | instid1(VALU_DEP_3)
	v_and_b32_e32 v113, 0xfc, v113
	v_and_b32_e32 v114, 3, v112
	v_or_b32_e32 v11, v11, v112
	s_delay_alu instid0(VALU_DEP_2) | instskip(NEXT) | instid1(VALU_DEP_2)
	v_or3_b32 v15, v15, v113, v114
	v_cmp_ne_u32_e64 s11, 0, v11
	s_delay_alu instid0(VALU_DEP_2) | instskip(NEXT) | instid1(VALU_DEP_1)
	v_lshlrev_b32_e32 v15, 8, v15
	v_cndmask_b32_e64 v11, 0, v15, s11
.LBB2_271:                              ;   in Loop: Header=BB2_144 Depth=2
	s_or_b32 exec_lo, exec_lo, s26
.LBB2_272:                              ;   in Loop: Header=BB2_144 Depth=2
	s_delay_alu instid0(SALU_CYCLE_1) | instskip(SKIP_3) | instid1(VALU_DEP_1)
	s_or_b32 exec_lo, exec_lo, s25
	v_and_b32_e32 v112, 0xff, v16
	s_mov_b32 s12, 0
	s_mov_b32 s26, exec_lo
                                        ; implicit-def: $sgpr25
	v_cmpx_lt_i16_e32 0x7f, v112
	s_xor_b32 s26, exec_lo, s26
	s_cbranch_execnz .LBB2_462
; %bb.273:                              ;   in Loop: Header=BB2_144 Depth=2
	s_or_saveexec_b32 s26, s26
	v_mov_b32_e32 v15, s25
	s_xor_b32 exec_lo, exec_lo, s26
	s_cbranch_execnz .LBB2_465
.LBB2_274:                              ;   in Loop: Header=BB2_144 Depth=2
	s_or_b32 exec_lo, exec_lo, s26
	s_and_saveexec_b32 s25, s12
	s_cbranch_execz .LBB2_276
.LBB2_275:                              ;   in Loop: Header=BB2_144 Depth=2
	v_and_b32_e32 v15, 3, v16
	v_bfe_u32 v114, v16, 2, 5
	v_lshlrev_b32_e32 v115, 24, v16
	s_delay_alu instid0(VALU_DEP_3) | instskip(NEXT) | instid1(VALU_DEP_3)
	v_clz_i32_u32_e32 v112, v15
	v_cmp_eq_u32_e64 s11, 0, v114
	s_delay_alu instid0(VALU_DEP_2) | instskip(NEXT) | instid1(VALU_DEP_1)
	v_min_u32_e32 v112, 32, v112
	v_subrev_nc_u32_e32 v113, 29, v112
	v_sub_nc_u32_e32 v112, 30, v112
	s_delay_alu instid0(VALU_DEP_2) | instskip(NEXT) | instid1(VALU_DEP_2)
	v_lshlrev_b32_e32 v113, v113, v16
	v_cndmask_b32_e64 v112, v114, v112, s11
	s_delay_alu instid0(VALU_DEP_2) | instskip(NEXT) | instid1(VALU_DEP_2)
	v_and_b32_e32 v113, 3, v113
	v_lshl_add_u32 v112, v112, 23, 0x37800000
	s_delay_alu instid0(VALU_DEP_2) | instskip(SKIP_1) | instid1(VALU_DEP_2)
	v_cndmask_b32_e64 v15, v15, v113, s11
	v_and_b32_e32 v113, 0x80000000, v115
	v_lshlrev_b32_e32 v15, 21, v15
	s_delay_alu instid0(VALU_DEP_1)
	v_or3_b32 v15, v113, v112, v15
.LBB2_276:                              ;   in Loop: Header=BB2_144 Depth=2
	s_or_b32 exec_lo, exec_lo, s25
	v_and_b32_e32 v113, 0xff, v12
	s_mov_b32 s12, 0
	s_mov_b32 s26, exec_lo
                                        ; implicit-def: $sgpr25
	s_delay_alu instid0(VALU_DEP_1)
	v_cmpx_lt_i16_e32 0x7f, v113
	s_xor_b32 s26, exec_lo, s26
	s_cbranch_execnz .LBB2_466
; %bb.277:                              ;   in Loop: Header=BB2_144 Depth=2
	s_or_saveexec_b32 s26, s26
	v_mov_b32_e32 v112, s25
	s_xor_b32 exec_lo, exec_lo, s26
	s_cbranch_execnz .LBB2_469
.LBB2_278:                              ;   in Loop: Header=BB2_144 Depth=2
	s_or_b32 exec_lo, exec_lo, s26
	s_and_saveexec_b32 s25, s12
	s_cbranch_execz .LBB2_280
.LBB2_279:                              ;   in Loop: Header=BB2_144 Depth=2
	v_and_b32_e32 v112, 3, v12
	v_bfe_u32 v115, v12, 2, 5
	v_lshlrev_b32_e32 v116, 24, v12
	s_delay_alu instid0(VALU_DEP_3) | instskip(NEXT) | instid1(VALU_DEP_3)
	v_clz_i32_u32_e32 v113, v112
	v_cmp_eq_u32_e64 s11, 0, v115
	s_delay_alu instid0(VALU_DEP_2) | instskip(NEXT) | instid1(VALU_DEP_1)
	v_min_u32_e32 v113, 32, v113
	v_subrev_nc_u32_e32 v114, 29, v113
	v_sub_nc_u32_e32 v113, 30, v113
	s_delay_alu instid0(VALU_DEP_2) | instskip(NEXT) | instid1(VALU_DEP_2)
	v_lshlrev_b32_e32 v114, v114, v12
	v_cndmask_b32_e64 v113, v115, v113, s11
	s_delay_alu instid0(VALU_DEP_2) | instskip(NEXT) | instid1(VALU_DEP_2)
	v_and_b32_e32 v114, 3, v114
	v_lshl_add_u32 v113, v113, 23, 0x37800000
	s_delay_alu instid0(VALU_DEP_2) | instskip(SKIP_1) | instid1(VALU_DEP_2)
	v_cndmask_b32_e64 v112, v112, v114, s11
	v_and_b32_e32 v114, 0x80000000, v116
	v_lshlrev_b32_e32 v112, 21, v112
	s_delay_alu instid0(VALU_DEP_1)
	v_or3_b32 v112, v114, v113, v112
.LBB2_280:                              ;   in Loop: Header=BB2_144 Depth=2
	s_or_b32 exec_lo, exec_lo, s25
	s_delay_alu instid0(VALU_DEP_1) | instskip(NEXT) | instid1(VALU_DEP_1)
	v_mul_f32_e32 v112, v15, v112
	v_and_b32_e32 v15, 0x7f800000, v112
	s_delay_alu instid0(VALU_DEP_1) | instskip(SKIP_1) | instid1(VALU_DEP_2)
	v_cmp_ne_u32_e64 s11, 0x7f800000, v15
	v_mov_b32_e32 v15, 0x80
	s_and_saveexec_b32 s25, s11
	s_cbranch_execz .LBB2_288
; %bb.281:                              ;   in Loop: Header=BB2_144 Depth=2
	v_mov_b32_e32 v15, 0
	s_mov_b32 s26, exec_lo
	v_cmpx_ne_u32_e32 0, v112
	s_cbranch_execz .LBB2_287
; %bb.282:                              ;   in Loop: Header=BB2_144 Depth=2
	v_bfe_u32 v15, v112, 23, 8
	v_and_b32_e32 v113, 0x7fffff, v112
	s_delay_alu instid0(VALU_DEP_2) | instskip(SKIP_1) | instid1(VALU_DEP_3)
	v_sub_nc_u32_e32 v114, 0x70, v15
	v_cmp_gt_u32_e64 s11, 0x71, v15
	v_or_b32_e32 v115, 0x800000, v113
	s_delay_alu instid0(VALU_DEP_2) | instskip(SKIP_2) | instid1(VALU_DEP_2)
	v_cndmask_b32_e64 v114, 0, v114, s11
	v_cmp_eq_u32_e64 s11, 0, v15
	v_add_nc_u32_e32 v15, 0xffffff91, v15
	v_cndmask_b32_e64 v114, v114, 0x6f, s11
	v_cndmask_b32_e64 v113, v115, v113, s11
	s_delay_alu instid0(VALU_DEP_3) | instskip(NEXT) | instid1(VALU_DEP_3)
	v_cndmask_b32_e64 v15, v15, 0xffffff92, s11
	v_lshl_add_u32 v115, 0x200000, v114, -1
	s_delay_alu instid0(VALU_DEP_3) | instskip(SKIP_1) | instid1(VALU_DEP_4)
	v_lshrrev_b32_e32 v116, v114, v113
	v_lshlrev_b32_e64 v118, v114, 0x100000
	v_add_nc_u32_e32 v114, v114, v15
	s_delay_alu instid0(VALU_DEP_4) | instskip(NEXT) | instid1(VALU_DEP_4)
	v_and_b32_e32 v113, v115, v113
	v_bfe_u32 v117, v116, 21, 1
	s_delay_alu instid0(VALU_DEP_2) | instskip(NEXT) | instid1(VALU_DEP_2)
	v_cmp_eq_u32_e64 s12, v113, v118
	v_add_nc_u32_e32 v115, -1, v117
	s_delay_alu instid0(VALU_DEP_1) | instskip(SKIP_2) | instid1(VALU_DEP_2)
	v_cndmask_b32_e64 v113, 0, v115, s12
	v_lshrrev_b32_e32 v115, 23, v116
	s_mov_b32 s12, exec_lo
	v_add_nc_u32_e32 v113, v113, v116
	s_delay_alu instid0(VALU_DEP_2) | instskip(NEXT) | instid1(VALU_DEP_2)
	v_xor_b32_e32 v115, 1, v115
	v_and_b32_e32 v15, 0x1fffff, v113
	s_delay_alu instid0(VALU_DEP_1) | instskip(NEXT) | instid1(VALU_DEP_3)
	v_add_nc_u32_e32 v113, v15, v116
                                        ; implicit-def: $vgpr15
	v_cmpx_ne_u32_e64 v114, v115
	s_xor_b32 s12, exec_lo, s12
; %bb.283:                              ;   in Loop: Header=BB2_144 Depth=2
	s_delay_alu instid0(VALU_DEP_2) | instskip(SKIP_1) | instid1(VALU_DEP_2)
	v_cmp_lt_u32_e64 s11, 0xffffff, v113
	v_sub_nc_u32_e32 v15, v114, v115
	v_cndmask_b32_e64 v114, 0, 1, s11
	s_delay_alu instid0(VALU_DEP_2) | instskip(NEXT) | instid1(VALU_DEP_2)
	v_add_co_ci_u32_e64 v15, s11, 0, v15, s11
	v_lshrrev_b32_e32 v113, v114, v113
; %bb.284:                              ;   in Loop: Header=BB2_144 Depth=2
	s_and_not1_saveexec_b32 s11, s12
; %bb.285:                              ;   in Loop: Header=BB2_144 Depth=2
	s_delay_alu instid0(VALU_DEP_1)
	v_bfe_u32 v15, v113, 23, 1
; %bb.286:                              ;   in Loop: Header=BB2_144 Depth=2
	s_or_b32 exec_lo, exec_lo, s11
	v_lshrrev_b32_e32 v113, 21, v113
	s_delay_alu instid0(VALU_DEP_2) | instskip(SKIP_2) | instid1(VALU_DEP_3)
	v_cmp_gt_i32_e64 s11, 32, v15
	v_lshrrev_b32_e32 v112, 24, v112
	v_min_i32_e32 v114, 31, v15
	v_cndmask_b32_e64 v113, 3, v113, s11
	s_delay_alu instid0(VALU_DEP_3) | instskip(NEXT) | instid1(VALU_DEP_3)
	v_and_b32_e32 v112, 0x80, v112
	v_lshlrev_b32_e32 v114, 2, v114
	s_delay_alu instid0(VALU_DEP_3) | instskip(SKIP_1) | instid1(VALU_DEP_2)
	v_and_b32_e32 v115, 3, v113
	v_or_b32_e32 v15, v15, v113
	v_or3_b32 v112, v114, v112, v115
	s_delay_alu instid0(VALU_DEP_2) | instskip(NEXT) | instid1(VALU_DEP_1)
	v_cmp_ne_u32_e64 s11, 0, v15
	v_cndmask_b32_e64 v15, 0, v112, s11
.LBB2_287:                              ;   in Loop: Header=BB2_144 Depth=2
	s_or_b32 exec_lo, exec_lo, s26
.LBB2_288:                              ;   in Loop: Header=BB2_144 Depth=2
	s_delay_alu instid0(SALU_CYCLE_1) | instskip(SKIP_3) | instid1(VALU_DEP_1)
	s_or_b32 exec_lo, exec_lo, s25
	v_lshrrev_b16 v113, 8, v16
	s_mov_b32 s12, 0
	s_mov_b32 s26, exec_lo
                                        ; implicit-def: $sgpr25
	v_cmpx_lt_i16_e32 0x7f, v113
	s_xor_b32 s26, exec_lo, s26
	s_cbranch_execnz .LBB2_470
; %bb.289:                              ;   in Loop: Header=BB2_144 Depth=2
	s_or_saveexec_b32 s26, s26
	v_mov_b32_e32 v112, s25
	s_xor_b32 exec_lo, exec_lo, s26
	s_cbranch_execnz .LBB2_473
.LBB2_290:                              ;   in Loop: Header=BB2_144 Depth=2
	s_or_b32 exec_lo, exec_lo, s26
	s_and_saveexec_b32 s25, s12
	s_cbranch_execz .LBB2_292
.LBB2_291:                              ;   in Loop: Header=BB2_144 Depth=2
	v_and_b32_e32 v112, 0xffff, v113
	v_lshlrev_b32_e32 v113, 24, v113
	s_delay_alu instid0(VALU_DEP_2) | instskip(NEXT) | instid1(VALU_DEP_2)
	v_and_b32_e32 v114, 3, v112
	v_and_b32_e32 v113, 0x80000000, v113
	s_delay_alu instid0(VALU_DEP_2) | instskip(NEXT) | instid1(VALU_DEP_1)
	v_clz_i32_u32_e32 v115, v114
	v_min_u32_e32 v115, 32, v115
	s_delay_alu instid0(VALU_DEP_1) | instskip(SKIP_1) | instid1(VALU_DEP_2)
	v_subrev_nc_u32_e32 v116, 29, v115
	v_sub_nc_u32_e32 v115, 30, v115
	v_lshlrev_b32_e32 v116, v116, v112
	v_bfe_u32 v112, v112, 2, 5
	s_delay_alu instid0(VALU_DEP_2) | instskip(NEXT) | instid1(VALU_DEP_2)
	v_and_b32_e32 v116, 3, v116
	v_cmp_eq_u32_e64 s11, 0, v112
	s_delay_alu instid0(VALU_DEP_1) | instskip(NEXT) | instid1(VALU_DEP_3)
	v_cndmask_b32_e64 v112, v112, v115, s11
	v_cndmask_b32_e64 v114, v114, v116, s11
	s_delay_alu instid0(VALU_DEP_2) | instskip(NEXT) | instid1(VALU_DEP_2)
	v_lshl_add_u32 v112, v112, 23, 0x37800000
	v_lshlrev_b32_e32 v114, 21, v114
	s_delay_alu instid0(VALU_DEP_1)
	v_or3_b32 v112, v113, v112, v114
.LBB2_292:                              ;   in Loop: Header=BB2_144 Depth=2
	s_or_b32 exec_lo, exec_lo, s25
	v_lshrrev_b16 v113, 8, v12
	s_mov_b32 s12, 0
	s_mov_b32 s26, exec_lo
                                        ; implicit-def: $sgpr25
	s_delay_alu instid0(VALU_DEP_1)
	v_cmpx_lt_i16_e32 0x7f, v113
	s_xor_b32 s26, exec_lo, s26
	s_cbranch_execnz .LBB2_474
; %bb.293:                              ;   in Loop: Header=BB2_144 Depth=2
	s_or_saveexec_b32 s26, s26
	v_mov_b32_e32 v114, s25
	s_xor_b32 exec_lo, exec_lo, s26
	s_cbranch_execnz .LBB2_477
.LBB2_294:                              ;   in Loop: Header=BB2_144 Depth=2
	s_or_b32 exec_lo, exec_lo, s26
	s_and_saveexec_b32 s25, s12
	s_cbranch_execz .LBB2_296
.LBB2_295:                              ;   in Loop: Header=BB2_144 Depth=2
	v_and_b32_e32 v114, 0xffff, v113
	v_lshlrev_b32_e32 v113, 24, v113
	s_delay_alu instid0(VALU_DEP_2) | instskip(NEXT) | instid1(VALU_DEP_2)
	v_and_b32_e32 v115, 3, v114
	v_and_b32_e32 v113, 0x80000000, v113
	s_delay_alu instid0(VALU_DEP_2) | instskip(NEXT) | instid1(VALU_DEP_1)
	v_clz_i32_u32_e32 v116, v115
	v_min_u32_e32 v116, 32, v116
	s_delay_alu instid0(VALU_DEP_1) | instskip(SKIP_1) | instid1(VALU_DEP_2)
	v_subrev_nc_u32_e32 v117, 29, v116
	v_sub_nc_u32_e32 v116, 30, v116
	v_lshlrev_b32_e32 v117, v117, v114
	v_bfe_u32 v114, v114, 2, 5
	s_delay_alu instid0(VALU_DEP_2) | instskip(NEXT) | instid1(VALU_DEP_2)
	v_and_b32_e32 v117, 3, v117
	v_cmp_eq_u32_e64 s11, 0, v114
	s_delay_alu instid0(VALU_DEP_1) | instskip(NEXT) | instid1(VALU_DEP_3)
	v_cndmask_b32_e64 v114, v114, v116, s11
	v_cndmask_b32_e64 v115, v115, v117, s11
	s_delay_alu instid0(VALU_DEP_2) | instskip(NEXT) | instid1(VALU_DEP_2)
	v_lshl_add_u32 v114, v114, 23, 0x37800000
	v_lshlrev_b32_e32 v115, 21, v115
	s_delay_alu instid0(VALU_DEP_1)
	v_or3_b32 v114, v113, v114, v115
.LBB2_296:                              ;   in Loop: Header=BB2_144 Depth=2
	s_or_b32 exec_lo, exec_lo, s25
	s_delay_alu instid0(VALU_DEP_1) | instskip(NEXT) | instid1(VALU_DEP_1)
	v_mul_f32_e32 v113, v112, v114
	v_and_b32_e32 v112, 0x7f800000, v113
	s_delay_alu instid0(VALU_DEP_1) | instskip(SKIP_1) | instid1(VALU_DEP_2)
	v_cmp_ne_u32_e64 s11, 0x7f800000, v112
	v_mov_b32_e32 v112, 0x80
	s_and_saveexec_b32 s25, s11
	s_cbranch_execz .LBB2_304
; %bb.297:                              ;   in Loop: Header=BB2_144 Depth=2
	v_mov_b32_e32 v112, 0
	s_mov_b32 s26, exec_lo
	v_cmpx_ne_u32_e32 0, v113
	s_cbranch_execz .LBB2_303
; %bb.298:                              ;   in Loop: Header=BB2_144 Depth=2
	v_bfe_u32 v112, v113, 23, 8
	v_and_b32_e32 v114, 0x7fffff, v113
	s_delay_alu instid0(VALU_DEP_2) | instskip(SKIP_1) | instid1(VALU_DEP_3)
	v_sub_nc_u32_e32 v115, 0x70, v112
	v_cmp_gt_u32_e64 s11, 0x71, v112
	v_or_b32_e32 v116, 0x800000, v114
	s_delay_alu instid0(VALU_DEP_2) | instskip(SKIP_2) | instid1(VALU_DEP_2)
	v_cndmask_b32_e64 v115, 0, v115, s11
	v_cmp_eq_u32_e64 s11, 0, v112
	v_add_nc_u32_e32 v112, 0xffffff91, v112
	v_cndmask_b32_e64 v115, v115, 0x6f, s11
	v_cndmask_b32_e64 v114, v116, v114, s11
	s_delay_alu instid0(VALU_DEP_3) | instskip(NEXT) | instid1(VALU_DEP_3)
	v_cndmask_b32_e64 v112, v112, 0xffffff92, s11
	v_lshl_add_u32 v116, 0x200000, v115, -1
	s_delay_alu instid0(VALU_DEP_3) | instskip(SKIP_1) | instid1(VALU_DEP_4)
	v_lshrrev_b32_e32 v117, v115, v114
	v_lshlrev_b32_e64 v119, v115, 0x100000
	v_add_nc_u32_e32 v115, v115, v112
	s_delay_alu instid0(VALU_DEP_4) | instskip(NEXT) | instid1(VALU_DEP_4)
	v_and_b32_e32 v114, v116, v114
	v_bfe_u32 v118, v117, 21, 1
	s_delay_alu instid0(VALU_DEP_2) | instskip(NEXT) | instid1(VALU_DEP_2)
	v_cmp_eq_u32_e64 s12, v114, v119
	v_add_nc_u32_e32 v116, -1, v118
	s_delay_alu instid0(VALU_DEP_1) | instskip(SKIP_2) | instid1(VALU_DEP_2)
	v_cndmask_b32_e64 v114, 0, v116, s12
	v_lshrrev_b32_e32 v116, 23, v117
	s_mov_b32 s12, exec_lo
	v_add_nc_u32_e32 v114, v114, v117
	s_delay_alu instid0(VALU_DEP_2) | instskip(NEXT) | instid1(VALU_DEP_2)
	v_xor_b32_e32 v116, 1, v116
	v_and_b32_e32 v112, 0x1fffff, v114
	s_delay_alu instid0(VALU_DEP_1) | instskip(NEXT) | instid1(VALU_DEP_3)
	v_add_nc_u32_e32 v114, v112, v117
                                        ; implicit-def: $vgpr112
	v_cmpx_ne_u32_e64 v115, v116
	s_xor_b32 s12, exec_lo, s12
; %bb.299:                              ;   in Loop: Header=BB2_144 Depth=2
	s_delay_alu instid0(VALU_DEP_2) | instskip(SKIP_1) | instid1(VALU_DEP_2)
	v_cmp_lt_u32_e64 s11, 0xffffff, v114
	v_sub_nc_u32_e32 v112, v115, v116
	v_cndmask_b32_e64 v115, 0, 1, s11
	s_delay_alu instid0(VALU_DEP_2) | instskip(NEXT) | instid1(VALU_DEP_2)
	v_add_co_ci_u32_e64 v112, s11, 0, v112, s11
	v_lshrrev_b32_e32 v114, v115, v114
; %bb.300:                              ;   in Loop: Header=BB2_144 Depth=2
	s_and_not1_saveexec_b32 s11, s12
; %bb.301:                              ;   in Loop: Header=BB2_144 Depth=2
	s_delay_alu instid0(VALU_DEP_1)
	v_bfe_u32 v112, v114, 23, 1
; %bb.302:                              ;   in Loop: Header=BB2_144 Depth=2
	s_or_b32 exec_lo, exec_lo, s11
	v_lshrrev_b32_e32 v114, 21, v114
	s_delay_alu instid0(VALU_DEP_2) | instskip(SKIP_2) | instid1(VALU_DEP_3)
	v_cmp_gt_i32_e64 s11, 32, v112
	v_lshrrev_b32_e32 v113, 24, v113
	v_min_i32_e32 v115, 31, v112
	v_cndmask_b32_e64 v114, 3, v114, s11
	s_delay_alu instid0(VALU_DEP_3) | instskip(NEXT) | instid1(VALU_DEP_3)
	v_and_b32_e32 v113, 0x80, v113
	v_lshlrev_b32_e32 v115, 2, v115
	s_delay_alu instid0(VALU_DEP_3) | instskip(SKIP_1) | instid1(VALU_DEP_2)
	v_and_b32_e32 v116, 3, v114
	v_or_b32_e32 v112, v112, v114
	v_or3_b32 v113, v115, v113, v116
	s_delay_alu instid0(VALU_DEP_2) | instskip(NEXT) | instid1(VALU_DEP_1)
	v_cmp_ne_u32_e64 s11, 0, v112
	v_cndmask_b32_e64 v112, 0, v113, s11
.LBB2_303:                              ;   in Loop: Header=BB2_144 Depth=2
	s_or_b32 exec_lo, exec_lo, s26
.LBB2_304:                              ;   in Loop: Header=BB2_144 Depth=2
	s_delay_alu instid0(SALU_CYCLE_1) | instskip(SKIP_3) | instid1(VALU_DEP_1)
	s_or_b32 exec_lo, exec_lo, s25
	v_lshrrev_b32_e32 v114, 16, v16
	s_mov_b32 s12, 0
	s_mov_b32 s26, exec_lo
                                        ; implicit-def: $sgpr25
	v_and_b32_e32 v115, 0xff, v114
	s_delay_alu instid0(VALU_DEP_1)
	v_cmpx_lt_i16_e32 0x7f, v115
	s_xor_b32 s26, exec_lo, s26
	s_cbranch_execnz .LBB2_478
; %bb.305:                              ;   in Loop: Header=BB2_144 Depth=2
	s_or_saveexec_b32 s26, s26
	v_mov_b32_e32 v113, s25
	s_xor_b32 exec_lo, exec_lo, s26
	s_cbranch_execnz .LBB2_481
.LBB2_306:                              ;   in Loop: Header=BB2_144 Depth=2
	s_or_b32 exec_lo, exec_lo, s26
	s_and_saveexec_b32 s25, s12
	s_cbranch_execz .LBB2_308
.LBB2_307:                              ;   in Loop: Header=BB2_144 Depth=2
	v_bfe_u32 v113, v16, 16, 2
	v_lshlrev_b32_e32 v117, 8, v16
	s_delay_alu instid0(VALU_DEP_2) | instskip(NEXT) | instid1(VALU_DEP_1)
	v_clz_i32_u32_e32 v115, v113
	v_min_u32_e32 v115, 32, v115
	s_delay_alu instid0(VALU_DEP_1) | instskip(SKIP_1) | instid1(VALU_DEP_2)
	v_subrev_nc_u32_e32 v116, 29, v115
	v_sub_nc_u32_e32 v115, 30, v115
	v_lshlrev_b32_e32 v114, v116, v114
	v_bfe_u32 v116, v16, 18, 5
	s_delay_alu instid0(VALU_DEP_2) | instskip(NEXT) | instid1(VALU_DEP_2)
	v_and_b32_e32 v114, 3, v114
	v_cmp_eq_u32_e64 s11, 0, v116
	s_delay_alu instid0(VALU_DEP_1) | instskip(NEXT) | instid1(VALU_DEP_3)
	v_cndmask_b32_e64 v115, v116, v115, s11
	v_cndmask_b32_e64 v113, v113, v114, s11
	v_and_b32_e32 v114, 0x80000000, v117
	s_delay_alu instid0(VALU_DEP_3) | instskip(NEXT) | instid1(VALU_DEP_3)
	v_lshl_add_u32 v115, v115, 23, 0x37800000
	v_lshlrev_b32_e32 v113, 21, v113
	s_delay_alu instid0(VALU_DEP_1)
	v_or3_b32 v113, v114, v115, v113
.LBB2_308:                              ;   in Loop: Header=BB2_144 Depth=2
	s_or_b32 exec_lo, exec_lo, s25
	v_lshrrev_b32_e32 v114, 16, v12
	s_mov_b32 s12, 0
	s_mov_b32 s26, exec_lo
                                        ; implicit-def: $sgpr25
	s_delay_alu instid0(VALU_DEP_1) | instskip(NEXT) | instid1(VALU_DEP_1)
	v_and_b32_e32 v116, 0xff, v114
	v_cmpx_lt_i16_e32 0x7f, v116
	s_xor_b32 s26, exec_lo, s26
	s_cbranch_execnz .LBB2_482
; %bb.309:                              ;   in Loop: Header=BB2_144 Depth=2
	s_or_saveexec_b32 s26, s26
	v_mov_b32_e32 v115, s25
	s_xor_b32 exec_lo, exec_lo, s26
	s_cbranch_execnz .LBB2_485
.LBB2_310:                              ;   in Loop: Header=BB2_144 Depth=2
	s_or_b32 exec_lo, exec_lo, s26
	s_and_saveexec_b32 s25, s12
	s_cbranch_execz .LBB2_312
.LBB2_311:                              ;   in Loop: Header=BB2_144 Depth=2
	v_bfe_u32 v115, v12, 16, 2
	v_lshlrev_b32_e32 v118, 8, v12
	s_delay_alu instid0(VALU_DEP_2) | instskip(NEXT) | instid1(VALU_DEP_1)
	v_clz_i32_u32_e32 v116, v115
	v_min_u32_e32 v116, 32, v116
	s_delay_alu instid0(VALU_DEP_1) | instskip(SKIP_1) | instid1(VALU_DEP_2)
	v_subrev_nc_u32_e32 v117, 29, v116
	v_sub_nc_u32_e32 v116, 30, v116
	v_lshlrev_b32_e32 v114, v117, v114
	v_bfe_u32 v117, v12, 18, 5
	s_delay_alu instid0(VALU_DEP_2) | instskip(NEXT) | instid1(VALU_DEP_2)
	v_and_b32_e32 v114, 3, v114
	v_cmp_eq_u32_e64 s11, 0, v117
	s_delay_alu instid0(VALU_DEP_1) | instskip(NEXT) | instid1(VALU_DEP_3)
	v_cndmask_b32_e64 v116, v117, v116, s11
	v_cndmask_b32_e64 v114, v115, v114, s11
	v_and_b32_e32 v115, 0x80000000, v118
	s_delay_alu instid0(VALU_DEP_3) | instskip(NEXT) | instid1(VALU_DEP_3)
	v_lshl_add_u32 v116, v116, 23, 0x37800000
	v_lshlrev_b32_e32 v114, 21, v114
	s_delay_alu instid0(VALU_DEP_1)
	v_or3_b32 v115, v115, v116, v114
.LBB2_312:                              ;   in Loop: Header=BB2_144 Depth=2
	s_or_b32 exec_lo, exec_lo, s25
	s_delay_alu instid0(VALU_DEP_1) | instskip(NEXT) | instid1(VALU_DEP_1)
	v_mul_f32_e32 v114, v113, v115
	v_and_b32_e32 v113, 0x7f800000, v114
	s_delay_alu instid0(VALU_DEP_1) | instskip(SKIP_1) | instid1(VALU_DEP_2)
	v_cmp_ne_u32_e64 s11, 0x7f800000, v113
	v_mov_b32_e32 v113, 0x80
	s_and_saveexec_b32 s25, s11
	s_cbranch_execz .LBB2_320
; %bb.313:                              ;   in Loop: Header=BB2_144 Depth=2
	v_mov_b32_e32 v113, 0
	s_mov_b32 s26, exec_lo
	v_cmpx_ne_u32_e32 0, v114
	s_cbranch_execz .LBB2_319
; %bb.314:                              ;   in Loop: Header=BB2_144 Depth=2
	v_bfe_u32 v113, v114, 23, 8
	v_and_b32_e32 v115, 0x7fffff, v114
	s_delay_alu instid0(VALU_DEP_2) | instskip(SKIP_1) | instid1(VALU_DEP_3)
	v_sub_nc_u32_e32 v116, 0x70, v113
	v_cmp_gt_u32_e64 s11, 0x71, v113
	v_or_b32_e32 v117, 0x800000, v115
	s_delay_alu instid0(VALU_DEP_2) | instskip(SKIP_2) | instid1(VALU_DEP_2)
	v_cndmask_b32_e64 v116, 0, v116, s11
	v_cmp_eq_u32_e64 s11, 0, v113
	v_add_nc_u32_e32 v113, 0xffffff91, v113
	v_cndmask_b32_e64 v116, v116, 0x6f, s11
	v_cndmask_b32_e64 v115, v117, v115, s11
	s_delay_alu instid0(VALU_DEP_3) | instskip(NEXT) | instid1(VALU_DEP_3)
	v_cndmask_b32_e64 v113, v113, 0xffffff92, s11
	v_lshl_add_u32 v117, 0x200000, v116, -1
	s_delay_alu instid0(VALU_DEP_3) | instskip(SKIP_1) | instid1(VALU_DEP_4)
	v_lshrrev_b32_e32 v118, v116, v115
	v_lshlrev_b32_e64 v128, v116, 0x100000
	v_add_nc_u32_e32 v116, v116, v113
	s_delay_alu instid0(VALU_DEP_4) | instskip(NEXT) | instid1(VALU_DEP_4)
	v_and_b32_e32 v115, v117, v115
	v_bfe_u32 v119, v118, 21, 1
	s_delay_alu instid0(VALU_DEP_2) | instskip(NEXT) | instid1(VALU_DEP_2)
	v_cmp_eq_u32_e64 s12, v115, v128
	v_add_nc_u32_e32 v117, -1, v119
	s_delay_alu instid0(VALU_DEP_1) | instskip(SKIP_2) | instid1(VALU_DEP_2)
	v_cndmask_b32_e64 v115, 0, v117, s12
	v_lshrrev_b32_e32 v117, 23, v118
	s_mov_b32 s12, exec_lo
	v_add_nc_u32_e32 v115, v115, v118
	s_delay_alu instid0(VALU_DEP_2) | instskip(NEXT) | instid1(VALU_DEP_2)
	v_xor_b32_e32 v117, 1, v117
	v_and_b32_e32 v113, 0x1fffff, v115
	s_delay_alu instid0(VALU_DEP_1) | instskip(NEXT) | instid1(VALU_DEP_3)
	v_add_nc_u32_e32 v115, v113, v118
                                        ; implicit-def: $vgpr113
	v_cmpx_ne_u32_e64 v116, v117
	s_xor_b32 s12, exec_lo, s12
; %bb.315:                              ;   in Loop: Header=BB2_144 Depth=2
	s_delay_alu instid0(VALU_DEP_2) | instskip(SKIP_1) | instid1(VALU_DEP_2)
	v_cmp_lt_u32_e64 s11, 0xffffff, v115
	v_sub_nc_u32_e32 v113, v116, v117
	v_cndmask_b32_e64 v116, 0, 1, s11
	s_delay_alu instid0(VALU_DEP_2) | instskip(NEXT) | instid1(VALU_DEP_2)
	v_add_co_ci_u32_e64 v113, s11, 0, v113, s11
	v_lshrrev_b32_e32 v115, v116, v115
; %bb.316:                              ;   in Loop: Header=BB2_144 Depth=2
	s_and_not1_saveexec_b32 s11, s12
; %bb.317:                              ;   in Loop: Header=BB2_144 Depth=2
	s_delay_alu instid0(VALU_DEP_1)
	v_bfe_u32 v113, v115, 23, 1
; %bb.318:                              ;   in Loop: Header=BB2_144 Depth=2
	s_or_b32 exec_lo, exec_lo, s11
	v_lshrrev_b32_e32 v115, 21, v115
	s_delay_alu instid0(VALU_DEP_2) | instskip(SKIP_2) | instid1(VALU_DEP_3)
	v_cmp_gt_i32_e64 s11, 32, v113
	v_lshrrev_b32_e32 v114, 24, v114
	v_min_i32_e32 v116, 31, v113
	v_cndmask_b32_e64 v115, 3, v115, s11
	s_delay_alu instid0(VALU_DEP_3) | instskip(NEXT) | instid1(VALU_DEP_3)
	v_and_b32_e32 v114, 0x80, v114
	v_lshlrev_b32_e32 v116, 2, v116
	s_delay_alu instid0(VALU_DEP_3) | instskip(SKIP_1) | instid1(VALU_DEP_2)
	v_and_b32_e32 v117, 3, v115
	v_or_b32_e32 v113, v113, v115
	v_or3_b32 v114, v116, v114, v117
	s_delay_alu instid0(VALU_DEP_2) | instskip(NEXT) | instid1(VALU_DEP_1)
	v_cmp_ne_u32_e64 s11, 0, v113
	v_cndmask_b32_e64 v113, 0, v114, s11
.LBB2_319:                              ;   in Loop: Header=BB2_144 Depth=2
	s_or_b32 exec_lo, exec_lo, s26
.LBB2_320:                              ;   in Loop: Header=BB2_144 Depth=2
	s_delay_alu instid0(SALU_CYCLE_1) | instskip(SKIP_3) | instid1(VALU_DEP_1)
	s_or_b32 exec_lo, exec_lo, s25
	v_lshrrev_b32_e32 v115, 24, v16
	s_mov_b32 s12, 0
	s_mov_b32 s26, exec_lo
                                        ; implicit-def: $sgpr25
	v_cmpx_lt_i16_e32 0x7f, v115
	s_xor_b32 s26, exec_lo, s26
	s_cbranch_execnz .LBB2_486
; %bb.321:                              ;   in Loop: Header=BB2_144 Depth=2
	s_or_saveexec_b32 s26, s26
	v_mov_b32_e32 v114, s25
	s_xor_b32 exec_lo, exec_lo, s26
	s_cbranch_execnz .LBB2_489
.LBB2_322:                              ;   in Loop: Header=BB2_144 Depth=2
	s_or_b32 exec_lo, exec_lo, s26
	s_and_saveexec_b32 s25, s12
	s_cbranch_execz .LBB2_324
.LBB2_323:                              ;   in Loop: Header=BB2_144 Depth=2
	v_bfe_u32 v114, v16, 24, 2
	s_delay_alu instid0(VALU_DEP_1) | instskip(NEXT) | instid1(VALU_DEP_1)
	v_clz_i32_u32_e32 v116, v114
	v_min_u32_e32 v116, 32, v116
	s_delay_alu instid0(VALU_DEP_1) | instskip(SKIP_1) | instid1(VALU_DEP_2)
	v_subrev_nc_u32_e32 v117, 29, v116
	v_sub_nc_u32_e32 v116, 30, v116
	v_lshlrev_b32_e32 v115, v117, v115
	v_bfe_u32 v117, v16, 26, 5
	v_and_b32_e32 v16, 0x80000000, v16
	s_delay_alu instid0(VALU_DEP_3) | instskip(NEXT) | instid1(VALU_DEP_3)
	v_and_b32_e32 v115, 3, v115
	v_cmp_eq_u32_e64 s11, 0, v117
	s_delay_alu instid0(VALU_DEP_1) | instskip(NEXT) | instid1(VALU_DEP_3)
	v_cndmask_b32_e64 v116, v117, v116, s11
	v_cndmask_b32_e64 v114, v114, v115, s11
	s_delay_alu instid0(VALU_DEP_2) | instskip(NEXT) | instid1(VALU_DEP_2)
	v_lshl_add_u32 v115, v116, 23, 0x37800000
	v_lshlrev_b32_e32 v114, 21, v114
	s_delay_alu instid0(VALU_DEP_1)
	v_or3_b32 v114, v16, v115, v114
.LBB2_324:                              ;   in Loop: Header=BB2_144 Depth=2
	s_or_b32 exec_lo, exec_lo, s25
	v_lshrrev_b32_e32 v16, 24, v12
	s_mov_b32 s12, 0
	s_mov_b32 s26, exec_lo
                                        ; implicit-def: $sgpr25
	s_delay_alu instid0(VALU_DEP_1)
	v_cmpx_lt_i16_e32 0x7f, v16
	s_xor_b32 s26, exec_lo, s26
	s_cbranch_execnz .LBB2_490
; %bb.325:                              ;   in Loop: Header=BB2_144 Depth=2
	s_or_saveexec_b32 s26, s26
	v_mov_b32_e32 v115, s25
	s_xor_b32 exec_lo, exec_lo, s26
	s_cbranch_execnz .LBB2_493
.LBB2_326:                              ;   in Loop: Header=BB2_144 Depth=2
	s_or_b32 exec_lo, exec_lo, s26
	s_and_saveexec_b32 s25, s12
	s_cbranch_execz .LBB2_328
.LBB2_327:                              ;   in Loop: Header=BB2_144 Depth=2
	v_bfe_u32 v115, v12, 24, 2
	s_delay_alu instid0(VALU_DEP_1) | instskip(NEXT) | instid1(VALU_DEP_1)
	v_clz_i32_u32_e32 v116, v115
	v_min_u32_e32 v116, 32, v116
	s_delay_alu instid0(VALU_DEP_1) | instskip(SKIP_1) | instid1(VALU_DEP_2)
	v_subrev_nc_u32_e32 v117, 29, v116
	v_sub_nc_u32_e32 v116, 30, v116
	v_lshlrev_b32_e32 v16, v117, v16
	v_bfe_u32 v117, v12, 26, 5
	v_and_b32_e32 v12, 0x80000000, v12
	s_delay_alu instid0(VALU_DEP_3) | instskip(NEXT) | instid1(VALU_DEP_3)
	v_and_b32_e32 v16, 3, v16
	v_cmp_eq_u32_e64 s11, 0, v117
	s_delay_alu instid0(VALU_DEP_1) | instskip(NEXT) | instid1(VALU_DEP_3)
	v_cndmask_b32_e64 v116, v117, v116, s11
	v_cndmask_b32_e64 v16, v115, v16, s11
	s_delay_alu instid0(VALU_DEP_2) | instskip(NEXT) | instid1(VALU_DEP_2)
	v_lshl_add_u32 v115, v116, 23, 0x37800000
	v_lshlrev_b32_e32 v16, 21, v16
	s_delay_alu instid0(VALU_DEP_1)
	v_or3_b32 v115, v12, v115, v16
.LBB2_328:                              ;   in Loop: Header=BB2_144 Depth=2
	s_or_b32 exec_lo, exec_lo, s25
	s_delay_alu instid0(VALU_DEP_1) | instskip(NEXT) | instid1(VALU_DEP_1)
	v_mul_f32_e32 v16, v114, v115
	v_and_b32_e32 v12, 0x7f800000, v16
	s_delay_alu instid0(VALU_DEP_1) | instskip(SKIP_1) | instid1(VALU_DEP_2)
	v_cmp_ne_u32_e64 s11, 0x7f800000, v12
	v_mov_b32_e32 v12, 0x80
	s_and_saveexec_b32 s25, s11
	s_cbranch_execz .LBB2_336
; %bb.329:                              ;   in Loop: Header=BB2_144 Depth=2
	v_mov_b32_e32 v12, 0
	s_mov_b32 s26, exec_lo
	v_cmpx_ne_u32_e32 0, v16
	s_cbranch_execz .LBB2_335
; %bb.330:                              ;   in Loop: Header=BB2_144 Depth=2
	v_bfe_u32 v12, v16, 23, 8
	v_and_b32_e32 v114, 0x7fffff, v16
	s_delay_alu instid0(VALU_DEP_2) | instskip(SKIP_1) | instid1(VALU_DEP_3)
	v_sub_nc_u32_e32 v115, 0x70, v12
	v_cmp_gt_u32_e64 s11, 0x71, v12
	v_or_b32_e32 v116, 0x800000, v114
	s_delay_alu instid0(VALU_DEP_2) | instskip(SKIP_2) | instid1(VALU_DEP_2)
	v_cndmask_b32_e64 v115, 0, v115, s11
	v_cmp_eq_u32_e64 s11, 0, v12
	v_add_nc_u32_e32 v12, 0xffffff91, v12
	v_cndmask_b32_e64 v115, v115, 0x6f, s11
	v_cndmask_b32_e64 v114, v116, v114, s11
	s_delay_alu instid0(VALU_DEP_3) | instskip(NEXT) | instid1(VALU_DEP_3)
	v_cndmask_b32_e64 v12, v12, 0xffffff92, s11
	v_lshl_add_u32 v116, 0x200000, v115, -1
	s_delay_alu instid0(VALU_DEP_3) | instskip(SKIP_1) | instid1(VALU_DEP_4)
	v_lshrrev_b32_e32 v117, v115, v114
	v_lshlrev_b32_e64 v119, v115, 0x100000
	v_add_nc_u32_e32 v115, v115, v12
	s_delay_alu instid0(VALU_DEP_4) | instskip(NEXT) | instid1(VALU_DEP_4)
	v_and_b32_e32 v114, v116, v114
	v_bfe_u32 v118, v117, 21, 1
	s_delay_alu instid0(VALU_DEP_2) | instskip(NEXT) | instid1(VALU_DEP_2)
	v_cmp_eq_u32_e64 s12, v114, v119
	v_add_nc_u32_e32 v116, -1, v118
	s_delay_alu instid0(VALU_DEP_1) | instskip(SKIP_2) | instid1(VALU_DEP_2)
	v_cndmask_b32_e64 v114, 0, v116, s12
	v_lshrrev_b32_e32 v116, 23, v117
	s_mov_b32 s12, exec_lo
	v_add_nc_u32_e32 v114, v114, v117
	s_delay_alu instid0(VALU_DEP_2) | instskip(NEXT) | instid1(VALU_DEP_2)
	v_xor_b32_e32 v116, 1, v116
	v_and_b32_e32 v12, 0x1fffff, v114
	s_delay_alu instid0(VALU_DEP_1) | instskip(NEXT) | instid1(VALU_DEP_3)
	v_add_nc_u32_e32 v114, v12, v117
                                        ; implicit-def: $vgpr12
	v_cmpx_ne_u32_e64 v115, v116
	s_xor_b32 s12, exec_lo, s12
; %bb.331:                              ;   in Loop: Header=BB2_144 Depth=2
	s_delay_alu instid0(VALU_DEP_2) | instskip(SKIP_1) | instid1(VALU_DEP_2)
	v_cmp_lt_u32_e64 s11, 0xffffff, v114
	v_sub_nc_u32_e32 v12, v115, v116
	v_cndmask_b32_e64 v115, 0, 1, s11
	s_delay_alu instid0(VALU_DEP_2) | instskip(NEXT) | instid1(VALU_DEP_2)
	v_add_co_ci_u32_e64 v12, s11, 0, v12, s11
	v_lshrrev_b32_e32 v114, v115, v114
; %bb.332:                              ;   in Loop: Header=BB2_144 Depth=2
	s_and_not1_saveexec_b32 s11, s12
; %bb.333:                              ;   in Loop: Header=BB2_144 Depth=2
	s_delay_alu instid0(VALU_DEP_1)
	v_bfe_u32 v12, v114, 23, 1
; %bb.334:                              ;   in Loop: Header=BB2_144 Depth=2
	s_or_b32 exec_lo, exec_lo, s11
	v_lshrrev_b32_e32 v114, 21, v114
	s_delay_alu instid0(VALU_DEP_2) | instskip(SKIP_2) | instid1(VALU_DEP_3)
	v_cmp_gt_i32_e64 s11, 32, v12
	v_lshrrev_b32_e32 v16, 24, v16
	v_min_i32_e32 v115, 31, v12
	v_cndmask_b32_e64 v114, 3, v114, s11
	s_delay_alu instid0(VALU_DEP_3) | instskip(NEXT) | instid1(VALU_DEP_3)
	v_and_b32_e32 v16, 0x80, v16
	v_lshlrev_b32_e32 v115, 2, v115
	s_delay_alu instid0(VALU_DEP_3) | instskip(SKIP_1) | instid1(VALU_DEP_2)
	v_and_b32_e32 v116, 3, v114
	v_or_b32_e32 v12, v12, v114
	v_or3_b32 v16, v115, v16, v116
	s_delay_alu instid0(VALU_DEP_2) | instskip(NEXT) | instid1(VALU_DEP_1)
	v_cmp_ne_u32_e64 s11, 0, v12
	v_cndmask_b32_e64 v12, 0, v16, s11
.LBB2_335:                              ;   in Loop: Header=BB2_144 Depth=2
	s_or_b32 exec_lo, exec_lo, s26
.LBB2_336:                              ;   in Loop: Header=BB2_144 Depth=2
	s_delay_alu instid0(SALU_CYCLE_1) | instskip(SKIP_3) | instid1(VALU_DEP_1)
	s_or_b32 exec_lo, exec_lo, s25
	v_and_b32_e32 v114, 0xff, v17
	s_mov_b32 s12, 0
	s_mov_b32 s26, exec_lo
                                        ; implicit-def: $sgpr25
	v_cmpx_lt_i16_e32 0x7f, v114
	s_xor_b32 s26, exec_lo, s26
	s_cbranch_execnz .LBB2_494
; %bb.337:                              ;   in Loop: Header=BB2_144 Depth=2
	s_or_saveexec_b32 s26, s26
	v_mov_b32_e32 v16, s25
	s_xor_b32 exec_lo, exec_lo, s26
	s_cbranch_execnz .LBB2_497
.LBB2_338:                              ;   in Loop: Header=BB2_144 Depth=2
	s_or_b32 exec_lo, exec_lo, s26
	s_and_saveexec_b32 s25, s12
	s_cbranch_execz .LBB2_340
.LBB2_339:                              ;   in Loop: Header=BB2_144 Depth=2
	v_and_b32_e32 v16, 3, v17
	v_bfe_u32 v116, v17, 2, 5
	v_lshlrev_b32_e32 v117, 24, v17
	s_delay_alu instid0(VALU_DEP_3) | instskip(NEXT) | instid1(VALU_DEP_3)
	v_clz_i32_u32_e32 v114, v16
	v_cmp_eq_u32_e64 s11, 0, v116
	s_delay_alu instid0(VALU_DEP_2) | instskip(NEXT) | instid1(VALU_DEP_1)
	v_min_u32_e32 v114, 32, v114
	v_subrev_nc_u32_e32 v115, 29, v114
	v_sub_nc_u32_e32 v114, 30, v114
	s_delay_alu instid0(VALU_DEP_2) | instskip(NEXT) | instid1(VALU_DEP_2)
	v_lshlrev_b32_e32 v115, v115, v17
	v_cndmask_b32_e64 v114, v116, v114, s11
	s_delay_alu instid0(VALU_DEP_2) | instskip(NEXT) | instid1(VALU_DEP_2)
	v_and_b32_e32 v115, 3, v115
	v_lshl_add_u32 v114, v114, 23, 0x37800000
	s_delay_alu instid0(VALU_DEP_2) | instskip(SKIP_1) | instid1(VALU_DEP_2)
	v_cndmask_b32_e64 v16, v16, v115, s11
	v_and_b32_e32 v115, 0x80000000, v117
	v_lshlrev_b32_e32 v16, 21, v16
	s_delay_alu instid0(VALU_DEP_1)
	v_or3_b32 v16, v115, v114, v16
.LBB2_340:                              ;   in Loop: Header=BB2_144 Depth=2
	s_or_b32 exec_lo, exec_lo, s25
	v_and_b32_e32 v115, 0xff, v13
	s_mov_b32 s12, 0
	s_mov_b32 s26, exec_lo
                                        ; implicit-def: $sgpr25
	s_delay_alu instid0(VALU_DEP_1)
	v_cmpx_lt_i16_e32 0x7f, v115
	s_xor_b32 s26, exec_lo, s26
	s_cbranch_execnz .LBB2_498
; %bb.341:                              ;   in Loop: Header=BB2_144 Depth=2
	s_or_saveexec_b32 s26, s26
	v_mov_b32_e32 v114, s25
	s_xor_b32 exec_lo, exec_lo, s26
	s_cbranch_execnz .LBB2_501
.LBB2_342:                              ;   in Loop: Header=BB2_144 Depth=2
	s_or_b32 exec_lo, exec_lo, s26
	s_and_saveexec_b32 s25, s12
	s_cbranch_execz .LBB2_344
.LBB2_343:                              ;   in Loop: Header=BB2_144 Depth=2
	v_and_b32_e32 v114, 3, v13
	v_bfe_u32 v117, v13, 2, 5
	v_lshlrev_b32_e32 v118, 24, v13
	s_delay_alu instid0(VALU_DEP_3) | instskip(NEXT) | instid1(VALU_DEP_3)
	v_clz_i32_u32_e32 v115, v114
	v_cmp_eq_u32_e64 s11, 0, v117
	s_delay_alu instid0(VALU_DEP_2) | instskip(NEXT) | instid1(VALU_DEP_1)
	v_min_u32_e32 v115, 32, v115
	v_subrev_nc_u32_e32 v116, 29, v115
	v_sub_nc_u32_e32 v115, 30, v115
	s_delay_alu instid0(VALU_DEP_2) | instskip(NEXT) | instid1(VALU_DEP_2)
	v_lshlrev_b32_e32 v116, v116, v13
	v_cndmask_b32_e64 v115, v117, v115, s11
	s_delay_alu instid0(VALU_DEP_2) | instskip(NEXT) | instid1(VALU_DEP_2)
	v_and_b32_e32 v116, 3, v116
	v_lshl_add_u32 v115, v115, 23, 0x37800000
	s_delay_alu instid0(VALU_DEP_2) | instskip(SKIP_1) | instid1(VALU_DEP_2)
	v_cndmask_b32_e64 v114, v114, v116, s11
	v_and_b32_e32 v116, 0x80000000, v118
	v_lshlrev_b32_e32 v114, 21, v114
	s_delay_alu instid0(VALU_DEP_1)
	v_or3_b32 v114, v116, v115, v114
.LBB2_344:                              ;   in Loop: Header=BB2_144 Depth=2
	s_or_b32 exec_lo, exec_lo, s25
	s_delay_alu instid0(VALU_DEP_1) | instskip(NEXT) | instid1(VALU_DEP_1)
	v_mul_f32_e32 v114, v16, v114
	v_and_b32_e32 v16, 0x7f800000, v114
	s_delay_alu instid0(VALU_DEP_1) | instskip(SKIP_1) | instid1(VALU_DEP_2)
	v_cmp_ne_u32_e64 s11, 0x7f800000, v16
	v_mov_b32_e32 v16, 0x80
	s_and_saveexec_b32 s25, s11
	s_cbranch_execz .LBB2_352
; %bb.345:                              ;   in Loop: Header=BB2_144 Depth=2
	v_mov_b32_e32 v16, 0
	s_mov_b32 s26, exec_lo
	v_cmpx_ne_u32_e32 0, v114
	s_cbranch_execz .LBB2_351
; %bb.346:                              ;   in Loop: Header=BB2_144 Depth=2
	v_bfe_u32 v16, v114, 23, 8
	v_and_b32_e32 v115, 0x7fffff, v114
	s_delay_alu instid0(VALU_DEP_2) | instskip(SKIP_1) | instid1(VALU_DEP_3)
	v_sub_nc_u32_e32 v116, 0x70, v16
	v_cmp_gt_u32_e64 s11, 0x71, v16
	v_or_b32_e32 v117, 0x800000, v115
	s_delay_alu instid0(VALU_DEP_2) | instskip(SKIP_2) | instid1(VALU_DEP_2)
	v_cndmask_b32_e64 v116, 0, v116, s11
	v_cmp_eq_u32_e64 s11, 0, v16
	v_add_nc_u32_e32 v16, 0xffffff91, v16
	v_cndmask_b32_e64 v116, v116, 0x6f, s11
	v_cndmask_b32_e64 v115, v117, v115, s11
	s_delay_alu instid0(VALU_DEP_3) | instskip(NEXT) | instid1(VALU_DEP_3)
	v_cndmask_b32_e64 v16, v16, 0xffffff92, s11
	v_lshl_add_u32 v117, 0x200000, v116, -1
	s_delay_alu instid0(VALU_DEP_3) | instskip(SKIP_1) | instid1(VALU_DEP_4)
	v_lshrrev_b32_e32 v118, v116, v115
	v_lshlrev_b32_e64 v128, v116, 0x100000
	v_add_nc_u32_e32 v116, v116, v16
	s_delay_alu instid0(VALU_DEP_4) | instskip(NEXT) | instid1(VALU_DEP_4)
	v_and_b32_e32 v115, v117, v115
	v_bfe_u32 v119, v118, 21, 1
	s_delay_alu instid0(VALU_DEP_2) | instskip(NEXT) | instid1(VALU_DEP_2)
	v_cmp_eq_u32_e64 s12, v115, v128
	v_add_nc_u32_e32 v117, -1, v119
	s_delay_alu instid0(VALU_DEP_1) | instskip(SKIP_2) | instid1(VALU_DEP_2)
	v_cndmask_b32_e64 v115, 0, v117, s12
	v_lshrrev_b32_e32 v117, 23, v118
	s_mov_b32 s12, exec_lo
	v_add_nc_u32_e32 v115, v115, v118
	s_delay_alu instid0(VALU_DEP_2) | instskip(NEXT) | instid1(VALU_DEP_2)
	v_xor_b32_e32 v117, 1, v117
	v_and_b32_e32 v16, 0x1fffff, v115
	s_delay_alu instid0(VALU_DEP_1) | instskip(NEXT) | instid1(VALU_DEP_3)
	v_add_nc_u32_e32 v115, v16, v118
                                        ; implicit-def: $vgpr16
	v_cmpx_ne_u32_e64 v116, v117
	s_xor_b32 s12, exec_lo, s12
; %bb.347:                              ;   in Loop: Header=BB2_144 Depth=2
	s_delay_alu instid0(VALU_DEP_2) | instskip(SKIP_1) | instid1(VALU_DEP_2)
	v_cmp_lt_u32_e64 s11, 0xffffff, v115
	v_sub_nc_u32_e32 v16, v116, v117
	v_cndmask_b32_e64 v116, 0, 1, s11
	s_delay_alu instid0(VALU_DEP_2) | instskip(NEXT) | instid1(VALU_DEP_2)
	v_add_co_ci_u32_e64 v16, s11, 0, v16, s11
	v_lshrrev_b32_e32 v115, v116, v115
; %bb.348:                              ;   in Loop: Header=BB2_144 Depth=2
	s_and_not1_saveexec_b32 s11, s12
; %bb.349:                              ;   in Loop: Header=BB2_144 Depth=2
	s_delay_alu instid0(VALU_DEP_1)
	v_bfe_u32 v16, v115, 23, 1
; %bb.350:                              ;   in Loop: Header=BB2_144 Depth=2
	s_or_b32 exec_lo, exec_lo, s11
	v_lshrrev_b32_e32 v115, 21, v115
	s_delay_alu instid0(VALU_DEP_2) | instskip(SKIP_2) | instid1(VALU_DEP_3)
	v_cmp_gt_i32_e64 s11, 32, v16
	v_lshrrev_b32_e32 v114, 24, v114
	v_min_i32_e32 v116, 31, v16
	v_cndmask_b32_e64 v115, 3, v115, s11
	s_delay_alu instid0(VALU_DEP_3) | instskip(NEXT) | instid1(VALU_DEP_3)
	v_and_b32_e32 v114, 0x80, v114
	v_lshlrev_b32_e32 v116, 2, v116
	s_delay_alu instid0(VALU_DEP_3) | instskip(SKIP_1) | instid1(VALU_DEP_2)
	v_and_b32_e32 v117, 3, v115
	v_or_b32_e32 v16, v16, v115
	v_or3_b32 v114, v116, v114, v117
	s_delay_alu instid0(VALU_DEP_2) | instskip(NEXT) | instid1(VALU_DEP_1)
	v_cmp_ne_u32_e64 s11, 0, v16
	v_cndmask_b32_e64 v16, 0, v114, s11
.LBB2_351:                              ;   in Loop: Header=BB2_144 Depth=2
	s_or_b32 exec_lo, exec_lo, s26
.LBB2_352:                              ;   in Loop: Header=BB2_144 Depth=2
	s_delay_alu instid0(SALU_CYCLE_1) | instskip(SKIP_3) | instid1(VALU_DEP_1)
	s_or_b32 exec_lo, exec_lo, s25
	v_lshrrev_b16 v115, 8, v17
	s_mov_b32 s12, 0
	s_mov_b32 s26, exec_lo
                                        ; implicit-def: $sgpr25
	v_cmpx_lt_i16_e32 0x7f, v115
	s_xor_b32 s26, exec_lo, s26
	s_cbranch_execnz .LBB2_502
; %bb.353:                              ;   in Loop: Header=BB2_144 Depth=2
	s_or_saveexec_b32 s26, s26
	v_mov_b32_e32 v114, s25
	s_xor_b32 exec_lo, exec_lo, s26
	s_cbranch_execnz .LBB2_505
.LBB2_354:                              ;   in Loop: Header=BB2_144 Depth=2
	s_or_b32 exec_lo, exec_lo, s26
	s_and_saveexec_b32 s25, s12
	s_cbranch_execz .LBB2_356
.LBB2_355:                              ;   in Loop: Header=BB2_144 Depth=2
	v_and_b32_e32 v114, 0xffff, v115
	v_lshlrev_b32_e32 v115, 24, v115
	s_delay_alu instid0(VALU_DEP_2) | instskip(NEXT) | instid1(VALU_DEP_2)
	v_and_b32_e32 v116, 3, v114
	v_and_b32_e32 v115, 0x80000000, v115
	s_delay_alu instid0(VALU_DEP_2) | instskip(NEXT) | instid1(VALU_DEP_1)
	v_clz_i32_u32_e32 v117, v116
	v_min_u32_e32 v117, 32, v117
	s_delay_alu instid0(VALU_DEP_1) | instskip(SKIP_1) | instid1(VALU_DEP_2)
	v_subrev_nc_u32_e32 v118, 29, v117
	v_sub_nc_u32_e32 v117, 30, v117
	v_lshlrev_b32_e32 v118, v118, v114
	v_bfe_u32 v114, v114, 2, 5
	s_delay_alu instid0(VALU_DEP_2) | instskip(NEXT) | instid1(VALU_DEP_2)
	v_and_b32_e32 v118, 3, v118
	v_cmp_eq_u32_e64 s11, 0, v114
	s_delay_alu instid0(VALU_DEP_1) | instskip(NEXT) | instid1(VALU_DEP_3)
	v_cndmask_b32_e64 v114, v114, v117, s11
	v_cndmask_b32_e64 v116, v116, v118, s11
	s_delay_alu instid0(VALU_DEP_2) | instskip(NEXT) | instid1(VALU_DEP_2)
	v_lshl_add_u32 v114, v114, 23, 0x37800000
	v_lshlrev_b32_e32 v116, 21, v116
	s_delay_alu instid0(VALU_DEP_1)
	v_or3_b32 v114, v115, v114, v116
.LBB2_356:                              ;   in Loop: Header=BB2_144 Depth=2
	s_or_b32 exec_lo, exec_lo, s25
	v_lshrrev_b16 v115, 8, v13
	s_mov_b32 s12, 0
	s_mov_b32 s26, exec_lo
                                        ; implicit-def: $sgpr25
	s_delay_alu instid0(VALU_DEP_1)
	v_cmpx_lt_i16_e32 0x7f, v115
	s_xor_b32 s26, exec_lo, s26
	s_cbranch_execnz .LBB2_506
; %bb.357:                              ;   in Loop: Header=BB2_144 Depth=2
	s_or_saveexec_b32 s26, s26
	v_mov_b32_e32 v116, s25
	s_xor_b32 exec_lo, exec_lo, s26
	s_cbranch_execnz .LBB2_509
.LBB2_358:                              ;   in Loop: Header=BB2_144 Depth=2
	s_or_b32 exec_lo, exec_lo, s26
	s_and_saveexec_b32 s25, s12
	s_cbranch_execz .LBB2_360
.LBB2_359:                              ;   in Loop: Header=BB2_144 Depth=2
	v_and_b32_e32 v116, 0xffff, v115
	v_lshlrev_b32_e32 v115, 24, v115
	s_delay_alu instid0(VALU_DEP_2) | instskip(NEXT) | instid1(VALU_DEP_2)
	v_and_b32_e32 v117, 3, v116
	v_and_b32_e32 v115, 0x80000000, v115
	s_delay_alu instid0(VALU_DEP_2) | instskip(NEXT) | instid1(VALU_DEP_1)
	v_clz_i32_u32_e32 v118, v117
	v_min_u32_e32 v118, 32, v118
	s_delay_alu instid0(VALU_DEP_1) | instskip(SKIP_1) | instid1(VALU_DEP_2)
	v_subrev_nc_u32_e32 v119, 29, v118
	v_sub_nc_u32_e32 v118, 30, v118
	v_lshlrev_b32_e32 v119, v119, v116
	v_bfe_u32 v116, v116, 2, 5
	s_delay_alu instid0(VALU_DEP_2) | instskip(NEXT) | instid1(VALU_DEP_2)
	v_and_b32_e32 v119, 3, v119
	v_cmp_eq_u32_e64 s11, 0, v116
	s_delay_alu instid0(VALU_DEP_1) | instskip(NEXT) | instid1(VALU_DEP_3)
	v_cndmask_b32_e64 v116, v116, v118, s11
	v_cndmask_b32_e64 v117, v117, v119, s11
	s_delay_alu instid0(VALU_DEP_2) | instskip(NEXT) | instid1(VALU_DEP_2)
	v_lshl_add_u32 v116, v116, 23, 0x37800000
	v_lshlrev_b32_e32 v117, 21, v117
	s_delay_alu instid0(VALU_DEP_1)
	v_or3_b32 v116, v115, v116, v117
.LBB2_360:                              ;   in Loop: Header=BB2_144 Depth=2
	s_or_b32 exec_lo, exec_lo, s25
	s_delay_alu instid0(VALU_DEP_1) | instskip(NEXT) | instid1(VALU_DEP_1)
	v_mul_f32_e32 v115, v114, v116
	v_and_b32_e32 v114, 0x7f800000, v115
	s_delay_alu instid0(VALU_DEP_1) | instskip(SKIP_1) | instid1(VALU_DEP_2)
	v_cmp_ne_u32_e64 s11, 0x7f800000, v114
	v_mov_b32_e32 v114, 0x8000
	s_and_saveexec_b32 s25, s11
	s_cbranch_execz .LBB2_368
; %bb.361:                              ;   in Loop: Header=BB2_144 Depth=2
	v_mov_b32_e32 v114, 0
	s_mov_b32 s26, exec_lo
	v_cmpx_ne_u32_e32 0, v115
	s_cbranch_execz .LBB2_367
; %bb.362:                              ;   in Loop: Header=BB2_144 Depth=2
	v_bfe_u32 v114, v115, 23, 8
	v_and_b32_e32 v116, 0x7fffff, v115
	s_delay_alu instid0(VALU_DEP_2) | instskip(SKIP_1) | instid1(VALU_DEP_3)
	v_sub_nc_u32_e32 v117, 0x70, v114
	v_cmp_gt_u32_e64 s11, 0x71, v114
	v_or_b32_e32 v118, 0x800000, v116
	s_delay_alu instid0(VALU_DEP_2) | instskip(SKIP_2) | instid1(VALU_DEP_2)
	v_cndmask_b32_e64 v117, 0, v117, s11
	v_cmp_eq_u32_e64 s11, 0, v114
	v_add_nc_u32_e32 v114, 0xffffff91, v114
	v_cndmask_b32_e64 v117, v117, 0x6f, s11
	v_cndmask_b32_e64 v116, v118, v116, s11
	s_delay_alu instid0(VALU_DEP_3) | instskip(NEXT) | instid1(VALU_DEP_3)
	v_cndmask_b32_e64 v114, v114, 0xffffff92, s11
	v_lshl_add_u32 v118, 0x200000, v117, -1
	s_delay_alu instid0(VALU_DEP_3) | instskip(SKIP_1) | instid1(VALU_DEP_4)
	v_lshrrev_b32_e32 v119, v117, v116
	v_lshlrev_b32_e64 v129, v117, 0x100000
	v_add_nc_u32_e32 v117, v117, v114
	s_delay_alu instid0(VALU_DEP_4) | instskip(NEXT) | instid1(VALU_DEP_4)
	v_and_b32_e32 v116, v118, v116
	v_bfe_u32 v128, v119, 21, 1
	s_delay_alu instid0(VALU_DEP_2) | instskip(NEXT) | instid1(VALU_DEP_2)
	v_cmp_eq_u32_e64 s12, v116, v129
	v_add_nc_u32_e32 v118, -1, v128
	s_delay_alu instid0(VALU_DEP_1) | instskip(SKIP_2) | instid1(VALU_DEP_2)
	v_cndmask_b32_e64 v116, 0, v118, s12
	v_lshrrev_b32_e32 v118, 23, v119
	s_mov_b32 s12, exec_lo
	v_add_nc_u32_e32 v116, v116, v119
	s_delay_alu instid0(VALU_DEP_2) | instskip(NEXT) | instid1(VALU_DEP_2)
	v_xor_b32_e32 v118, 1, v118
	v_and_b32_e32 v114, 0x1fffff, v116
	s_delay_alu instid0(VALU_DEP_1) | instskip(NEXT) | instid1(VALU_DEP_3)
	v_add_nc_u32_e32 v116, v114, v119
                                        ; implicit-def: $vgpr114
	v_cmpx_ne_u32_e64 v117, v118
	s_xor_b32 s12, exec_lo, s12
; %bb.363:                              ;   in Loop: Header=BB2_144 Depth=2
	s_delay_alu instid0(VALU_DEP_2) | instskip(SKIP_1) | instid1(VALU_DEP_2)
	v_cmp_lt_u32_e64 s11, 0xffffff, v116
	v_sub_nc_u32_e32 v114, v117, v118
	v_cndmask_b32_e64 v117, 0, 1, s11
	s_delay_alu instid0(VALU_DEP_2) | instskip(NEXT) | instid1(VALU_DEP_2)
	v_add_co_ci_u32_e64 v114, s11, 0, v114, s11
	v_lshrrev_b32_e32 v116, v117, v116
; %bb.364:                              ;   in Loop: Header=BB2_144 Depth=2
	s_and_not1_saveexec_b32 s11, s12
; %bb.365:                              ;   in Loop: Header=BB2_144 Depth=2
	s_delay_alu instid0(VALU_DEP_1)
	v_bfe_u32 v114, v116, 23, 1
; %bb.366:                              ;   in Loop: Header=BB2_144 Depth=2
	s_or_b32 exec_lo, exec_lo, s11
	v_lshrrev_b32_e32 v116, 21, v116
	s_delay_alu instid0(VALU_DEP_2) | instskip(SKIP_2) | instid1(VALU_DEP_3)
	v_min_i32_e32 v117, 31, v114
	v_cmp_gt_i32_e64 s11, 32, v114
	v_lshrrev_b32_e32 v115, 24, v115
	v_lshlrev_b32_e32 v117, 2, v117
	s_delay_alu instid0(VALU_DEP_3) | instskip(NEXT) | instid1(VALU_DEP_3)
	v_cndmask_b32_e64 v116, 3, v116, s11
	v_and_b32_e32 v115, 0x80, v115
	s_delay_alu instid0(VALU_DEP_3) | instskip(NEXT) | instid1(VALU_DEP_3)
	v_and_b32_e32 v117, 0xfc, v117
	v_and_b32_e32 v118, 3, v116
	v_or_b32_e32 v114, v114, v116
	s_delay_alu instid0(VALU_DEP_2) | instskip(NEXT) | instid1(VALU_DEP_2)
	v_or3_b32 v115, v115, v117, v118
	v_cmp_ne_u32_e64 s11, 0, v114
	s_delay_alu instid0(VALU_DEP_2) | instskip(NEXT) | instid1(VALU_DEP_1)
	v_lshlrev_b32_e32 v115, 8, v115
	v_cndmask_b32_e64 v114, 0, v115, s11
.LBB2_367:                              ;   in Loop: Header=BB2_144 Depth=2
	s_or_b32 exec_lo, exec_lo, s26
.LBB2_368:                              ;   in Loop: Header=BB2_144 Depth=2
	s_delay_alu instid0(SALU_CYCLE_1) | instskip(SKIP_3) | instid1(VALU_DEP_1)
	s_or_b32 exec_lo, exec_lo, s25
	v_lshrrev_b32_e32 v116, 16, v17
	s_mov_b32 s12, 0
	s_mov_b32 s26, exec_lo
                                        ; implicit-def: $sgpr25
	v_and_b32_e32 v117, 0xff, v116
	s_delay_alu instid0(VALU_DEP_1)
	v_cmpx_lt_i16_e32 0x7f, v117
	s_xor_b32 s26, exec_lo, s26
	s_cbranch_execnz .LBB2_510
; %bb.369:                              ;   in Loop: Header=BB2_144 Depth=2
	s_or_saveexec_b32 s26, s26
	v_mov_b32_e32 v115, s25
	s_xor_b32 exec_lo, exec_lo, s26
	s_cbranch_execnz .LBB2_513
.LBB2_370:                              ;   in Loop: Header=BB2_144 Depth=2
	s_or_b32 exec_lo, exec_lo, s26
	s_and_saveexec_b32 s25, s12
	s_cbranch_execz .LBB2_372
.LBB2_371:                              ;   in Loop: Header=BB2_144 Depth=2
	v_bfe_u32 v115, v17, 16, 2
	v_lshlrev_b32_e32 v119, 8, v17
	s_delay_alu instid0(VALU_DEP_2) | instskip(NEXT) | instid1(VALU_DEP_1)
	v_clz_i32_u32_e32 v117, v115
	v_min_u32_e32 v117, 32, v117
	s_delay_alu instid0(VALU_DEP_1) | instskip(SKIP_1) | instid1(VALU_DEP_2)
	v_subrev_nc_u32_e32 v118, 29, v117
	v_sub_nc_u32_e32 v117, 30, v117
	v_lshlrev_b32_e32 v116, v118, v116
	v_bfe_u32 v118, v17, 18, 5
	s_delay_alu instid0(VALU_DEP_2) | instskip(NEXT) | instid1(VALU_DEP_2)
	v_and_b32_e32 v116, 3, v116
	v_cmp_eq_u32_e64 s11, 0, v118
	s_delay_alu instid0(VALU_DEP_1) | instskip(NEXT) | instid1(VALU_DEP_3)
	v_cndmask_b32_e64 v117, v118, v117, s11
	v_cndmask_b32_e64 v115, v115, v116, s11
	v_and_b32_e32 v116, 0x80000000, v119
	s_delay_alu instid0(VALU_DEP_3) | instskip(NEXT) | instid1(VALU_DEP_3)
	v_lshl_add_u32 v117, v117, 23, 0x37800000
	v_lshlrev_b32_e32 v115, 21, v115
	s_delay_alu instid0(VALU_DEP_1)
	v_or3_b32 v115, v116, v117, v115
.LBB2_372:                              ;   in Loop: Header=BB2_144 Depth=2
	s_or_b32 exec_lo, exec_lo, s25
	v_lshrrev_b32_e32 v116, 16, v13
	s_mov_b32 s12, 0
	s_mov_b32 s26, exec_lo
                                        ; implicit-def: $sgpr25
	s_delay_alu instid0(VALU_DEP_1) | instskip(NEXT) | instid1(VALU_DEP_1)
	v_and_b32_e32 v118, 0xff, v116
	v_cmpx_lt_i16_e32 0x7f, v118
	s_xor_b32 s26, exec_lo, s26
	s_cbranch_execnz .LBB2_514
; %bb.373:                              ;   in Loop: Header=BB2_144 Depth=2
	s_or_saveexec_b32 s26, s26
	v_mov_b32_e32 v117, s25
	s_xor_b32 exec_lo, exec_lo, s26
	s_cbranch_execnz .LBB2_517
.LBB2_374:                              ;   in Loop: Header=BB2_144 Depth=2
	s_or_b32 exec_lo, exec_lo, s26
	s_and_saveexec_b32 s25, s12
	s_cbranch_execz .LBB2_376
.LBB2_375:                              ;   in Loop: Header=BB2_144 Depth=2
	v_bfe_u32 v117, v13, 16, 2
	v_lshlrev_b32_e32 v128, 8, v13
	s_delay_alu instid0(VALU_DEP_2) | instskip(NEXT) | instid1(VALU_DEP_1)
	v_clz_i32_u32_e32 v118, v117
	v_min_u32_e32 v118, 32, v118
	s_delay_alu instid0(VALU_DEP_1) | instskip(SKIP_1) | instid1(VALU_DEP_2)
	v_subrev_nc_u32_e32 v119, 29, v118
	v_sub_nc_u32_e32 v118, 30, v118
	v_lshlrev_b32_e32 v116, v119, v116
	v_bfe_u32 v119, v13, 18, 5
	s_delay_alu instid0(VALU_DEP_2) | instskip(NEXT) | instid1(VALU_DEP_2)
	v_and_b32_e32 v116, 3, v116
	v_cmp_eq_u32_e64 s11, 0, v119
	s_delay_alu instid0(VALU_DEP_1) | instskip(NEXT) | instid1(VALU_DEP_3)
	v_cndmask_b32_e64 v118, v119, v118, s11
	v_cndmask_b32_e64 v116, v117, v116, s11
	v_and_b32_e32 v117, 0x80000000, v128
	s_delay_alu instid0(VALU_DEP_3) | instskip(NEXT) | instid1(VALU_DEP_3)
	v_lshl_add_u32 v118, v118, 23, 0x37800000
	v_lshlrev_b32_e32 v116, 21, v116
	s_delay_alu instid0(VALU_DEP_1)
	v_or3_b32 v117, v117, v118, v116
.LBB2_376:                              ;   in Loop: Header=BB2_144 Depth=2
	s_or_b32 exec_lo, exec_lo, s25
	s_delay_alu instid0(VALU_DEP_1) | instskip(NEXT) | instid1(VALU_DEP_1)
	v_mul_f32_e32 v116, v115, v117
	v_and_b32_e32 v115, 0x7f800000, v116
	s_delay_alu instid0(VALU_DEP_1) | instskip(SKIP_1) | instid1(VALU_DEP_2)
	v_cmp_ne_u32_e64 s11, 0x7f800000, v115
	v_mov_b32_e32 v115, 0x80
	s_and_saveexec_b32 s25, s11
	s_cbranch_execz .LBB2_384
; %bb.377:                              ;   in Loop: Header=BB2_144 Depth=2
	v_mov_b32_e32 v115, 0
	s_mov_b32 s26, exec_lo
	v_cmpx_ne_u32_e32 0, v116
	s_cbranch_execz .LBB2_383
; %bb.378:                              ;   in Loop: Header=BB2_144 Depth=2
	v_bfe_u32 v115, v116, 23, 8
	v_and_b32_e32 v117, 0x7fffff, v116
	s_delay_alu instid0(VALU_DEP_2) | instskip(SKIP_1) | instid1(VALU_DEP_3)
	v_sub_nc_u32_e32 v118, 0x70, v115
	v_cmp_gt_u32_e64 s11, 0x71, v115
	v_or_b32_e32 v119, 0x800000, v117
	s_delay_alu instid0(VALU_DEP_2) | instskip(SKIP_2) | instid1(VALU_DEP_2)
	v_cndmask_b32_e64 v118, 0, v118, s11
	v_cmp_eq_u32_e64 s11, 0, v115
	v_add_nc_u32_e32 v115, 0xffffff91, v115
	v_cndmask_b32_e64 v118, v118, 0x6f, s11
	v_cndmask_b32_e64 v117, v119, v117, s11
	s_delay_alu instid0(VALU_DEP_3) | instskip(NEXT) | instid1(VALU_DEP_3)
	v_cndmask_b32_e64 v115, v115, 0xffffff92, s11
	v_lshl_add_u32 v119, 0x200000, v118, -1
	s_delay_alu instid0(VALU_DEP_3) | instskip(SKIP_1) | instid1(VALU_DEP_4)
	v_lshrrev_b32_e32 v128, v118, v117
	v_lshlrev_b32_e64 v130, v118, 0x100000
	v_add_nc_u32_e32 v118, v118, v115
	s_delay_alu instid0(VALU_DEP_4) | instskip(NEXT) | instid1(VALU_DEP_4)
	v_and_b32_e32 v117, v119, v117
	v_bfe_u32 v129, v128, 21, 1
	s_delay_alu instid0(VALU_DEP_2) | instskip(NEXT) | instid1(VALU_DEP_2)
	v_cmp_eq_u32_e64 s12, v117, v130
	v_add_nc_u32_e32 v119, -1, v129
	s_delay_alu instid0(VALU_DEP_1) | instskip(SKIP_2) | instid1(VALU_DEP_2)
	v_cndmask_b32_e64 v117, 0, v119, s12
	v_lshrrev_b32_e32 v119, 23, v128
	s_mov_b32 s12, exec_lo
	v_add_nc_u32_e32 v117, v117, v128
	s_delay_alu instid0(VALU_DEP_2) | instskip(NEXT) | instid1(VALU_DEP_2)
	v_xor_b32_e32 v119, 1, v119
	v_and_b32_e32 v115, 0x1fffff, v117
	s_delay_alu instid0(VALU_DEP_1) | instskip(NEXT) | instid1(VALU_DEP_3)
	v_add_nc_u32_e32 v117, v115, v128
                                        ; implicit-def: $vgpr115
	v_cmpx_ne_u32_e64 v118, v119
	s_xor_b32 s12, exec_lo, s12
; %bb.379:                              ;   in Loop: Header=BB2_144 Depth=2
	s_delay_alu instid0(VALU_DEP_2) | instskip(SKIP_1) | instid1(VALU_DEP_2)
	v_cmp_lt_u32_e64 s11, 0xffffff, v117
	v_sub_nc_u32_e32 v115, v118, v119
	v_cndmask_b32_e64 v118, 0, 1, s11
	s_delay_alu instid0(VALU_DEP_2) | instskip(NEXT) | instid1(VALU_DEP_2)
	v_add_co_ci_u32_e64 v115, s11, 0, v115, s11
	v_lshrrev_b32_e32 v117, v118, v117
; %bb.380:                              ;   in Loop: Header=BB2_144 Depth=2
	s_and_not1_saveexec_b32 s11, s12
; %bb.381:                              ;   in Loop: Header=BB2_144 Depth=2
	s_delay_alu instid0(VALU_DEP_1)
	v_bfe_u32 v115, v117, 23, 1
; %bb.382:                              ;   in Loop: Header=BB2_144 Depth=2
	s_or_b32 exec_lo, exec_lo, s11
	v_lshrrev_b32_e32 v117, 21, v117
	s_delay_alu instid0(VALU_DEP_2) | instskip(SKIP_2) | instid1(VALU_DEP_3)
	v_min_i32_e32 v118, 31, v115
	v_cmp_gt_i32_e64 s11, 32, v115
	v_lshrrev_b32_e32 v116, 24, v116
	v_lshlrev_b32_e32 v118, 2, v118
	s_delay_alu instid0(VALU_DEP_3) | instskip(NEXT) | instid1(VALU_DEP_3)
	v_cndmask_b32_e64 v117, 3, v117, s11
	v_and_b32_e32 v116, 0x80, v116
	s_delay_alu instid0(VALU_DEP_3) | instskip(NEXT) | instid1(VALU_DEP_3)
	v_and_b32_e32 v118, 0xfc, v118
	v_and_b32_e32 v119, 3, v117
	v_or_b32_e32 v115, v115, v117
	s_delay_alu instid0(VALU_DEP_2) | instskip(NEXT) | instid1(VALU_DEP_2)
	v_or3_b32 v116, v118, v116, v119
	v_cmp_ne_u32_e64 s11, 0, v115
	s_delay_alu instid0(VALU_DEP_1)
	v_cndmask_b32_e64 v115, 0, v116, s11
.LBB2_383:                              ;   in Loop: Header=BB2_144 Depth=2
	s_or_b32 exec_lo, exec_lo, s26
.LBB2_384:                              ;   in Loop: Header=BB2_144 Depth=2
	s_delay_alu instid0(SALU_CYCLE_1) | instskip(SKIP_3) | instid1(VALU_DEP_1)
	s_or_b32 exec_lo, exec_lo, s25
	v_lshrrev_b32_e32 v117, 24, v17
	s_mov_b32 s12, 0
	s_mov_b32 s26, exec_lo
                                        ; implicit-def: $sgpr25
	v_cmpx_lt_i16_e32 0x7f, v117
	s_xor_b32 s26, exec_lo, s26
	s_cbranch_execnz .LBB2_518
; %bb.385:                              ;   in Loop: Header=BB2_144 Depth=2
	s_or_saveexec_b32 s26, s26
	v_mov_b32_e32 v116, s25
	s_xor_b32 exec_lo, exec_lo, s26
	s_cbranch_execnz .LBB2_521
.LBB2_386:                              ;   in Loop: Header=BB2_144 Depth=2
	s_or_b32 exec_lo, exec_lo, s26
	s_and_saveexec_b32 s25, s12
	s_cbranch_execz .LBB2_388
.LBB2_387:                              ;   in Loop: Header=BB2_144 Depth=2
	v_bfe_u32 v116, v17, 24, 2
	s_delay_alu instid0(VALU_DEP_1) | instskip(NEXT) | instid1(VALU_DEP_1)
	v_clz_i32_u32_e32 v118, v116
	v_min_u32_e32 v118, 32, v118
	s_delay_alu instid0(VALU_DEP_1) | instskip(SKIP_1) | instid1(VALU_DEP_2)
	v_subrev_nc_u32_e32 v119, 29, v118
	v_sub_nc_u32_e32 v118, 30, v118
	v_lshlrev_b32_e32 v117, v119, v117
	v_bfe_u32 v119, v17, 26, 5
	v_and_b32_e32 v17, 0x80000000, v17
	s_delay_alu instid0(VALU_DEP_3) | instskip(NEXT) | instid1(VALU_DEP_3)
	v_and_b32_e32 v117, 3, v117
	v_cmp_eq_u32_e64 s11, 0, v119
	s_delay_alu instid0(VALU_DEP_1) | instskip(NEXT) | instid1(VALU_DEP_3)
	v_cndmask_b32_e64 v118, v119, v118, s11
	v_cndmask_b32_e64 v116, v116, v117, s11
	s_delay_alu instid0(VALU_DEP_2) | instskip(NEXT) | instid1(VALU_DEP_2)
	v_lshl_add_u32 v117, v118, 23, 0x37800000
	v_lshlrev_b32_e32 v116, 21, v116
	s_delay_alu instid0(VALU_DEP_1)
	v_or3_b32 v116, v17, v117, v116
.LBB2_388:                              ;   in Loop: Header=BB2_144 Depth=2
	s_or_b32 exec_lo, exec_lo, s25
	v_lshrrev_b32_e32 v17, 24, v13
	s_mov_b32 s12, 0
	s_mov_b32 s26, exec_lo
                                        ; implicit-def: $sgpr25
	s_delay_alu instid0(VALU_DEP_1)
	v_cmpx_lt_i16_e32 0x7f, v17
	s_xor_b32 s26, exec_lo, s26
	s_cbranch_execnz .LBB2_522
; %bb.389:                              ;   in Loop: Header=BB2_144 Depth=2
	s_or_saveexec_b32 s26, s26
	v_mov_b32_e32 v117, s25
	s_xor_b32 exec_lo, exec_lo, s26
	s_cbranch_execnz .LBB2_525
.LBB2_390:                              ;   in Loop: Header=BB2_144 Depth=2
	s_or_b32 exec_lo, exec_lo, s26
	s_and_saveexec_b32 s25, s12
	s_cbranch_execz .LBB2_392
.LBB2_391:                              ;   in Loop: Header=BB2_144 Depth=2
	v_bfe_u32 v117, v13, 24, 2
	s_delay_alu instid0(VALU_DEP_1) | instskip(NEXT) | instid1(VALU_DEP_1)
	v_clz_i32_u32_e32 v118, v117
	v_min_u32_e32 v118, 32, v118
	s_delay_alu instid0(VALU_DEP_1) | instskip(SKIP_1) | instid1(VALU_DEP_2)
	v_subrev_nc_u32_e32 v119, 29, v118
	v_sub_nc_u32_e32 v118, 30, v118
	v_lshlrev_b32_e32 v17, v119, v17
	v_bfe_u32 v119, v13, 26, 5
	v_and_b32_e32 v13, 0x80000000, v13
	s_delay_alu instid0(VALU_DEP_3) | instskip(NEXT) | instid1(VALU_DEP_3)
	v_and_b32_e32 v17, 3, v17
	v_cmp_eq_u32_e64 s11, 0, v119
	s_delay_alu instid0(VALU_DEP_1) | instskip(NEXT) | instid1(VALU_DEP_3)
	v_cndmask_b32_e64 v118, v119, v118, s11
	v_cndmask_b32_e64 v17, v117, v17, s11
	s_delay_alu instid0(VALU_DEP_2) | instskip(NEXT) | instid1(VALU_DEP_2)
	v_lshl_add_u32 v117, v118, 23, 0x37800000
	v_lshlrev_b32_e32 v17, 21, v17
	s_delay_alu instid0(VALU_DEP_1)
	v_or3_b32 v117, v13, v117, v17
.LBB2_392:                              ;   in Loop: Header=BB2_144 Depth=2
	s_or_b32 exec_lo, exec_lo, s25
	s_delay_alu instid0(VALU_DEP_1) | instskip(NEXT) | instid1(VALU_DEP_1)
	v_mul_f32_e32 v13, v116, v117
	v_and_b32_e32 v17, 0x7f800000, v13
	s_delay_alu instid0(VALU_DEP_1) | instskip(SKIP_1) | instid1(VALU_DEP_2)
	v_cmp_ne_u32_e64 s11, 0x7f800000, v17
	v_mov_b32_e32 v17, 0x8000
	s_and_saveexec_b32 s25, s11
	s_cbranch_execz .LBB2_143
; %bb.393:                              ;   in Loop: Header=BB2_144 Depth=2
	v_mov_b32_e32 v17, 0
	s_mov_b32 s26, exec_lo
	v_cmpx_ne_u32_e32 0, v13
	s_cbranch_execz .LBB2_142
; %bb.394:                              ;   in Loop: Header=BB2_144 Depth=2
	v_bfe_u32 v17, v13, 23, 8
	v_and_b32_e32 v116, 0x7fffff, v13
	s_delay_alu instid0(VALU_DEP_2) | instskip(SKIP_1) | instid1(VALU_DEP_3)
	v_sub_nc_u32_e32 v117, 0x70, v17
	v_cmp_gt_u32_e64 s11, 0x71, v17
	v_or_b32_e32 v118, 0x800000, v116
	s_delay_alu instid0(VALU_DEP_2) | instskip(SKIP_2) | instid1(VALU_DEP_2)
	v_cndmask_b32_e64 v117, 0, v117, s11
	v_cmp_eq_u32_e64 s11, 0, v17
	v_add_nc_u32_e32 v17, 0xffffff91, v17
	v_cndmask_b32_e64 v117, v117, 0x6f, s11
	v_cndmask_b32_e64 v116, v118, v116, s11
	s_delay_alu instid0(VALU_DEP_3) | instskip(NEXT) | instid1(VALU_DEP_3)
	v_cndmask_b32_e64 v17, v17, 0xffffff92, s11
	v_lshl_add_u32 v118, 0x200000, v117, -1
	s_delay_alu instid0(VALU_DEP_3) | instskip(SKIP_1) | instid1(VALU_DEP_4)
	v_lshrrev_b32_e32 v119, v117, v116
	v_lshlrev_b32_e64 v129, v117, 0x100000
	v_add_nc_u32_e32 v117, v117, v17
	s_delay_alu instid0(VALU_DEP_4) | instskip(NEXT) | instid1(VALU_DEP_4)
	v_and_b32_e32 v116, v118, v116
	v_bfe_u32 v128, v119, 21, 1
	s_delay_alu instid0(VALU_DEP_2) | instskip(NEXT) | instid1(VALU_DEP_2)
	v_cmp_eq_u32_e64 s12, v116, v129
	v_add_nc_u32_e32 v118, -1, v128
	s_delay_alu instid0(VALU_DEP_1) | instskip(SKIP_2) | instid1(VALU_DEP_2)
	v_cndmask_b32_e64 v116, 0, v118, s12
	v_lshrrev_b32_e32 v118, 23, v119
	s_mov_b32 s12, exec_lo
	v_add_nc_u32_e32 v116, v116, v119
	s_delay_alu instid0(VALU_DEP_2) | instskip(NEXT) | instid1(VALU_DEP_2)
	v_xor_b32_e32 v118, 1, v118
	v_and_b32_e32 v17, 0x1fffff, v116
	s_delay_alu instid0(VALU_DEP_1) | instskip(NEXT) | instid1(VALU_DEP_3)
	v_add_nc_u32_e32 v116, v17, v119
                                        ; implicit-def: $vgpr17
	v_cmpx_ne_u32_e64 v117, v118
	s_xor_b32 s12, exec_lo, s12
; %bb.395:                              ;   in Loop: Header=BB2_144 Depth=2
	s_delay_alu instid0(VALU_DEP_2) | instskip(SKIP_1) | instid1(VALU_DEP_2)
	v_cmp_lt_u32_e64 s11, 0xffffff, v116
	v_sub_nc_u32_e32 v17, v117, v118
	v_cndmask_b32_e64 v117, 0, 1, s11
	s_delay_alu instid0(VALU_DEP_2) | instskip(NEXT) | instid1(VALU_DEP_2)
	v_add_co_ci_u32_e64 v17, s11, 0, v17, s11
	v_lshrrev_b32_e32 v116, v117, v116
; %bb.396:                              ;   in Loop: Header=BB2_144 Depth=2
	s_and_not1_saveexec_b32 s11, s12
	s_cbranch_execz .LBB2_141
; %bb.397:                              ;   in Loop: Header=BB2_144 Depth=2
	s_delay_alu instid0(VALU_DEP_1)
	v_bfe_u32 v17, v116, 23, 1
	s_branch .LBB2_141
.LBB2_398:                              ;   in Loop: Header=BB2_144 Depth=2
	s_mov_b32 s12, -1
	s_mov_b32 s27, exec_lo
                                        ; implicit-def: $sgpr25
	v_cmpx_eq_u16_e32 0x80, v100
; %bb.399:                              ;   in Loop: Header=BB2_144 Depth=2
	s_mov_b32 s25, 0x7f800001
	s_xor_b32 s12, exec_lo, -1
; %bb.400:                              ;   in Loop: Header=BB2_144 Depth=2
	s_or_b32 exec_lo, exec_lo, s27
	s_delay_alu instid0(SALU_CYCLE_1)
	s_and_b32 s12, s12, exec_lo
                                        ; implicit-def: $vgpr100
	s_or_saveexec_b32 s26, s26
	v_mov_b32_e32 v97, s25
	s_xor_b32 exec_lo, exec_lo, s26
	s_cbranch_execz .LBB2_146
.LBB2_401:                              ;   in Loop: Header=BB2_144 Depth=2
	v_cmp_ne_u16_e64 s11, 0, v100
	v_mov_b32_e32 v97, 0
	s_and_not1_b32 s12, s12, exec_lo
	s_delay_alu instid0(VALU_DEP_2) | instskip(NEXT) | instid1(SALU_CYCLE_1)
	s_and_b32 s11, s11, exec_lo
	s_or_b32 s12, s12, s11
	s_or_b32 exec_lo, exec_lo, s26
	s_and_saveexec_b32 s25, s12
	s_cbranch_execnz .LBB2_147
	s_branch .LBB2_148
.LBB2_402:                              ;   in Loop: Header=BB2_144 Depth=2
	s_mov_b32 s12, -1
	s_mov_b32 s27, exec_lo
                                        ; implicit-def: $sgpr25
	v_cmpx_eq_u16_e32 0x80, v101
; %bb.403:                              ;   in Loop: Header=BB2_144 Depth=2
	s_mov_b32 s25, 0x7f800001
	s_xor_b32 s12, exec_lo, -1
; %bb.404:                              ;   in Loop: Header=BB2_144 Depth=2
	s_or_b32 exec_lo, exec_lo, s27
	s_delay_alu instid0(SALU_CYCLE_1)
	s_and_b32 s12, s12, exec_lo
                                        ; implicit-def: $vgpr101
	s_or_saveexec_b32 s26, s26
	v_mov_b32_e32 v100, s25
	s_xor_b32 exec_lo, exec_lo, s26
	s_cbranch_execz .LBB2_150
.LBB2_405:                              ;   in Loop: Header=BB2_144 Depth=2
	v_cmp_ne_u16_e64 s11, 0, v101
	v_mov_b32_e32 v100, 0
	s_and_not1_b32 s12, s12, exec_lo
	s_delay_alu instid0(VALU_DEP_2) | instskip(NEXT) | instid1(SALU_CYCLE_1)
	s_and_b32 s11, s11, exec_lo
	s_or_b32 s12, s12, s11
	s_or_b32 exec_lo, exec_lo, s26
	s_and_saveexec_b32 s25, s12
	s_cbranch_execnz .LBB2_151
	s_branch .LBB2_152
.LBB2_406:                              ;   in Loop: Header=BB2_144 Depth=2
	s_mov_b32 s12, -1
	s_mov_b32 s27, exec_lo
                                        ; implicit-def: $sgpr25
	v_cmpx_eq_u16_e32 0x80, v101
; %bb.407:                              ;   in Loop: Header=BB2_144 Depth=2
	s_mov_b32 s25, 0x7f800001
	s_xor_b32 s12, exec_lo, -1
; %bb.408:                              ;   in Loop: Header=BB2_144 Depth=2
	s_or_b32 exec_lo, exec_lo, s27
	s_delay_alu instid0(SALU_CYCLE_1)
	s_and_b32 s12, s12, exec_lo
	s_or_saveexec_b32 s26, s26
	v_mov_b32_e32 v100, s25
	s_xor_b32 exec_lo, exec_lo, s26
	s_cbranch_execz .LBB2_162
.LBB2_409:                              ;   in Loop: Header=BB2_144 Depth=2
	v_cmp_ne_u16_e64 s11, 0, v101
	v_mov_b32_e32 v100, 0
	s_and_not1_b32 s12, s12, exec_lo
	s_delay_alu instid0(VALU_DEP_2) | instskip(NEXT) | instid1(SALU_CYCLE_1)
	s_and_b32 s11, s11, exec_lo
	s_or_b32 s12, s12, s11
	s_or_b32 exec_lo, exec_lo, s26
	s_and_saveexec_b32 s25, s12
	s_cbranch_execnz .LBB2_163
	s_branch .LBB2_164
.LBB2_410:                              ;   in Loop: Header=BB2_144 Depth=2
	s_mov_b32 s12, -1
	s_mov_b32 s27, exec_lo
                                        ; implicit-def: $sgpr25
	v_cmpx_eq_u16_e32 0x80, v101
; %bb.411:                              ;   in Loop: Header=BB2_144 Depth=2
	s_mov_b32 s25, 0x7f800001
	s_xor_b32 s12, exec_lo, -1
; %bb.412:                              ;   in Loop: Header=BB2_144 Depth=2
	s_or_b32 exec_lo, exec_lo, s27
	s_delay_alu instid0(SALU_CYCLE_1)
	s_and_b32 s12, s12, exec_lo
	s_or_saveexec_b32 s26, s26
	v_mov_b32_e32 v102, s25
	s_xor_b32 exec_lo, exec_lo, s26
	s_cbranch_execz .LBB2_166
.LBB2_413:                              ;   in Loop: Header=BB2_144 Depth=2
	v_cmp_ne_u16_e64 s11, 0, v101
	v_mov_b32_e32 v102, 0
	s_and_not1_b32 s12, s12, exec_lo
	s_delay_alu instid0(VALU_DEP_2) | instskip(NEXT) | instid1(SALU_CYCLE_1)
	s_and_b32 s11, s11, exec_lo
	s_or_b32 s12, s12, s11
	s_or_b32 exec_lo, exec_lo, s26
	s_and_saveexec_b32 s25, s12
	s_cbranch_execnz .LBB2_167
	s_branch .LBB2_168
.LBB2_414:                              ;   in Loop: Header=BB2_144 Depth=2
	s_mov_b32 s12, -1
	s_mov_b32 s27, exec_lo
                                        ; implicit-def: $sgpr25
	v_cmpx_eq_u16_e32 0x80, v103
; %bb.415:                              ;   in Loop: Header=BB2_144 Depth=2
	s_mov_b32 s25, 0x7f800001
	s_xor_b32 s12, exec_lo, -1
; %bb.416:                              ;   in Loop: Header=BB2_144 Depth=2
	s_or_b32 exec_lo, exec_lo, s27
	s_delay_alu instid0(SALU_CYCLE_1)
	s_and_b32 s12, s12, exec_lo
                                        ; implicit-def: $vgpr103
	s_or_saveexec_b32 s26, s26
	v_mov_b32_e32 v101, s25
	s_xor_b32 exec_lo, exec_lo, s26
	s_cbranch_execz .LBB2_178
.LBB2_417:                              ;   in Loop: Header=BB2_144 Depth=2
	v_cmp_ne_u16_e64 s11, 0, v103
	v_mov_b32_e32 v101, 0
	s_and_not1_b32 s12, s12, exec_lo
	s_delay_alu instid0(VALU_DEP_2) | instskip(NEXT) | instid1(SALU_CYCLE_1)
	s_and_b32 s11, s11, exec_lo
	s_or_b32 s12, s12, s11
	s_or_b32 exec_lo, exec_lo, s26
	s_and_saveexec_b32 s25, s12
	s_cbranch_execnz .LBB2_179
	s_branch .LBB2_180
.LBB2_418:                              ;   in Loop: Header=BB2_144 Depth=2
	s_mov_b32 s12, -1
	s_mov_b32 s27, exec_lo
                                        ; implicit-def: $sgpr25
	v_cmpx_eq_u16_e32 0x80, v112
; %bb.419:                              ;   in Loop: Header=BB2_144 Depth=2
	s_mov_b32 s25, 0x7f800001
	s_xor_b32 s12, exec_lo, -1
; %bb.420:                              ;   in Loop: Header=BB2_144 Depth=2
	s_or_b32 exec_lo, exec_lo, s27
	s_delay_alu instid0(SALU_CYCLE_1)
	s_and_b32 s12, s12, exec_lo
                                        ; implicit-def: $vgpr112
	s_or_saveexec_b32 s26, s26
	v_mov_b32_e32 v103, s25
	s_xor_b32 exec_lo, exec_lo, s26
	s_cbranch_execz .LBB2_182
.LBB2_421:                              ;   in Loop: Header=BB2_144 Depth=2
	v_cmp_ne_u16_e64 s11, 0, v112
	v_mov_b32_e32 v103, 0
	s_and_not1_b32 s12, s12, exec_lo
	s_delay_alu instid0(VALU_DEP_2) | instskip(NEXT) | instid1(SALU_CYCLE_1)
	s_and_b32 s11, s11, exec_lo
	s_or_b32 s12, s12, s11
	s_or_b32 exec_lo, exec_lo, s26
	s_and_saveexec_b32 s25, s12
	s_cbranch_execnz .LBB2_183
	s_branch .LBB2_184
.LBB2_422:                              ;   in Loop: Header=BB2_144 Depth=2
	s_mov_b32 s12, -1
	s_mov_b32 s27, exec_lo
                                        ; implicit-def: $sgpr25
	v_cmpx_eq_u16_e32 0x80, v103
; %bb.423:                              ;   in Loop: Header=BB2_144 Depth=2
	s_mov_b32 s25, 0x7f800001
	s_xor_b32 s12, exec_lo, -1
; %bb.424:                              ;   in Loop: Header=BB2_144 Depth=2
	s_or_b32 exec_lo, exec_lo, s27
	s_delay_alu instid0(SALU_CYCLE_1)
	s_and_b32 s12, s12, exec_lo
	s_or_saveexec_b32 s26, s26
	v_mov_b32_e32 v102, s25
	s_xor_b32 exec_lo, exec_lo, s26
	s_cbranch_execz .LBB2_194
.LBB2_425:                              ;   in Loop: Header=BB2_144 Depth=2
	v_cmp_ne_u16_e64 s11, 0, v103
	v_mov_b32_e32 v102, 0
	s_and_not1_b32 s12, s12, exec_lo
	s_delay_alu instid0(VALU_DEP_2) | instskip(NEXT) | instid1(SALU_CYCLE_1)
	s_and_b32 s11, s11, exec_lo
	s_or_b32 s12, s12, s11
	s_or_b32 exec_lo, exec_lo, s26
	s_and_saveexec_b32 s25, s12
	s_cbranch_execnz .LBB2_195
	s_branch .LBB2_196
.LBB2_426:                              ;   in Loop: Header=BB2_144 Depth=2
	s_mov_b32 s12, -1
	s_mov_b32 s27, exec_lo
                                        ; implicit-def: $sgpr25
	v_cmpx_eq_u16_e32 0x80, v14
; %bb.427:                              ;   in Loop: Header=BB2_144 Depth=2
	s_mov_b32 s25, 0x7f800001
	s_xor_b32 s12, exec_lo, -1
; %bb.428:                              ;   in Loop: Header=BB2_144 Depth=2
	s_or_b32 exec_lo, exec_lo, s27
	s_delay_alu instid0(SALU_CYCLE_1)
	s_and_b32 s12, s12, exec_lo
	s_or_saveexec_b32 s26, s26
	v_mov_b32_e32 v103, s25
	s_xor_b32 exec_lo, exec_lo, s26
	s_cbranch_execz .LBB2_198
.LBB2_429:                              ;   in Loop: Header=BB2_144 Depth=2
	v_cmp_ne_u16_e64 s11, 0, v14
	v_mov_b32_e32 v103, 0
	s_and_not1_b32 s12, s12, exec_lo
	s_delay_alu instid0(VALU_DEP_2) | instskip(NEXT) | instid1(SALU_CYCLE_1)
	s_and_b32 s11, s11, exec_lo
	s_or_b32 s12, s12, s11
	s_or_b32 exec_lo, exec_lo, s26
	s_and_saveexec_b32 s25, s12
	s_cbranch_execnz .LBB2_199
	s_branch .LBB2_200
.LBB2_430:                              ;   in Loop: Header=BB2_144 Depth=2
	s_mov_b32 s12, -1
	s_mov_b32 s27, exec_lo
                                        ; implicit-def: $sgpr25
	v_cmpx_eq_u16_e32 0x80, v102
; %bb.431:                              ;   in Loop: Header=BB2_144 Depth=2
	s_mov_b32 s25, 0x7f800001
	s_xor_b32 s12, exec_lo, -1
; %bb.432:                              ;   in Loop: Header=BB2_144 Depth=2
	s_or_b32 exec_lo, exec_lo, s27
	s_delay_alu instid0(SALU_CYCLE_1)
	s_and_b32 s12, s12, exec_lo
                                        ; implicit-def: $vgpr102
	s_or_saveexec_b32 s26, s26
	v_mov_b32_e32 v14, s25
	s_xor_b32 exec_lo, exec_lo, s26
	s_cbranch_execz .LBB2_210
.LBB2_433:                              ;   in Loop: Header=BB2_144 Depth=2
	v_cmp_ne_u16_e64 s11, 0, v102
	v_mov_b32_e32 v14, 0
	s_and_not1_b32 s12, s12, exec_lo
	s_delay_alu instid0(VALU_DEP_2) | instskip(NEXT) | instid1(SALU_CYCLE_1)
	s_and_b32 s11, s11, exec_lo
	s_or_b32 s12, s12, s11
	s_or_b32 exec_lo, exec_lo, s26
	s_and_saveexec_b32 s25, s12
	s_cbranch_execnz .LBB2_211
	s_branch .LBB2_212
.LBB2_434:                              ;   in Loop: Header=BB2_144 Depth=2
	s_mov_b32 s12, -1
	s_mov_b32 s27, exec_lo
                                        ; implicit-def: $sgpr25
	v_cmpx_eq_u16_e32 0x80, v103
; %bb.435:                              ;   in Loop: Header=BB2_144 Depth=2
	s_mov_b32 s25, 0x7f800001
	s_xor_b32 s12, exec_lo, -1
; %bb.436:                              ;   in Loop: Header=BB2_144 Depth=2
	s_or_b32 exec_lo, exec_lo, s27
	s_delay_alu instid0(SALU_CYCLE_1)
	s_and_b32 s12, s12, exec_lo
                                        ; implicit-def: $vgpr103
	s_or_saveexec_b32 s26, s26
	v_mov_b32_e32 v102, s25
	s_xor_b32 exec_lo, exec_lo, s26
	s_cbranch_execz .LBB2_214
.LBB2_437:                              ;   in Loop: Header=BB2_144 Depth=2
	v_cmp_ne_u16_e64 s11, 0, v103
	v_mov_b32_e32 v102, 0
	s_and_not1_b32 s12, s12, exec_lo
	s_delay_alu instid0(VALU_DEP_2) | instskip(NEXT) | instid1(SALU_CYCLE_1)
	s_and_b32 s11, s11, exec_lo
	s_or_b32 s12, s12, s11
	s_or_b32 exec_lo, exec_lo, s26
	s_and_saveexec_b32 s25, s12
	s_cbranch_execnz .LBB2_215
	s_branch .LBB2_216
.LBB2_438:                              ;   in Loop: Header=BB2_144 Depth=2
	s_mov_b32 s12, -1
	s_mov_b32 s27, exec_lo
                                        ; implicit-def: $sgpr25
	v_cmpx_eq_u16_e32 0x80, v103
; %bb.439:                              ;   in Loop: Header=BB2_144 Depth=2
	s_mov_b32 s25, 0x7f800001
	s_xor_b32 s12, exec_lo, -1
; %bb.440:                              ;   in Loop: Header=BB2_144 Depth=2
	s_or_b32 exec_lo, exec_lo, s27
	s_delay_alu instid0(SALU_CYCLE_1)
	s_and_b32 s12, s12, exec_lo
	s_or_saveexec_b32 s26, s26
	v_mov_b32_e32 v102, s25
	s_xor_b32 exec_lo, exec_lo, s26
	s_cbranch_execz .LBB2_226
.LBB2_441:                              ;   in Loop: Header=BB2_144 Depth=2
	v_cmp_ne_u16_e64 s11, 0, v103
	v_mov_b32_e32 v102, 0
	s_and_not1_b32 s12, s12, exec_lo
	s_delay_alu instid0(VALU_DEP_2) | instskip(NEXT) | instid1(SALU_CYCLE_1)
	s_and_b32 s11, s11, exec_lo
	s_or_b32 s12, s12, s11
	s_or_b32 exec_lo, exec_lo, s26
	s_and_saveexec_b32 s25, s12
	s_cbranch_execnz .LBB2_227
	s_branch .LBB2_228
.LBB2_442:                              ;   in Loop: Header=BB2_144 Depth=2
	s_mov_b32 s12, -1
	s_mov_b32 s27, exec_lo
                                        ; implicit-def: $sgpr25
	v_cmpx_eq_u16_e32 0x80, v103
; %bb.443:                              ;   in Loop: Header=BB2_144 Depth=2
	s_mov_b32 s25, 0x7f800001
	s_xor_b32 s12, exec_lo, -1
; %bb.444:                              ;   in Loop: Header=BB2_144 Depth=2
	s_or_b32 exec_lo, exec_lo, s27
	s_delay_alu instid0(SALU_CYCLE_1)
	s_and_b32 s12, s12, exec_lo
	s_or_saveexec_b32 s26, s26
	v_mov_b32_e32 v112, s25
	s_xor_b32 exec_lo, exec_lo, s26
	s_cbranch_execz .LBB2_230
.LBB2_445:                              ;   in Loop: Header=BB2_144 Depth=2
	v_cmp_ne_u16_e64 s11, 0, v103
	v_mov_b32_e32 v112, 0
	s_and_not1_b32 s12, s12, exec_lo
	s_delay_alu instid0(VALU_DEP_2) | instskip(NEXT) | instid1(SALU_CYCLE_1)
	s_and_b32 s11, s11, exec_lo
	s_or_b32 s12, s12, s11
	s_or_b32 exec_lo, exec_lo, s26
	s_and_saveexec_b32 s25, s12
	s_cbranch_execnz .LBB2_231
	s_branch .LBB2_232
.LBB2_446:                              ;   in Loop: Header=BB2_144 Depth=2
	s_mov_b32 s12, -1
	s_mov_b32 s27, exec_lo
                                        ; implicit-def: $sgpr25
	v_cmpx_eq_u16_e32 0x80, v113
; %bb.447:                              ;   in Loop: Header=BB2_144 Depth=2
	s_mov_b32 s25, 0x7f800001
	s_xor_b32 s12, exec_lo, -1
; %bb.448:                              ;   in Loop: Header=BB2_144 Depth=2
	s_or_b32 exec_lo, exec_lo, s27
	s_delay_alu instid0(SALU_CYCLE_1)
	s_and_b32 s12, s12, exec_lo
                                        ; implicit-def: $vgpr113
	s_or_saveexec_b32 s26, s26
	v_mov_b32_e32 v103, s25
	s_xor_b32 exec_lo, exec_lo, s26
	s_cbranch_execz .LBB2_242
.LBB2_449:                              ;   in Loop: Header=BB2_144 Depth=2
	v_cmp_ne_u16_e64 s11, 0, v113
	v_mov_b32_e32 v103, 0
	s_and_not1_b32 s12, s12, exec_lo
	s_delay_alu instid0(VALU_DEP_2) | instskip(NEXT) | instid1(SALU_CYCLE_1)
	s_and_b32 s11, s11, exec_lo
	s_or_b32 s12, s12, s11
	s_or_b32 exec_lo, exec_lo, s26
	s_and_saveexec_b32 s25, s12
	s_cbranch_execnz .LBB2_243
	s_branch .LBB2_244
.LBB2_450:                              ;   in Loop: Header=BB2_144 Depth=2
	s_mov_b32 s12, -1
	s_mov_b32 s27, exec_lo
                                        ; implicit-def: $sgpr25
	v_cmpx_eq_u16_e32 0x80, v114
; %bb.451:                              ;   in Loop: Header=BB2_144 Depth=2
	s_mov_b32 s25, 0x7f800001
	s_xor_b32 s12, exec_lo, -1
; %bb.452:                              ;   in Loop: Header=BB2_144 Depth=2
	s_or_b32 exec_lo, exec_lo, s27
	s_delay_alu instid0(SALU_CYCLE_1)
	s_and_b32 s12, s12, exec_lo
                                        ; implicit-def: $vgpr114
	s_or_saveexec_b32 s26, s26
	v_mov_b32_e32 v113, s25
	s_xor_b32 exec_lo, exec_lo, s26
	s_cbranch_execz .LBB2_246
.LBB2_453:                              ;   in Loop: Header=BB2_144 Depth=2
	v_cmp_ne_u16_e64 s11, 0, v114
	v_mov_b32_e32 v113, 0
	s_and_not1_b32 s12, s12, exec_lo
	s_delay_alu instid0(VALU_DEP_2) | instskip(NEXT) | instid1(SALU_CYCLE_1)
	s_and_b32 s11, s11, exec_lo
	s_or_b32 s12, s12, s11
	s_or_b32 exec_lo, exec_lo, s26
	s_and_saveexec_b32 s25, s12
	s_cbranch_execnz .LBB2_247
	s_branch .LBB2_248
.LBB2_454:                              ;   in Loop: Header=BB2_144 Depth=2
	s_mov_b32 s12, -1
	s_mov_b32 s27, exec_lo
                                        ; implicit-def: $sgpr25
	v_cmpx_eq_u16_e32 0x80, v113
; %bb.455:                              ;   in Loop: Header=BB2_144 Depth=2
	s_mov_b32 s25, 0x7f800001
	s_xor_b32 s12, exec_lo, -1
; %bb.456:                              ;   in Loop: Header=BB2_144 Depth=2
	s_or_b32 exec_lo, exec_lo, s27
	s_delay_alu instid0(SALU_CYCLE_1)
	s_and_b32 s12, s12, exec_lo
	s_or_saveexec_b32 s26, s26
	v_mov_b32_e32 v112, s25
	s_xor_b32 exec_lo, exec_lo, s26
	s_cbranch_execz .LBB2_258
.LBB2_457:                              ;   in Loop: Header=BB2_144 Depth=2
	v_cmp_ne_u16_e64 s11, 0, v113
	v_mov_b32_e32 v112, 0
	s_and_not1_b32 s12, s12, exec_lo
	s_delay_alu instid0(VALU_DEP_2) | instskip(NEXT) | instid1(SALU_CYCLE_1)
	s_and_b32 s11, s11, exec_lo
	s_or_b32 s12, s12, s11
	s_or_b32 exec_lo, exec_lo, s26
	s_and_saveexec_b32 s25, s12
	s_cbranch_execnz .LBB2_259
	s_branch .LBB2_260
.LBB2_458:                              ;   in Loop: Header=BB2_144 Depth=2
	s_mov_b32 s12, -1
	s_mov_b32 s27, exec_lo
                                        ; implicit-def: $sgpr25
	v_cmpx_eq_u16_e32 0x80, v15
; %bb.459:                              ;   in Loop: Header=BB2_144 Depth=2
	s_mov_b32 s25, 0x7f800001
	s_xor_b32 s12, exec_lo, -1
; %bb.460:                              ;   in Loop: Header=BB2_144 Depth=2
	s_or_b32 exec_lo, exec_lo, s27
	s_delay_alu instid0(SALU_CYCLE_1)
	s_and_b32 s12, s12, exec_lo
	s_or_saveexec_b32 s26, s26
	v_mov_b32_e32 v113, s25
	s_xor_b32 exec_lo, exec_lo, s26
	s_cbranch_execz .LBB2_262
.LBB2_461:                              ;   in Loop: Header=BB2_144 Depth=2
	v_cmp_ne_u16_e64 s11, 0, v15
	v_mov_b32_e32 v113, 0
	s_and_not1_b32 s12, s12, exec_lo
	s_delay_alu instid0(VALU_DEP_2) | instskip(NEXT) | instid1(SALU_CYCLE_1)
	s_and_b32 s11, s11, exec_lo
	s_or_b32 s12, s12, s11
	s_or_b32 exec_lo, exec_lo, s26
	s_and_saveexec_b32 s25, s12
	s_cbranch_execnz .LBB2_263
	s_branch .LBB2_264
.LBB2_462:                              ;   in Loop: Header=BB2_144 Depth=2
	s_mov_b32 s12, -1
	s_mov_b32 s27, exec_lo
                                        ; implicit-def: $sgpr25
	v_cmpx_eq_u16_e32 0x80, v112
; %bb.463:                              ;   in Loop: Header=BB2_144 Depth=2
	s_mov_b32 s25, 0x7f800001
	s_xor_b32 s12, exec_lo, -1
; %bb.464:                              ;   in Loop: Header=BB2_144 Depth=2
	s_or_b32 exec_lo, exec_lo, s27
	s_delay_alu instid0(SALU_CYCLE_1)
	s_and_b32 s12, s12, exec_lo
                                        ; implicit-def: $vgpr112
	s_or_saveexec_b32 s26, s26
	v_mov_b32_e32 v15, s25
	s_xor_b32 exec_lo, exec_lo, s26
	s_cbranch_execz .LBB2_274
.LBB2_465:                              ;   in Loop: Header=BB2_144 Depth=2
	v_cmp_ne_u16_e64 s11, 0, v112
	v_mov_b32_e32 v15, 0
	s_and_not1_b32 s12, s12, exec_lo
	s_delay_alu instid0(VALU_DEP_2) | instskip(NEXT) | instid1(SALU_CYCLE_1)
	s_and_b32 s11, s11, exec_lo
	s_or_b32 s12, s12, s11
	s_or_b32 exec_lo, exec_lo, s26
	s_and_saveexec_b32 s25, s12
	s_cbranch_execnz .LBB2_275
	s_branch .LBB2_276
.LBB2_466:                              ;   in Loop: Header=BB2_144 Depth=2
	s_mov_b32 s12, -1
	s_mov_b32 s27, exec_lo
                                        ; implicit-def: $sgpr25
	v_cmpx_eq_u16_e32 0x80, v113
; %bb.467:                              ;   in Loop: Header=BB2_144 Depth=2
	s_mov_b32 s25, 0x7f800001
	s_xor_b32 s12, exec_lo, -1
; %bb.468:                              ;   in Loop: Header=BB2_144 Depth=2
	s_or_b32 exec_lo, exec_lo, s27
	s_delay_alu instid0(SALU_CYCLE_1)
	s_and_b32 s12, s12, exec_lo
                                        ; implicit-def: $vgpr113
	s_or_saveexec_b32 s26, s26
	v_mov_b32_e32 v112, s25
	s_xor_b32 exec_lo, exec_lo, s26
	s_cbranch_execz .LBB2_278
.LBB2_469:                              ;   in Loop: Header=BB2_144 Depth=2
	v_cmp_ne_u16_e64 s11, 0, v113
	v_mov_b32_e32 v112, 0
	s_and_not1_b32 s12, s12, exec_lo
	s_delay_alu instid0(VALU_DEP_2) | instskip(NEXT) | instid1(SALU_CYCLE_1)
	s_and_b32 s11, s11, exec_lo
	s_or_b32 s12, s12, s11
	s_or_b32 exec_lo, exec_lo, s26
	s_and_saveexec_b32 s25, s12
	s_cbranch_execnz .LBB2_279
	s_branch .LBB2_280
.LBB2_470:                              ;   in Loop: Header=BB2_144 Depth=2
	s_mov_b32 s12, -1
	s_mov_b32 s27, exec_lo
                                        ; implicit-def: $sgpr25
	v_cmpx_eq_u16_e32 0x80, v113
; %bb.471:                              ;   in Loop: Header=BB2_144 Depth=2
	s_mov_b32 s25, 0x7f800001
	s_xor_b32 s12, exec_lo, -1
; %bb.472:                              ;   in Loop: Header=BB2_144 Depth=2
	s_or_b32 exec_lo, exec_lo, s27
	s_delay_alu instid0(SALU_CYCLE_1)
	s_and_b32 s12, s12, exec_lo
	s_or_saveexec_b32 s26, s26
	v_mov_b32_e32 v112, s25
	s_xor_b32 exec_lo, exec_lo, s26
	s_cbranch_execz .LBB2_290
.LBB2_473:                              ;   in Loop: Header=BB2_144 Depth=2
	v_cmp_ne_u16_e64 s11, 0, v113
	v_mov_b32_e32 v112, 0
	s_and_not1_b32 s12, s12, exec_lo
	s_delay_alu instid0(VALU_DEP_2) | instskip(NEXT) | instid1(SALU_CYCLE_1)
	s_and_b32 s11, s11, exec_lo
	s_or_b32 s12, s12, s11
	s_or_b32 exec_lo, exec_lo, s26
	s_and_saveexec_b32 s25, s12
	s_cbranch_execnz .LBB2_291
	s_branch .LBB2_292
.LBB2_474:                              ;   in Loop: Header=BB2_144 Depth=2
	s_mov_b32 s12, -1
	s_mov_b32 s27, exec_lo
                                        ; implicit-def: $sgpr25
	v_cmpx_eq_u16_e32 0x80, v113
; %bb.475:                              ;   in Loop: Header=BB2_144 Depth=2
	s_mov_b32 s25, 0x7f800001
	s_xor_b32 s12, exec_lo, -1
; %bb.476:                              ;   in Loop: Header=BB2_144 Depth=2
	s_or_b32 exec_lo, exec_lo, s27
	s_delay_alu instid0(SALU_CYCLE_1)
	s_and_b32 s12, s12, exec_lo
	s_or_saveexec_b32 s26, s26
	v_mov_b32_e32 v114, s25
	s_xor_b32 exec_lo, exec_lo, s26
	s_cbranch_execz .LBB2_294
.LBB2_477:                              ;   in Loop: Header=BB2_144 Depth=2
	v_cmp_ne_u16_e64 s11, 0, v113
	v_mov_b32_e32 v114, 0
	s_and_not1_b32 s12, s12, exec_lo
	s_delay_alu instid0(VALU_DEP_2) | instskip(NEXT) | instid1(SALU_CYCLE_1)
	s_and_b32 s11, s11, exec_lo
	s_or_b32 s12, s12, s11
	s_or_b32 exec_lo, exec_lo, s26
	s_and_saveexec_b32 s25, s12
	s_cbranch_execnz .LBB2_295
	s_branch .LBB2_296
.LBB2_478:                              ;   in Loop: Header=BB2_144 Depth=2
	s_mov_b32 s12, -1
	s_mov_b32 s27, exec_lo
                                        ; implicit-def: $sgpr25
	v_cmpx_eq_u16_e32 0x80, v115
; %bb.479:                              ;   in Loop: Header=BB2_144 Depth=2
	s_mov_b32 s25, 0x7f800001
	s_xor_b32 s12, exec_lo, -1
; %bb.480:                              ;   in Loop: Header=BB2_144 Depth=2
	s_or_b32 exec_lo, exec_lo, s27
	s_delay_alu instid0(SALU_CYCLE_1)
	s_and_b32 s12, s12, exec_lo
                                        ; implicit-def: $vgpr115
	s_or_saveexec_b32 s26, s26
	v_mov_b32_e32 v113, s25
	s_xor_b32 exec_lo, exec_lo, s26
	s_cbranch_execz .LBB2_306
.LBB2_481:                              ;   in Loop: Header=BB2_144 Depth=2
	v_cmp_ne_u16_e64 s11, 0, v115
	v_mov_b32_e32 v113, 0
	s_and_not1_b32 s12, s12, exec_lo
	s_delay_alu instid0(VALU_DEP_2) | instskip(NEXT) | instid1(SALU_CYCLE_1)
	s_and_b32 s11, s11, exec_lo
	s_or_b32 s12, s12, s11
	s_or_b32 exec_lo, exec_lo, s26
	s_and_saveexec_b32 s25, s12
	s_cbranch_execnz .LBB2_307
	s_branch .LBB2_308
.LBB2_482:                              ;   in Loop: Header=BB2_144 Depth=2
	s_mov_b32 s12, -1
	s_mov_b32 s27, exec_lo
                                        ; implicit-def: $sgpr25
	v_cmpx_eq_u16_e32 0x80, v116
; %bb.483:                              ;   in Loop: Header=BB2_144 Depth=2
	s_mov_b32 s25, 0x7f800001
	s_xor_b32 s12, exec_lo, -1
; %bb.484:                              ;   in Loop: Header=BB2_144 Depth=2
	s_or_b32 exec_lo, exec_lo, s27
	s_delay_alu instid0(SALU_CYCLE_1)
	s_and_b32 s12, s12, exec_lo
                                        ; implicit-def: $vgpr116
	s_or_saveexec_b32 s26, s26
	v_mov_b32_e32 v115, s25
	s_xor_b32 exec_lo, exec_lo, s26
	s_cbranch_execz .LBB2_310
.LBB2_485:                              ;   in Loop: Header=BB2_144 Depth=2
	v_cmp_ne_u16_e64 s11, 0, v116
	v_mov_b32_e32 v115, 0
	s_and_not1_b32 s12, s12, exec_lo
	s_delay_alu instid0(VALU_DEP_2) | instskip(NEXT) | instid1(SALU_CYCLE_1)
	s_and_b32 s11, s11, exec_lo
	s_or_b32 s12, s12, s11
	s_or_b32 exec_lo, exec_lo, s26
	s_and_saveexec_b32 s25, s12
	s_cbranch_execnz .LBB2_311
	s_branch .LBB2_312
.LBB2_486:                              ;   in Loop: Header=BB2_144 Depth=2
	s_mov_b32 s12, -1
	s_mov_b32 s27, exec_lo
                                        ; implicit-def: $sgpr25
	v_cmpx_eq_u16_e32 0x80, v115
; %bb.487:                              ;   in Loop: Header=BB2_144 Depth=2
	s_mov_b32 s25, 0x7f800001
	s_xor_b32 s12, exec_lo, -1
; %bb.488:                              ;   in Loop: Header=BB2_144 Depth=2
	s_or_b32 exec_lo, exec_lo, s27
	s_delay_alu instid0(SALU_CYCLE_1)
	s_and_b32 s12, s12, exec_lo
	s_or_saveexec_b32 s26, s26
	v_mov_b32_e32 v114, s25
	s_xor_b32 exec_lo, exec_lo, s26
	s_cbranch_execz .LBB2_322
.LBB2_489:                              ;   in Loop: Header=BB2_144 Depth=2
	v_cmp_ne_u16_e64 s11, 0, v115
	v_mov_b32_e32 v114, 0
	s_and_not1_b32 s12, s12, exec_lo
	s_delay_alu instid0(VALU_DEP_2) | instskip(NEXT) | instid1(SALU_CYCLE_1)
	s_and_b32 s11, s11, exec_lo
	s_or_b32 s12, s12, s11
	s_or_b32 exec_lo, exec_lo, s26
	s_and_saveexec_b32 s25, s12
	s_cbranch_execnz .LBB2_323
	s_branch .LBB2_324
.LBB2_490:                              ;   in Loop: Header=BB2_144 Depth=2
	s_mov_b32 s12, -1
	s_mov_b32 s27, exec_lo
                                        ; implicit-def: $sgpr25
	v_cmpx_eq_u16_e32 0x80, v16
; %bb.491:                              ;   in Loop: Header=BB2_144 Depth=2
	s_mov_b32 s25, 0x7f800001
	s_xor_b32 s12, exec_lo, -1
; %bb.492:                              ;   in Loop: Header=BB2_144 Depth=2
	s_or_b32 exec_lo, exec_lo, s27
	s_delay_alu instid0(SALU_CYCLE_1)
	s_and_b32 s12, s12, exec_lo
	s_or_saveexec_b32 s26, s26
	v_mov_b32_e32 v115, s25
	s_xor_b32 exec_lo, exec_lo, s26
	s_cbranch_execz .LBB2_326
.LBB2_493:                              ;   in Loop: Header=BB2_144 Depth=2
	v_cmp_ne_u16_e64 s11, 0, v16
	v_mov_b32_e32 v115, 0
	s_and_not1_b32 s12, s12, exec_lo
	s_delay_alu instid0(VALU_DEP_2) | instskip(NEXT) | instid1(SALU_CYCLE_1)
	s_and_b32 s11, s11, exec_lo
	s_or_b32 s12, s12, s11
	s_or_b32 exec_lo, exec_lo, s26
	s_and_saveexec_b32 s25, s12
	s_cbranch_execnz .LBB2_327
	s_branch .LBB2_328
.LBB2_494:                              ;   in Loop: Header=BB2_144 Depth=2
	s_mov_b32 s12, -1
	s_mov_b32 s27, exec_lo
                                        ; implicit-def: $sgpr25
	v_cmpx_eq_u16_e32 0x80, v114
; %bb.495:                              ;   in Loop: Header=BB2_144 Depth=2
	s_mov_b32 s25, 0x7f800001
	s_xor_b32 s12, exec_lo, -1
; %bb.496:                              ;   in Loop: Header=BB2_144 Depth=2
	s_or_b32 exec_lo, exec_lo, s27
	s_delay_alu instid0(SALU_CYCLE_1)
	s_and_b32 s12, s12, exec_lo
                                        ; implicit-def: $vgpr114
	s_or_saveexec_b32 s26, s26
	v_mov_b32_e32 v16, s25
	s_xor_b32 exec_lo, exec_lo, s26
	s_cbranch_execz .LBB2_338
.LBB2_497:                              ;   in Loop: Header=BB2_144 Depth=2
	v_cmp_ne_u16_e64 s11, 0, v114
	v_mov_b32_e32 v16, 0
	s_and_not1_b32 s12, s12, exec_lo
	s_delay_alu instid0(VALU_DEP_2) | instskip(NEXT) | instid1(SALU_CYCLE_1)
	s_and_b32 s11, s11, exec_lo
	s_or_b32 s12, s12, s11
	s_or_b32 exec_lo, exec_lo, s26
	s_and_saveexec_b32 s25, s12
	s_cbranch_execnz .LBB2_339
	s_branch .LBB2_340
.LBB2_498:                              ;   in Loop: Header=BB2_144 Depth=2
	s_mov_b32 s12, -1
	s_mov_b32 s27, exec_lo
                                        ; implicit-def: $sgpr25
	v_cmpx_eq_u16_e32 0x80, v115
; %bb.499:                              ;   in Loop: Header=BB2_144 Depth=2
	s_mov_b32 s25, 0x7f800001
	s_xor_b32 s12, exec_lo, -1
; %bb.500:                              ;   in Loop: Header=BB2_144 Depth=2
	s_or_b32 exec_lo, exec_lo, s27
	s_delay_alu instid0(SALU_CYCLE_1)
	s_and_b32 s12, s12, exec_lo
                                        ; implicit-def: $vgpr115
	s_or_saveexec_b32 s26, s26
	v_mov_b32_e32 v114, s25
	s_xor_b32 exec_lo, exec_lo, s26
	s_cbranch_execz .LBB2_342
.LBB2_501:                              ;   in Loop: Header=BB2_144 Depth=2
	v_cmp_ne_u16_e64 s11, 0, v115
	v_mov_b32_e32 v114, 0
	s_and_not1_b32 s12, s12, exec_lo
	s_delay_alu instid0(VALU_DEP_2) | instskip(NEXT) | instid1(SALU_CYCLE_1)
	s_and_b32 s11, s11, exec_lo
	s_or_b32 s12, s12, s11
	s_or_b32 exec_lo, exec_lo, s26
	s_and_saveexec_b32 s25, s12
	s_cbranch_execnz .LBB2_343
	s_branch .LBB2_344
.LBB2_502:                              ;   in Loop: Header=BB2_144 Depth=2
	s_mov_b32 s12, -1
	s_mov_b32 s27, exec_lo
                                        ; implicit-def: $sgpr25
	v_cmpx_eq_u16_e32 0x80, v115
; %bb.503:                              ;   in Loop: Header=BB2_144 Depth=2
	s_mov_b32 s25, 0x7f800001
	s_xor_b32 s12, exec_lo, -1
; %bb.504:                              ;   in Loop: Header=BB2_144 Depth=2
	s_or_b32 exec_lo, exec_lo, s27
	s_delay_alu instid0(SALU_CYCLE_1)
	s_and_b32 s12, s12, exec_lo
	s_or_saveexec_b32 s26, s26
	v_mov_b32_e32 v114, s25
	s_xor_b32 exec_lo, exec_lo, s26
	s_cbranch_execz .LBB2_354
.LBB2_505:                              ;   in Loop: Header=BB2_144 Depth=2
	v_cmp_ne_u16_e64 s11, 0, v115
	v_mov_b32_e32 v114, 0
	s_and_not1_b32 s12, s12, exec_lo
	s_delay_alu instid0(VALU_DEP_2) | instskip(NEXT) | instid1(SALU_CYCLE_1)
	s_and_b32 s11, s11, exec_lo
	s_or_b32 s12, s12, s11
	s_or_b32 exec_lo, exec_lo, s26
	s_and_saveexec_b32 s25, s12
	s_cbranch_execnz .LBB2_355
	s_branch .LBB2_356
.LBB2_506:                              ;   in Loop: Header=BB2_144 Depth=2
	s_mov_b32 s12, -1
	s_mov_b32 s27, exec_lo
                                        ; implicit-def: $sgpr25
	v_cmpx_eq_u16_e32 0x80, v115
; %bb.507:                              ;   in Loop: Header=BB2_144 Depth=2
	s_mov_b32 s25, 0x7f800001
	s_xor_b32 s12, exec_lo, -1
; %bb.508:                              ;   in Loop: Header=BB2_144 Depth=2
	s_or_b32 exec_lo, exec_lo, s27
	s_delay_alu instid0(SALU_CYCLE_1)
	s_and_b32 s12, s12, exec_lo
	s_or_saveexec_b32 s26, s26
	v_mov_b32_e32 v116, s25
	s_xor_b32 exec_lo, exec_lo, s26
	s_cbranch_execz .LBB2_358
.LBB2_509:                              ;   in Loop: Header=BB2_144 Depth=2
	v_cmp_ne_u16_e64 s11, 0, v115
	v_mov_b32_e32 v116, 0
	s_and_not1_b32 s12, s12, exec_lo
	s_delay_alu instid0(VALU_DEP_2) | instskip(NEXT) | instid1(SALU_CYCLE_1)
	s_and_b32 s11, s11, exec_lo
	s_or_b32 s12, s12, s11
	s_or_b32 exec_lo, exec_lo, s26
	s_and_saveexec_b32 s25, s12
	s_cbranch_execnz .LBB2_359
	s_branch .LBB2_360
.LBB2_510:                              ;   in Loop: Header=BB2_144 Depth=2
	s_mov_b32 s12, -1
	s_mov_b32 s27, exec_lo
                                        ; implicit-def: $sgpr25
	v_cmpx_eq_u16_e32 0x80, v117
; %bb.511:                              ;   in Loop: Header=BB2_144 Depth=2
	s_mov_b32 s25, 0x7f800001
	s_xor_b32 s12, exec_lo, -1
; %bb.512:                              ;   in Loop: Header=BB2_144 Depth=2
	s_or_b32 exec_lo, exec_lo, s27
	s_delay_alu instid0(SALU_CYCLE_1)
	s_and_b32 s12, s12, exec_lo
                                        ; implicit-def: $vgpr117
	s_or_saveexec_b32 s26, s26
	v_mov_b32_e32 v115, s25
	s_xor_b32 exec_lo, exec_lo, s26
	s_cbranch_execz .LBB2_370
.LBB2_513:                              ;   in Loop: Header=BB2_144 Depth=2
	v_cmp_ne_u16_e64 s11, 0, v117
	v_mov_b32_e32 v115, 0
	s_and_not1_b32 s12, s12, exec_lo
	s_delay_alu instid0(VALU_DEP_2) | instskip(NEXT) | instid1(SALU_CYCLE_1)
	s_and_b32 s11, s11, exec_lo
	s_or_b32 s12, s12, s11
	s_or_b32 exec_lo, exec_lo, s26
	s_and_saveexec_b32 s25, s12
	s_cbranch_execnz .LBB2_371
	s_branch .LBB2_372
.LBB2_514:                              ;   in Loop: Header=BB2_144 Depth=2
	s_mov_b32 s12, -1
	s_mov_b32 s27, exec_lo
                                        ; implicit-def: $sgpr25
	v_cmpx_eq_u16_e32 0x80, v118
; %bb.515:                              ;   in Loop: Header=BB2_144 Depth=2
	s_mov_b32 s25, 0x7f800001
	s_xor_b32 s12, exec_lo, -1
; %bb.516:                              ;   in Loop: Header=BB2_144 Depth=2
	s_or_b32 exec_lo, exec_lo, s27
	s_delay_alu instid0(SALU_CYCLE_1)
	s_and_b32 s12, s12, exec_lo
                                        ; implicit-def: $vgpr118
	s_or_saveexec_b32 s26, s26
	v_mov_b32_e32 v117, s25
	s_xor_b32 exec_lo, exec_lo, s26
	s_cbranch_execz .LBB2_374
.LBB2_517:                              ;   in Loop: Header=BB2_144 Depth=2
	v_cmp_ne_u16_e64 s11, 0, v118
	v_mov_b32_e32 v117, 0
	s_and_not1_b32 s12, s12, exec_lo
	s_delay_alu instid0(VALU_DEP_2) | instskip(NEXT) | instid1(SALU_CYCLE_1)
	s_and_b32 s11, s11, exec_lo
	s_or_b32 s12, s12, s11
	s_or_b32 exec_lo, exec_lo, s26
	s_and_saveexec_b32 s25, s12
	s_cbranch_execnz .LBB2_375
	s_branch .LBB2_376
.LBB2_518:                              ;   in Loop: Header=BB2_144 Depth=2
	s_mov_b32 s12, -1
	s_mov_b32 s27, exec_lo
                                        ; implicit-def: $sgpr25
	v_cmpx_eq_u16_e32 0x80, v117
; %bb.519:                              ;   in Loop: Header=BB2_144 Depth=2
	s_mov_b32 s25, 0x7f800001
	s_xor_b32 s12, exec_lo, -1
; %bb.520:                              ;   in Loop: Header=BB2_144 Depth=2
	s_or_b32 exec_lo, exec_lo, s27
	s_delay_alu instid0(SALU_CYCLE_1)
	s_and_b32 s12, s12, exec_lo
	s_or_saveexec_b32 s26, s26
	v_mov_b32_e32 v116, s25
	s_xor_b32 exec_lo, exec_lo, s26
	s_cbranch_execz .LBB2_386
.LBB2_521:                              ;   in Loop: Header=BB2_144 Depth=2
	v_cmp_ne_u16_e64 s11, 0, v117
	v_mov_b32_e32 v116, 0
	s_and_not1_b32 s12, s12, exec_lo
	s_delay_alu instid0(VALU_DEP_2) | instskip(NEXT) | instid1(SALU_CYCLE_1)
	s_and_b32 s11, s11, exec_lo
	s_or_b32 s12, s12, s11
	s_or_b32 exec_lo, exec_lo, s26
	s_and_saveexec_b32 s25, s12
	s_cbranch_execnz .LBB2_387
	s_branch .LBB2_388
.LBB2_522:                              ;   in Loop: Header=BB2_144 Depth=2
	s_mov_b32 s12, -1
	s_mov_b32 s27, exec_lo
                                        ; implicit-def: $sgpr25
	v_cmpx_eq_u16_e32 0x80, v17
; %bb.523:                              ;   in Loop: Header=BB2_144 Depth=2
	s_mov_b32 s25, 0x7f800001
	s_xor_b32 s12, exec_lo, -1
; %bb.524:                              ;   in Loop: Header=BB2_144 Depth=2
	s_or_b32 exec_lo, exec_lo, s27
	s_delay_alu instid0(SALU_CYCLE_1)
	s_and_b32 s12, s12, exec_lo
	s_or_saveexec_b32 s26, s26
	v_mov_b32_e32 v117, s25
	s_xor_b32 exec_lo, exec_lo, s26
	s_cbranch_execz .LBB2_390
.LBB2_525:                              ;   in Loop: Header=BB2_144 Depth=2
	v_cmp_ne_u16_e64 s11, 0, v17
	v_mov_b32_e32 v117, 0
	s_and_not1_b32 s12, s12, exec_lo
	s_delay_alu instid0(VALU_DEP_2) | instskip(NEXT) | instid1(SALU_CYCLE_1)
	s_and_b32 s11, s11, exec_lo
	s_or_b32 s12, s12, s11
	s_or_b32 exec_lo, exec_lo, s26
	s_and_saveexec_b32 s25, s12
	s_cbranch_execnz .LBB2_391
	s_branch .LBB2_392
.LBB2_526:                              ;   in Loop: Header=BB2_53 Depth=1
	s_or_b32 exec_lo, exec_lo, s24
.LBB2_527:                              ;   in Loop: Header=BB2_53 Depth=1
	s_delay_alu instid0(SALU_CYCLE_1) | instskip(SKIP_3) | instid1(VALU_DEP_1)
	s_or_b32 exec_lo, exec_lo, s23
	v_and_b32_e32 v10, 15, v36
	s_mov_b32 s23, 0
	s_mov_b32 s12, exec_lo
                                        ; implicit-def: $vgpr16
	v_dual_mov_b32 v96, 0 :: v_dual_cndmask_b32 v97, v98, v10
	s_delay_alu instid0(VALU_DEP_1)
	v_cmpx_ne_u32_e32 0, v97
	s_cbranch_execz .LBB2_918
; %bb.528:                              ;   in Loop: Header=BB2_53 Depth=1
	v_cmp_lt_i32_e64 s11, 0, v99
	s_mov_b32 s23, exec_lo
	s_delay_alu instid0(VALU_DEP_1) | instskip(NEXT) | instid1(VALU_DEP_1)
	v_cndmask_b32_e64 v11, 0, v67, s11
	v_sub_nc_u32_e32 v11, v11, v99
	s_delay_alu instid0(VALU_DEP_1) | instskip(NEXT) | instid1(VALU_DEP_1)
	v_lshl_add_u32 v11, v11, 5, v70
	v_ashrrev_i32_e32 v12, 31, v11
	s_delay_alu instid0(VALU_DEP_1) | instskip(NEXT) | instid1(VALU_DEP_1)
	v_lshrrev_b32_e32 v12, 27, v12
	v_add_nc_u32_e32 v12, v11, v12
	s_delay_alu instid0(VALU_DEP_1) | instskip(NEXT) | instid1(VALU_DEP_1)
	v_and_b32_e32 v13, 0xffffffe0, v12
	v_sub_nc_u32_e32 v99, v11, v13
	v_ashrrev_i32_e32 v11, 5, v12
	v_sub_nc_u32_e32 v13, v98, v10
	s_delay_alu instid0(VALU_DEP_3) | instskip(NEXT) | instid1(VALU_DEP_3)
	v_lshlrev_b32_e32 v12, 4, v99
	v_sub_nc_u32_e32 v98, 0, v11
	s_delay_alu instid0(VALU_DEP_2) | instskip(NEXT) | instid1(VALU_DEP_4)
	v_lshl_add_u32 v10, v11, 9, v12
	v_cndmask_b32_e32 v12, 0, v13, vcc_lo
	s_delay_alu instid0(VALU_DEP_2) | instskip(NEXT) | instid1(VALU_DEP_2)
	v_sub_nc_u32_e32 v100, v97, v10
	v_and_or_b32 v96, 0x3ffffe00, v36, v12
	s_delay_alu instid0(VALU_DEP_2)
	v_cmpx_lt_i32_e32 15, v100
	s_cbranch_execz .LBB2_917
; %bb.529:                              ;   in Loop: Header=BB2_53 Depth=1
	s_cbranch_execnz .LBB2_2869
; %bb.530:                              ;   in Loop: Header=BB2_53 Depth=1
	ds_load_b128 v[11:14], v0
	ds_load_b64 v[15:16], v0
	v_add_nc_u32_e32 v10, v10, v96
	s_mov_b32 s24, 0
	s_delay_alu instid0(VALU_DEP_1) | instskip(SKIP_2) | instid1(VALU_DEP_2)
	v_ashrrev_i32_e32 v17, 31, v10
	s_waitcnt lgkmcnt(1)
	v_add_co_u32 v50, vcc_lo, v11, v10
	v_add_co_ci_u32_e32 v51, vcc_lo, v12, v17, vcc_lo
	v_add_co_u32 v52, vcc_lo, v13, v10
	v_add_co_ci_u32_e32 v53, vcc_lo, v14, v17, vcc_lo
	s_waitcnt lgkmcnt(0)
	v_add_co_u32 v54, vcc_lo, v15, v10
	v_add_co_ci_u32_e32 v55, vcc_lo, v16, v17, vcc_lo
	s_branch .LBB2_534
.LBB2_531:                              ;   in Loop: Header=BB2_534 Depth=2
	s_or_b32 exec_lo, exec_lo, s11
	s_delay_alu instid0(VALU_DEP_1) | instskip(NEXT) | instid1(VALU_DEP_2)
	v_lshrrev_b32_e32 v118, 21, v118
	v_cmp_gt_i32_e32 vcc_lo, 32, v17
	v_min_i32_e32 v119, 31, v17
	v_lshrrev_b32_e32 v13, 24, v13
	s_delay_alu instid0(VALU_DEP_2) | instskip(NEXT) | instid1(VALU_DEP_2)
	v_dual_cndmask_b32 v118, 3, v118 :: v_dual_lshlrev_b32 v119, 2, v119
	v_and_b32_e32 v13, 0x80, v13
	s_delay_alu instid0(VALU_DEP_2) | instskip(NEXT) | instid1(VALU_DEP_3)
	v_or_b32_e32 v17, v17, v118
	v_and_b32_e32 v119, 0xfc, v119
	s_delay_alu instid0(VALU_DEP_2) | instskip(SKIP_1) | instid1(VALU_DEP_1)
	v_cmp_ne_u32_e32 vcc_lo, 0, v17
	v_and_b32_e32 v128, 3, v118
	v_or3_b32 v13, v13, v119, v128
	s_delay_alu instid0(VALU_DEP_1) | instskip(NEXT) | instid1(VALU_DEP_1)
	v_lshlrev_b32_e32 v13, 8, v13
	v_cndmask_b32_e32 v17, 0, v13, vcc_lo
.LBB2_532:                              ;   in Loop: Header=BB2_534 Depth=2
	s_or_b32 exec_lo, exec_lo, s26
.LBB2_533:                              ;   in Loop: Header=BB2_534 Depth=2
	s_delay_alu instid0(SALU_CYCLE_1)
	s_or_b32 exec_lo, exec_lo, s25
	v_or_b32_e32 v11, v11, v113
	v_and_b32_e32 v13, 0xff, v103
	v_lshlrev_b32_e32 v102, 8, v102
	v_and_b32_e32 v103, 0xff, v115
	v_lshlrev_b32_e32 v113, 8, v114
	v_or_b32_e32 v17, v17, v117
	v_and_b32_e32 v14, 0xff, v14
	v_lshlrev_b32_e32 v10, 24, v10
	v_lshlrev_b32_e32 v11, 16, v11
	;; [unrolled: 1-line block ×3, first 2 shown]
	v_perm_b32 v101, v102, v101, 0xc0c0500
	v_lshlrev_b32_e32 v12, 24, v12
	v_lshlrev_b32_e32 v102, 16, v103
	v_perm_b32 v15, v113, v15, 0xc0c0500
	v_and_b32_e32 v16, 0xff, v16
	v_lshlrev_b32_e32 v17, 16, v17
	v_add_co_u32 v50, vcc_lo, v50, v81
	v_or3_b32 v11, v112, v14, v11
	v_or3_b32 v10, v10, v13, v101
	;; [unrolled: 1-line block ×4, first 2 shown]
	v_sub_nc_u32_e32 v100, v100, v69
	v_add_co_ci_u32_e32 v51, vcc_lo, v51, v82, vcc_lo
	v_add_co_u32 v52, vcc_lo, v52, v81
	v_add_co_ci_u32_e32 v53, vcc_lo, v53, v82, vcc_lo
	global_store_b128 v[54:55], v[10:13], off glc slc dlc
	v_cmp_gt_i32_e32 vcc_lo, 16, v100
	v_add_co_u32 v54, s11, v54, v81
	s_delay_alu instid0(VALU_DEP_1) | instskip(SKIP_2) | instid1(SALU_CYCLE_1)
	v_add_co_ci_u32_e64 v55, s11, v55, v82, s11
	v_sub_nc_u32_e32 v98, v98, v67
	s_or_b32 s24, vcc_lo, s24
	s_and_not1_b32 exec_lo, exec_lo, s24
	s_cbranch_execz .LBB2_916
.LBB2_534:                              ;   Parent Loop BB2_53 Depth=1
                                        ; =>  This Inner Loop Header: Depth=2
	global_load_b128 v[14:17], v[50:51], off slc dlc
	global_load_b128 v[10:13], v[52:53], off slc dlc
	s_mov_b32 s11, 0
	s_mov_b32 s26, exec_lo
                                        ; implicit-def: $sgpr25
	s_waitcnt vmcnt(1)
	v_and_b32_e32 v102, 0xff, v14
	s_delay_alu instid0(VALU_DEP_1)
	v_cmpx_lt_i16_e32 0x7f, v102
	s_xor_b32 s26, exec_lo, s26
	s_cbranch_execnz .LBB2_788
; %bb.535:                              ;   in Loop: Header=BB2_534 Depth=2
	s_or_saveexec_b32 s26, s26
	v_mov_b32_e32 v101, s25
	s_xor_b32 exec_lo, exec_lo, s26
	s_cbranch_execnz .LBB2_791
.LBB2_536:                              ;   in Loop: Header=BB2_534 Depth=2
	s_or_b32 exec_lo, exec_lo, s26
	s_and_saveexec_b32 s25, s11
	s_cbranch_execz .LBB2_538
.LBB2_537:                              ;   in Loop: Header=BB2_534 Depth=2
	v_and_b32_e32 v101, 3, v14
	v_bfe_u32 v112, v14, 2, 5
	v_lshlrev_b32_e32 v113, 24, v14
	s_delay_alu instid0(VALU_DEP_3) | instskip(NEXT) | instid1(VALU_DEP_3)
	v_clz_i32_u32_e32 v102, v101
	v_cmp_eq_u32_e32 vcc_lo, 0, v112
	s_delay_alu instid0(VALU_DEP_2) | instskip(NEXT) | instid1(VALU_DEP_1)
	v_min_u32_e32 v102, 32, v102
	v_subrev_nc_u32_e32 v103, 29, v102
	v_sub_nc_u32_e32 v102, 30, v102
	s_delay_alu instid0(VALU_DEP_2) | instskip(NEXT) | instid1(VALU_DEP_1)
	v_lshlrev_b32_e32 v103, v103, v14
	v_dual_cndmask_b32 v102, v112, v102 :: v_dual_and_b32 v103, 3, v103
	s_delay_alu instid0(VALU_DEP_1) | instskip(NEXT) | instid1(VALU_DEP_2)
	v_lshl_add_u32 v102, v102, 23, 0x37800000
	v_cndmask_b32_e32 v101, v101, v103, vcc_lo
	v_and_b32_e32 v103, 0x80000000, v113
	s_delay_alu instid0(VALU_DEP_2) | instskip(NEXT) | instid1(VALU_DEP_1)
	v_lshlrev_b32_e32 v101, 21, v101
	v_or3_b32 v101, v103, v102, v101
.LBB2_538:                              ;   in Loop: Header=BB2_534 Depth=2
	s_or_b32 exec_lo, exec_lo, s25
	s_waitcnt vmcnt(0)
	v_and_b32_e32 v103, 0xff, v10
	s_mov_b32 s11, 0
	s_mov_b32 s26, exec_lo
                                        ; implicit-def: $sgpr25
	s_delay_alu instid0(VALU_DEP_1)
	v_cmpx_lt_i16_e32 0x7f, v103
	s_xor_b32 s26, exec_lo, s26
	s_cbranch_execnz .LBB2_792
; %bb.539:                              ;   in Loop: Header=BB2_534 Depth=2
	s_or_saveexec_b32 s26, s26
	v_mov_b32_e32 v102, s25
	s_xor_b32 exec_lo, exec_lo, s26
	s_cbranch_execnz .LBB2_795
.LBB2_540:                              ;   in Loop: Header=BB2_534 Depth=2
	s_or_b32 exec_lo, exec_lo, s26
	s_and_saveexec_b32 s25, s11
	s_cbranch_execz .LBB2_542
.LBB2_541:                              ;   in Loop: Header=BB2_534 Depth=2
	v_bfe_u32 v113, v10, 2, 5
	v_lshlrev_b32_e32 v114, 24, v10
	s_delay_alu instid0(VALU_DEP_2) | instskip(SKIP_1) | instid1(VALU_DEP_1)
	v_cmp_eq_u32_e32 vcc_lo, 0, v113
	v_and_b32_e32 v102, 3, v10
	v_clz_i32_u32_e32 v103, v102
	s_delay_alu instid0(VALU_DEP_1) | instskip(NEXT) | instid1(VALU_DEP_1)
	v_min_u32_e32 v103, 32, v103
	v_subrev_nc_u32_e32 v112, 29, v103
	v_sub_nc_u32_e32 v103, 30, v103
	s_delay_alu instid0(VALU_DEP_1) | instskip(NEXT) | instid1(VALU_DEP_1)
	v_dual_cndmask_b32 v103, v113, v103 :: v_dual_lshlrev_b32 v112, v112, v10
	v_and_b32_e32 v112, 3, v112
	s_delay_alu instid0(VALU_DEP_2) | instskip(NEXT) | instid1(VALU_DEP_2)
	v_lshl_add_u32 v103, v103, 23, 0x37800000
	v_cndmask_b32_e32 v102, v102, v112, vcc_lo
	v_and_b32_e32 v112, 0x80000000, v114
	s_delay_alu instid0(VALU_DEP_2) | instskip(NEXT) | instid1(VALU_DEP_1)
	v_lshlrev_b32_e32 v102, 21, v102
	v_or3_b32 v102, v112, v103, v102
.LBB2_542:                              ;   in Loop: Header=BB2_534 Depth=2
	s_or_b32 exec_lo, exec_lo, s25
	s_delay_alu instid0(VALU_DEP_1) | instskip(NEXT) | instid1(VALU_DEP_1)
	v_mul_f32_e32 v102, v101, v102
	v_and_b32_e32 v101, 0x7f800000, v102
	s_delay_alu instid0(VALU_DEP_1)
	v_cmp_ne_u32_e32 vcc_lo, 0x7f800000, v101
	v_mov_b32_e32 v101, 0x80
	s_and_saveexec_b32 s25, vcc_lo
	s_cbranch_execz .LBB2_550
; %bb.543:                              ;   in Loop: Header=BB2_534 Depth=2
	v_mov_b32_e32 v101, 0
	s_mov_b32 s26, exec_lo
	v_cmpx_ne_u32_e32 0, v102
	s_cbranch_execz .LBB2_549
; %bb.544:                              ;   in Loop: Header=BB2_534 Depth=2
	v_bfe_u32 v101, v102, 23, 8
	s_delay_alu instid0(VALU_DEP_1) | instskip(SKIP_1) | instid1(VALU_DEP_2)
	v_sub_nc_u32_e32 v112, 0x70, v101
	v_cmp_gt_u32_e32 vcc_lo, 0x71, v101
	v_dual_cndmask_b32 v112, 0, v112 :: v_dual_and_b32 v103, 0x7fffff, v102
	s_delay_alu instid0(VALU_DEP_1) | instskip(SKIP_2) | instid1(VALU_DEP_4)
	v_or_b32_e32 v113, 0x800000, v103
	v_cmp_eq_u32_e32 vcc_lo, 0, v101
	v_add_nc_u32_e32 v101, 0xffffff91, v101
	v_cndmask_b32_e64 v112, v112, 0x6f, vcc_lo
	s_delay_alu instid0(VALU_DEP_2) | instskip(SKIP_1) | instid1(VALU_DEP_3)
	v_cndmask_b32_e64 v101, v101, 0xffffff92, vcc_lo
	v_cndmask_b32_e32 v103, v113, v103, vcc_lo
	v_lshl_add_u32 v113, 0x200000, v112, -1
	v_lshlrev_b32_e64 v116, v112, 0x100000
	s_delay_alu instid0(VALU_DEP_3) | instskip(SKIP_1) | instid1(VALU_DEP_4)
	v_lshrrev_b32_e32 v114, v112, v103
	v_add_nc_u32_e32 v112, v112, v101
	v_and_b32_e32 v103, v113, v103
	s_delay_alu instid0(VALU_DEP_3) | instskip(NEXT) | instid1(VALU_DEP_2)
	v_bfe_u32 v115, v114, 21, 1
	v_cmp_eq_u32_e64 s11, v103, v116
	s_delay_alu instid0(VALU_DEP_2) | instskip(NEXT) | instid1(VALU_DEP_1)
	v_add_nc_u32_e32 v113, -1, v115
	v_cndmask_b32_e64 v103, 0, v113, s11
	v_lshrrev_b32_e32 v113, 23, v114
	s_mov_b32 s11, exec_lo
	s_delay_alu instid0(VALU_DEP_2) | instskip(NEXT) | instid1(VALU_DEP_2)
	v_add_nc_u32_e32 v103, v103, v114
	v_xor_b32_e32 v113, 1, v113
	s_delay_alu instid0(VALU_DEP_2) | instskip(NEXT) | instid1(VALU_DEP_1)
	v_and_b32_e32 v101, 0x1fffff, v103
	v_add_nc_u32_e32 v103, v101, v114
                                        ; implicit-def: $vgpr101
	s_delay_alu instid0(VALU_DEP_3)
	v_cmpx_ne_u32_e64 v112, v113
	s_xor_b32 s11, exec_lo, s11
; %bb.545:                              ;   in Loop: Header=BB2_534 Depth=2
	s_delay_alu instid0(VALU_DEP_2) | instskip(SKIP_2) | instid1(VALU_DEP_2)
	v_cmp_lt_u32_e32 vcc_lo, 0xffffff, v103
	v_sub_nc_u32_e32 v101, v112, v113
	v_cndmask_b32_e64 v112, 0, 1, vcc_lo
	v_add_co_ci_u32_e32 v101, vcc_lo, 0, v101, vcc_lo
	s_delay_alu instid0(VALU_DEP_2)
	v_lshrrev_b32_e32 v103, v112, v103
; %bb.546:                              ;   in Loop: Header=BB2_534 Depth=2
	s_and_not1_saveexec_b32 s11, s11
; %bb.547:                              ;   in Loop: Header=BB2_534 Depth=2
	s_delay_alu instid0(VALU_DEP_1)
	v_bfe_u32 v101, v103, 23, 1
; %bb.548:                              ;   in Loop: Header=BB2_534 Depth=2
	s_or_b32 exec_lo, exec_lo, s11
	v_lshrrev_b32_e32 v103, 21, v103
	s_delay_alu instid0(VALU_DEP_2) | instskip(SKIP_2) | instid1(VALU_DEP_2)
	v_cmp_gt_i32_e32 vcc_lo, 32, v101
	v_lshrrev_b32_e32 v102, 24, v102
	v_min_i32_e32 v112, 31, v101
	v_dual_cndmask_b32 v103, 3, v103 :: v_dual_and_b32 v102, 0x80, v102
	s_delay_alu instid0(VALU_DEP_1) | instskip(SKIP_1) | instid1(VALU_DEP_2)
	v_or_b32_e32 v101, v101, v103
	v_and_b32_e32 v113, 3, v103
	v_cmp_ne_u32_e32 vcc_lo, 0, v101
	v_lshlrev_b32_e32 v112, 2, v112
	s_delay_alu instid0(VALU_DEP_1) | instskip(NEXT) | instid1(VALU_DEP_1)
	v_or3_b32 v102, v112, v102, v113
	v_cndmask_b32_e32 v101, 0, v102, vcc_lo
.LBB2_549:                              ;   in Loop: Header=BB2_534 Depth=2
	s_or_b32 exec_lo, exec_lo, s26
.LBB2_550:                              ;   in Loop: Header=BB2_534 Depth=2
	s_delay_alu instid0(SALU_CYCLE_1) | instskip(SKIP_3) | instid1(VALU_DEP_1)
	s_or_b32 exec_lo, exec_lo, s25
	v_lshrrev_b16 v103, 8, v14
	s_mov_b32 s11, 0
	s_mov_b32 s26, exec_lo
                                        ; implicit-def: $sgpr25
	v_cmpx_lt_i16_e32 0x7f, v103
	s_xor_b32 s26, exec_lo, s26
	s_cbranch_execnz .LBB2_796
; %bb.551:                              ;   in Loop: Header=BB2_534 Depth=2
	s_or_saveexec_b32 s26, s26
	v_mov_b32_e32 v102, s25
	s_xor_b32 exec_lo, exec_lo, s26
	s_cbranch_execnz .LBB2_799
.LBB2_552:                              ;   in Loop: Header=BB2_534 Depth=2
	s_or_b32 exec_lo, exec_lo, s26
	s_and_saveexec_b32 s25, s11
	s_cbranch_execz .LBB2_554
.LBB2_553:                              ;   in Loop: Header=BB2_534 Depth=2
	v_and_b32_e32 v102, 0xffff, v103
	s_delay_alu instid0(VALU_DEP_1) | instskip(NEXT) | instid1(VALU_DEP_1)
	v_and_b32_e32 v112, 3, v102
	v_clz_i32_u32_e32 v113, v112
	s_delay_alu instid0(VALU_DEP_1) | instskip(NEXT) | instid1(VALU_DEP_1)
	v_min_u32_e32 v113, 32, v113
	v_subrev_nc_u32_e32 v114, 29, v113
	v_sub_nc_u32_e32 v113, 30, v113
	s_delay_alu instid0(VALU_DEP_2) | instskip(SKIP_1) | instid1(VALU_DEP_2)
	v_lshlrev_b32_e32 v114, v114, v102
	v_bfe_u32 v102, v102, 2, 5
	v_and_b32_e32 v114, 3, v114
	s_delay_alu instid0(VALU_DEP_2) | instskip(SKIP_1) | instid1(VALU_DEP_1)
	v_cmp_eq_u32_e32 vcc_lo, 0, v102
	v_dual_cndmask_b32 v102, v102, v113 :: v_dual_lshlrev_b32 v103, 24, v103
	v_dual_cndmask_b32 v112, v112, v114 :: v_dual_and_b32 v103, 0x80000000, v103
	s_delay_alu instid0(VALU_DEP_2) | instskip(NEXT) | instid1(VALU_DEP_2)
	v_lshl_add_u32 v102, v102, 23, 0x37800000
	v_lshlrev_b32_e32 v112, 21, v112
	s_delay_alu instid0(VALU_DEP_1)
	v_or3_b32 v102, v103, v102, v112
.LBB2_554:                              ;   in Loop: Header=BB2_534 Depth=2
	s_or_b32 exec_lo, exec_lo, s25
	v_lshrrev_b16 v103, 8, v10
	s_mov_b32 s11, 0
	s_mov_b32 s26, exec_lo
                                        ; implicit-def: $sgpr25
	s_delay_alu instid0(VALU_DEP_1)
	v_cmpx_lt_i16_e32 0x7f, v103
	s_xor_b32 s26, exec_lo, s26
	s_cbranch_execnz .LBB2_800
; %bb.555:                              ;   in Loop: Header=BB2_534 Depth=2
	s_or_saveexec_b32 s26, s26
	v_mov_b32_e32 v112, s25
	s_xor_b32 exec_lo, exec_lo, s26
	s_cbranch_execnz .LBB2_803
.LBB2_556:                              ;   in Loop: Header=BB2_534 Depth=2
	s_or_b32 exec_lo, exec_lo, s26
	s_and_saveexec_b32 s25, s11
	s_cbranch_execz .LBB2_558
.LBB2_557:                              ;   in Loop: Header=BB2_534 Depth=2
	v_and_b32_e32 v112, 0xffff, v103
	v_lshlrev_b32_e32 v103, 24, v103
	s_delay_alu instid0(VALU_DEP_2) | instskip(NEXT) | instid1(VALU_DEP_2)
	v_and_b32_e32 v113, 3, v112
	v_and_b32_e32 v103, 0x80000000, v103
	s_delay_alu instid0(VALU_DEP_2) | instskip(NEXT) | instid1(VALU_DEP_1)
	v_clz_i32_u32_e32 v114, v113
	v_min_u32_e32 v114, 32, v114
	s_delay_alu instid0(VALU_DEP_1) | instskip(SKIP_1) | instid1(VALU_DEP_2)
	v_subrev_nc_u32_e32 v115, 29, v114
	v_sub_nc_u32_e32 v114, 30, v114
	v_lshlrev_b32_e32 v115, v115, v112
	v_bfe_u32 v112, v112, 2, 5
	s_delay_alu instid0(VALU_DEP_2) | instskip(NEXT) | instid1(VALU_DEP_2)
	v_and_b32_e32 v115, 3, v115
	v_cmp_eq_u32_e32 vcc_lo, 0, v112
	s_delay_alu instid0(VALU_DEP_2) | instskip(NEXT) | instid1(VALU_DEP_1)
	v_dual_cndmask_b32 v112, v112, v114 :: v_dual_cndmask_b32 v113, v113, v115
	v_lshl_add_u32 v112, v112, 23, 0x37800000
	s_delay_alu instid0(VALU_DEP_2) | instskip(NEXT) | instid1(VALU_DEP_1)
	v_lshlrev_b32_e32 v113, 21, v113
	v_or3_b32 v112, v103, v112, v113
.LBB2_558:                              ;   in Loop: Header=BB2_534 Depth=2
	s_or_b32 exec_lo, exec_lo, s25
	s_delay_alu instid0(VALU_DEP_1) | instskip(NEXT) | instid1(VALU_DEP_1)
	v_mul_f32_e32 v103, v102, v112
	v_and_b32_e32 v102, 0x7f800000, v103
	s_delay_alu instid0(VALU_DEP_1)
	v_cmp_ne_u32_e32 vcc_lo, 0x7f800000, v102
	v_mov_b32_e32 v102, 0x80
	s_and_saveexec_b32 s25, vcc_lo
	s_cbranch_execz .LBB2_566
; %bb.559:                              ;   in Loop: Header=BB2_534 Depth=2
	v_mov_b32_e32 v102, 0
	s_mov_b32 s26, exec_lo
	v_cmpx_ne_u32_e32 0, v103
	s_cbranch_execz .LBB2_565
; %bb.560:                              ;   in Loop: Header=BB2_534 Depth=2
	v_bfe_u32 v102, v103, 23, 8
	s_delay_alu instid0(VALU_DEP_1) | instskip(SKIP_1) | instid1(VALU_DEP_2)
	v_sub_nc_u32_e32 v113, 0x70, v102
	v_cmp_gt_u32_e32 vcc_lo, 0x71, v102
	v_dual_cndmask_b32 v113, 0, v113 :: v_dual_and_b32 v112, 0x7fffff, v103
	s_delay_alu instid0(VALU_DEP_1) | instskip(SKIP_2) | instid1(VALU_DEP_4)
	v_or_b32_e32 v114, 0x800000, v112
	v_cmp_eq_u32_e32 vcc_lo, 0, v102
	v_add_nc_u32_e32 v102, 0xffffff91, v102
	v_cndmask_b32_e64 v113, v113, 0x6f, vcc_lo
	s_delay_alu instid0(VALU_DEP_2) | instskip(SKIP_1) | instid1(VALU_DEP_3)
	v_cndmask_b32_e64 v102, v102, 0xffffff92, vcc_lo
	v_cndmask_b32_e32 v112, v114, v112, vcc_lo
	v_lshl_add_u32 v114, 0x200000, v113, -1
	v_lshlrev_b32_e64 v117, v113, 0x100000
	s_delay_alu instid0(VALU_DEP_3) | instskip(SKIP_1) | instid1(VALU_DEP_4)
	v_lshrrev_b32_e32 v115, v113, v112
	v_add_nc_u32_e32 v113, v113, v102
	v_and_b32_e32 v112, v114, v112
	s_delay_alu instid0(VALU_DEP_3) | instskip(NEXT) | instid1(VALU_DEP_2)
	v_bfe_u32 v116, v115, 21, 1
	v_cmp_eq_u32_e64 s11, v112, v117
	s_delay_alu instid0(VALU_DEP_2) | instskip(NEXT) | instid1(VALU_DEP_1)
	v_add_nc_u32_e32 v114, -1, v116
	v_cndmask_b32_e64 v112, 0, v114, s11
	v_lshrrev_b32_e32 v114, 23, v115
	s_mov_b32 s11, exec_lo
	s_delay_alu instid0(VALU_DEP_2) | instskip(NEXT) | instid1(VALU_DEP_2)
	v_add_nc_u32_e32 v112, v112, v115
	v_xor_b32_e32 v114, 1, v114
	s_delay_alu instid0(VALU_DEP_2) | instskip(NEXT) | instid1(VALU_DEP_1)
	v_and_b32_e32 v102, 0x1fffff, v112
	v_add_nc_u32_e32 v112, v102, v115
                                        ; implicit-def: $vgpr102
	s_delay_alu instid0(VALU_DEP_3)
	v_cmpx_ne_u32_e64 v113, v114
	s_xor_b32 s11, exec_lo, s11
; %bb.561:                              ;   in Loop: Header=BB2_534 Depth=2
	s_delay_alu instid0(VALU_DEP_2) | instskip(SKIP_2) | instid1(VALU_DEP_2)
	v_cmp_lt_u32_e32 vcc_lo, 0xffffff, v112
	v_sub_nc_u32_e32 v102, v113, v114
	v_cndmask_b32_e64 v113, 0, 1, vcc_lo
	v_add_co_ci_u32_e32 v102, vcc_lo, 0, v102, vcc_lo
	s_delay_alu instid0(VALU_DEP_2)
	v_lshrrev_b32_e32 v112, v113, v112
; %bb.562:                              ;   in Loop: Header=BB2_534 Depth=2
	s_and_not1_saveexec_b32 s11, s11
; %bb.563:                              ;   in Loop: Header=BB2_534 Depth=2
	s_delay_alu instid0(VALU_DEP_1)
	v_bfe_u32 v102, v112, 23, 1
; %bb.564:                              ;   in Loop: Header=BB2_534 Depth=2
	s_or_b32 exec_lo, exec_lo, s11
	v_lshrrev_b32_e32 v112, 21, v112
	s_delay_alu instid0(VALU_DEP_2) | instskip(SKIP_2) | instid1(VALU_DEP_2)
	v_cmp_gt_i32_e32 vcc_lo, 32, v102
	v_lshrrev_b32_e32 v103, 24, v103
	v_min_i32_e32 v113, 31, v102
	v_dual_cndmask_b32 v112, 3, v112 :: v_dual_and_b32 v103, 0x80, v103
	s_delay_alu instid0(VALU_DEP_1) | instskip(SKIP_1) | instid1(VALU_DEP_2)
	v_or_b32_e32 v102, v102, v112
	v_and_b32_e32 v114, 3, v112
	v_cmp_ne_u32_e32 vcc_lo, 0, v102
	v_lshlrev_b32_e32 v113, 2, v113
	s_delay_alu instid0(VALU_DEP_1) | instskip(NEXT) | instid1(VALU_DEP_1)
	v_or3_b32 v103, v113, v103, v114
	v_cndmask_b32_e32 v102, 0, v103, vcc_lo
.LBB2_565:                              ;   in Loop: Header=BB2_534 Depth=2
	s_or_b32 exec_lo, exec_lo, s26
.LBB2_566:                              ;   in Loop: Header=BB2_534 Depth=2
	s_delay_alu instid0(SALU_CYCLE_1) | instskip(SKIP_3) | instid1(VALU_DEP_1)
	s_or_b32 exec_lo, exec_lo, s25
	v_lshrrev_b32_e32 v112, 16, v14
	s_mov_b32 s11, 0
	s_mov_b32 s26, exec_lo
                                        ; implicit-def: $sgpr25
	v_and_b32_e32 v113, 0xff, v112
	s_delay_alu instid0(VALU_DEP_1)
	v_cmpx_lt_i16_e32 0x7f, v113
	s_xor_b32 s26, exec_lo, s26
	s_cbranch_execnz .LBB2_804
; %bb.567:                              ;   in Loop: Header=BB2_534 Depth=2
	s_or_saveexec_b32 s26, s26
	v_mov_b32_e32 v103, s25
	s_xor_b32 exec_lo, exec_lo, s26
	s_cbranch_execnz .LBB2_807
.LBB2_568:                              ;   in Loop: Header=BB2_534 Depth=2
	s_or_b32 exec_lo, exec_lo, s26
	s_and_saveexec_b32 s25, s11
	s_cbranch_execz .LBB2_570
.LBB2_569:                              ;   in Loop: Header=BB2_534 Depth=2
	v_bfe_u32 v103, v14, 16, 2
	v_lshlrev_b32_e32 v115, 8, v14
	s_delay_alu instid0(VALU_DEP_2) | instskip(NEXT) | instid1(VALU_DEP_1)
	v_clz_i32_u32_e32 v113, v103
	v_min_u32_e32 v113, 32, v113
	s_delay_alu instid0(VALU_DEP_1) | instskip(SKIP_1) | instid1(VALU_DEP_2)
	v_subrev_nc_u32_e32 v114, 29, v113
	v_sub_nc_u32_e32 v113, 30, v113
	v_lshlrev_b32_e32 v112, v114, v112
	v_bfe_u32 v114, v14, 18, 5
	s_delay_alu instid0(VALU_DEP_1) | instskip(NEXT) | instid1(VALU_DEP_3)
	v_cmp_eq_u32_e32 vcc_lo, 0, v114
	v_dual_cndmask_b32 v113, v114, v113 :: v_dual_and_b32 v112, 3, v112
	s_delay_alu instid0(VALU_DEP_1) | instskip(NEXT) | instid1(VALU_DEP_2)
	v_dual_cndmask_b32 v103, v103, v112 :: v_dual_and_b32 v112, 0x80000000, v115
	v_lshl_add_u32 v113, v113, 23, 0x37800000
	s_delay_alu instid0(VALU_DEP_2) | instskip(NEXT) | instid1(VALU_DEP_1)
	v_lshlrev_b32_e32 v103, 21, v103
	v_or3_b32 v103, v112, v113, v103
.LBB2_570:                              ;   in Loop: Header=BB2_534 Depth=2
	s_or_b32 exec_lo, exec_lo, s25
	v_lshrrev_b32_e32 v112, 16, v10
	s_mov_b32 s11, 0
	s_mov_b32 s26, exec_lo
                                        ; implicit-def: $sgpr25
	s_delay_alu instid0(VALU_DEP_1) | instskip(NEXT) | instid1(VALU_DEP_1)
	v_and_b32_e32 v114, 0xff, v112
	v_cmpx_lt_i16_e32 0x7f, v114
	s_xor_b32 s26, exec_lo, s26
	s_cbranch_execnz .LBB2_808
; %bb.571:                              ;   in Loop: Header=BB2_534 Depth=2
	s_or_saveexec_b32 s26, s26
	v_mov_b32_e32 v113, s25
	s_xor_b32 exec_lo, exec_lo, s26
	s_cbranch_execnz .LBB2_811
.LBB2_572:                              ;   in Loop: Header=BB2_534 Depth=2
	s_or_b32 exec_lo, exec_lo, s26
	s_and_saveexec_b32 s25, s11
	s_cbranch_execz .LBB2_574
.LBB2_573:                              ;   in Loop: Header=BB2_534 Depth=2
	v_bfe_u32 v113, v10, 16, 2
	v_lshlrev_b32_e32 v116, 8, v10
	s_delay_alu instid0(VALU_DEP_2) | instskip(NEXT) | instid1(VALU_DEP_1)
	v_clz_i32_u32_e32 v114, v113
	v_min_u32_e32 v114, 32, v114
	s_delay_alu instid0(VALU_DEP_1) | instskip(SKIP_1) | instid1(VALU_DEP_2)
	v_subrev_nc_u32_e32 v115, 29, v114
	v_sub_nc_u32_e32 v114, 30, v114
	v_lshlrev_b32_e32 v112, v115, v112
	v_bfe_u32 v115, v10, 18, 5
	s_delay_alu instid0(VALU_DEP_2) | instskip(NEXT) | instid1(VALU_DEP_2)
	v_and_b32_e32 v112, 3, v112
	v_cmp_eq_u32_e32 vcc_lo, 0, v115
	v_cndmask_b32_e32 v114, v115, v114, vcc_lo
	s_delay_alu instid0(VALU_DEP_3) | instskip(SKIP_1) | instid1(VALU_DEP_3)
	v_cndmask_b32_e32 v112, v113, v112, vcc_lo
	v_and_b32_e32 v113, 0x80000000, v116
	v_lshl_add_u32 v114, v114, 23, 0x37800000
	s_delay_alu instid0(VALU_DEP_3) | instskip(NEXT) | instid1(VALU_DEP_1)
	v_lshlrev_b32_e32 v112, 21, v112
	v_or3_b32 v113, v113, v114, v112
.LBB2_574:                              ;   in Loop: Header=BB2_534 Depth=2
	s_or_b32 exec_lo, exec_lo, s25
	s_delay_alu instid0(VALU_DEP_1) | instskip(NEXT) | instid1(VALU_DEP_1)
	v_mul_f32_e32 v112, v103, v113
	v_and_b32_e32 v103, 0x7f800000, v112
	s_delay_alu instid0(VALU_DEP_1)
	v_cmp_ne_u32_e32 vcc_lo, 0x7f800000, v103
	v_mov_b32_e32 v103, 0x80
	s_and_saveexec_b32 s25, vcc_lo
	s_cbranch_execz .LBB2_582
; %bb.575:                              ;   in Loop: Header=BB2_534 Depth=2
	v_mov_b32_e32 v103, 0
	s_mov_b32 s26, exec_lo
	v_cmpx_ne_u32_e32 0, v112
	s_cbranch_execz .LBB2_581
; %bb.576:                              ;   in Loop: Header=BB2_534 Depth=2
	v_bfe_u32 v103, v112, 23, 8
	s_delay_alu instid0(VALU_DEP_1) | instskip(SKIP_1) | instid1(VALU_DEP_2)
	v_sub_nc_u32_e32 v114, 0x70, v103
	v_cmp_gt_u32_e32 vcc_lo, 0x71, v103
	v_dual_cndmask_b32 v114, 0, v114 :: v_dual_and_b32 v113, 0x7fffff, v112
	s_delay_alu instid0(VALU_DEP_1) | instskip(SKIP_2) | instid1(VALU_DEP_4)
	v_or_b32_e32 v115, 0x800000, v113
	v_cmp_eq_u32_e32 vcc_lo, 0, v103
	v_add_nc_u32_e32 v103, 0xffffff91, v103
	v_cndmask_b32_e64 v114, v114, 0x6f, vcc_lo
	s_delay_alu instid0(VALU_DEP_2) | instskip(SKIP_1) | instid1(VALU_DEP_3)
	v_cndmask_b32_e64 v103, v103, 0xffffff92, vcc_lo
	v_cndmask_b32_e32 v113, v115, v113, vcc_lo
	v_lshl_add_u32 v115, 0x200000, v114, -1
	v_lshlrev_b32_e64 v118, v114, 0x100000
	s_delay_alu instid0(VALU_DEP_3) | instskip(SKIP_1) | instid1(VALU_DEP_4)
	v_lshrrev_b32_e32 v116, v114, v113
	v_add_nc_u32_e32 v114, v114, v103
	v_and_b32_e32 v113, v115, v113
	s_delay_alu instid0(VALU_DEP_3) | instskip(NEXT) | instid1(VALU_DEP_2)
	v_bfe_u32 v117, v116, 21, 1
	v_cmp_eq_u32_e64 s11, v113, v118
	s_delay_alu instid0(VALU_DEP_2) | instskip(NEXT) | instid1(VALU_DEP_1)
	v_add_nc_u32_e32 v115, -1, v117
	v_cndmask_b32_e64 v113, 0, v115, s11
	v_lshrrev_b32_e32 v115, 23, v116
	s_mov_b32 s11, exec_lo
	s_delay_alu instid0(VALU_DEP_2) | instskip(NEXT) | instid1(VALU_DEP_2)
	v_add_nc_u32_e32 v113, v113, v116
	v_xor_b32_e32 v115, 1, v115
	s_delay_alu instid0(VALU_DEP_2) | instskip(NEXT) | instid1(VALU_DEP_1)
	v_and_b32_e32 v103, 0x1fffff, v113
	v_add_nc_u32_e32 v113, v103, v116
                                        ; implicit-def: $vgpr103
	s_delay_alu instid0(VALU_DEP_3)
	v_cmpx_ne_u32_e64 v114, v115
	s_xor_b32 s11, exec_lo, s11
; %bb.577:                              ;   in Loop: Header=BB2_534 Depth=2
	s_delay_alu instid0(VALU_DEP_2) | instskip(SKIP_2) | instid1(VALU_DEP_2)
	v_cmp_lt_u32_e32 vcc_lo, 0xffffff, v113
	v_sub_nc_u32_e32 v103, v114, v115
	v_cndmask_b32_e64 v114, 0, 1, vcc_lo
	v_add_co_ci_u32_e32 v103, vcc_lo, 0, v103, vcc_lo
	s_delay_alu instid0(VALU_DEP_2)
	v_lshrrev_b32_e32 v113, v114, v113
; %bb.578:                              ;   in Loop: Header=BB2_534 Depth=2
	s_and_not1_saveexec_b32 s11, s11
; %bb.579:                              ;   in Loop: Header=BB2_534 Depth=2
	s_delay_alu instid0(VALU_DEP_1)
	v_bfe_u32 v103, v113, 23, 1
; %bb.580:                              ;   in Loop: Header=BB2_534 Depth=2
	s_or_b32 exec_lo, exec_lo, s11
	v_lshrrev_b32_e32 v113, 21, v113
	s_delay_alu instid0(VALU_DEP_2) | instskip(SKIP_2) | instid1(VALU_DEP_2)
	v_cmp_gt_i32_e32 vcc_lo, 32, v103
	v_lshrrev_b32_e32 v112, 24, v112
	v_min_i32_e32 v114, 31, v103
	v_dual_cndmask_b32 v113, 3, v113 :: v_dual_and_b32 v112, 0x80, v112
	s_delay_alu instid0(VALU_DEP_1) | instskip(SKIP_1) | instid1(VALU_DEP_2)
	v_or_b32_e32 v103, v103, v113
	v_and_b32_e32 v115, 3, v113
	v_cmp_ne_u32_e32 vcc_lo, 0, v103
	v_lshlrev_b32_e32 v114, 2, v114
	s_delay_alu instid0(VALU_DEP_1) | instskip(NEXT) | instid1(VALU_DEP_1)
	v_or3_b32 v112, v114, v112, v115
	v_cndmask_b32_e32 v103, 0, v112, vcc_lo
.LBB2_581:                              ;   in Loop: Header=BB2_534 Depth=2
	s_or_b32 exec_lo, exec_lo, s26
.LBB2_582:                              ;   in Loop: Header=BB2_534 Depth=2
	s_delay_alu instid0(SALU_CYCLE_1) | instskip(SKIP_3) | instid1(VALU_DEP_1)
	s_or_b32 exec_lo, exec_lo, s25
	v_lshrrev_b32_e32 v113, 24, v14
	s_mov_b32 s11, 0
	s_mov_b32 s26, exec_lo
                                        ; implicit-def: $sgpr25
	v_cmpx_lt_i16_e32 0x7f, v113
	s_xor_b32 s26, exec_lo, s26
	s_cbranch_execnz .LBB2_812
; %bb.583:                              ;   in Loop: Header=BB2_534 Depth=2
	s_or_saveexec_b32 s26, s26
	v_mov_b32_e32 v112, s25
	s_xor_b32 exec_lo, exec_lo, s26
	s_cbranch_execnz .LBB2_815
.LBB2_584:                              ;   in Loop: Header=BB2_534 Depth=2
	s_or_b32 exec_lo, exec_lo, s26
	s_and_saveexec_b32 s25, s11
	s_cbranch_execz .LBB2_586
.LBB2_585:                              ;   in Loop: Header=BB2_534 Depth=2
	v_bfe_u32 v112, v14, 24, 2
	s_delay_alu instid0(VALU_DEP_1) | instskip(NEXT) | instid1(VALU_DEP_1)
	v_clz_i32_u32_e32 v114, v112
	v_min_u32_e32 v114, 32, v114
	s_delay_alu instid0(VALU_DEP_1) | instskip(SKIP_1) | instid1(VALU_DEP_2)
	v_subrev_nc_u32_e32 v115, 29, v114
	v_sub_nc_u32_e32 v114, 30, v114
	v_lshlrev_b32_e32 v113, v115, v113
	v_bfe_u32 v115, v14, 26, 5
	v_and_b32_e32 v14, 0x80000000, v14
	s_delay_alu instid0(VALU_DEP_2) | instskip(NEXT) | instid1(VALU_DEP_4)
	v_cmp_eq_u32_e32 vcc_lo, 0, v115
	v_dual_cndmask_b32 v114, v115, v114 :: v_dual_and_b32 v113, 3, v113
	s_delay_alu instid0(VALU_DEP_1) | instskip(NEXT) | instid1(VALU_DEP_2)
	v_cndmask_b32_e32 v112, v112, v113, vcc_lo
	v_lshl_add_u32 v113, v114, 23, 0x37800000
	s_delay_alu instid0(VALU_DEP_2) | instskip(NEXT) | instid1(VALU_DEP_1)
	v_lshlrev_b32_e32 v112, 21, v112
	v_or3_b32 v112, v14, v113, v112
.LBB2_586:                              ;   in Loop: Header=BB2_534 Depth=2
	s_or_b32 exec_lo, exec_lo, s25
	v_lshrrev_b32_e32 v14, 24, v10
	s_mov_b32 s11, 0
	s_mov_b32 s26, exec_lo
                                        ; implicit-def: $sgpr25
	s_delay_alu instid0(VALU_DEP_1)
	v_cmpx_lt_i16_e32 0x7f, v14
	s_xor_b32 s26, exec_lo, s26
	s_cbranch_execnz .LBB2_816
; %bb.587:                              ;   in Loop: Header=BB2_534 Depth=2
	s_or_saveexec_b32 s26, s26
	v_mov_b32_e32 v113, s25
	s_xor_b32 exec_lo, exec_lo, s26
	s_cbranch_execnz .LBB2_819
.LBB2_588:                              ;   in Loop: Header=BB2_534 Depth=2
	s_or_b32 exec_lo, exec_lo, s26
	s_and_saveexec_b32 s25, s11
	s_cbranch_execz .LBB2_590
.LBB2_589:                              ;   in Loop: Header=BB2_534 Depth=2
	v_bfe_u32 v113, v10, 24, 2
	s_delay_alu instid0(VALU_DEP_1) | instskip(NEXT) | instid1(VALU_DEP_1)
	v_clz_i32_u32_e32 v114, v113
	v_min_u32_e32 v114, 32, v114
	s_delay_alu instid0(VALU_DEP_1) | instskip(SKIP_1) | instid1(VALU_DEP_2)
	v_subrev_nc_u32_e32 v115, 29, v114
	v_sub_nc_u32_e32 v114, 30, v114
	v_lshlrev_b32_e32 v14, v115, v14
	v_bfe_u32 v115, v10, 26, 5
	v_and_b32_e32 v10, 0x80000000, v10
	s_delay_alu instid0(VALU_DEP_3) | instskip(NEXT) | instid1(VALU_DEP_3)
	v_and_b32_e32 v14, 3, v14
	v_cmp_eq_u32_e32 vcc_lo, 0, v115
	v_cndmask_b32_e32 v114, v115, v114, vcc_lo
	s_delay_alu instid0(VALU_DEP_3) | instskip(NEXT) | instid1(VALU_DEP_2)
	v_cndmask_b32_e32 v14, v113, v14, vcc_lo
	v_lshl_add_u32 v113, v114, 23, 0x37800000
	s_delay_alu instid0(VALU_DEP_2) | instskip(NEXT) | instid1(VALU_DEP_1)
	v_lshlrev_b32_e32 v14, 21, v14
	v_or3_b32 v113, v10, v113, v14
.LBB2_590:                              ;   in Loop: Header=BB2_534 Depth=2
	s_or_b32 exec_lo, exec_lo, s25
	s_delay_alu instid0(VALU_DEP_1) | instskip(NEXT) | instid1(VALU_DEP_1)
	v_mul_f32_e32 v14, v112, v113
	v_and_b32_e32 v10, 0x7f800000, v14
	s_delay_alu instid0(VALU_DEP_1)
	v_cmp_ne_u32_e32 vcc_lo, 0x7f800000, v10
	v_mov_b32_e32 v10, 0x80
	s_and_saveexec_b32 s25, vcc_lo
	s_cbranch_execz .LBB2_598
; %bb.591:                              ;   in Loop: Header=BB2_534 Depth=2
	v_mov_b32_e32 v10, 0
	s_mov_b32 s26, exec_lo
	v_cmpx_ne_u32_e32 0, v14
	s_cbranch_execz .LBB2_597
; %bb.592:                              ;   in Loop: Header=BB2_534 Depth=2
	v_bfe_u32 v10, v14, 23, 8
	s_delay_alu instid0(VALU_DEP_1) | instskip(SKIP_1) | instid1(VALU_DEP_2)
	v_sub_nc_u32_e32 v113, 0x70, v10
	v_cmp_gt_u32_e32 vcc_lo, 0x71, v10
	v_dual_cndmask_b32 v113, 0, v113 :: v_dual_and_b32 v112, 0x7fffff, v14
	s_delay_alu instid0(VALU_DEP_1) | instskip(SKIP_2) | instid1(VALU_DEP_4)
	v_or_b32_e32 v114, 0x800000, v112
	v_cmp_eq_u32_e32 vcc_lo, 0, v10
	v_add_nc_u32_e32 v10, 0xffffff91, v10
	v_cndmask_b32_e64 v113, v113, 0x6f, vcc_lo
	s_delay_alu instid0(VALU_DEP_2) | instskip(SKIP_1) | instid1(VALU_DEP_3)
	v_cndmask_b32_e64 v10, v10, 0xffffff92, vcc_lo
	v_cndmask_b32_e32 v112, v114, v112, vcc_lo
	v_lshl_add_u32 v114, 0x200000, v113, -1
	v_lshlrev_b32_e64 v117, v113, 0x100000
	s_delay_alu instid0(VALU_DEP_3) | instskip(SKIP_1) | instid1(VALU_DEP_4)
	v_lshrrev_b32_e32 v115, v113, v112
	v_add_nc_u32_e32 v113, v113, v10
	v_and_b32_e32 v112, v114, v112
	s_delay_alu instid0(VALU_DEP_3) | instskip(NEXT) | instid1(VALU_DEP_2)
	v_bfe_u32 v116, v115, 21, 1
	v_cmp_eq_u32_e64 s11, v112, v117
	s_delay_alu instid0(VALU_DEP_2) | instskip(NEXT) | instid1(VALU_DEP_1)
	v_add_nc_u32_e32 v114, -1, v116
	v_cndmask_b32_e64 v112, 0, v114, s11
	v_lshrrev_b32_e32 v114, 23, v115
	s_mov_b32 s11, exec_lo
	s_delay_alu instid0(VALU_DEP_2) | instskip(NEXT) | instid1(VALU_DEP_2)
	v_add_nc_u32_e32 v112, v112, v115
	v_xor_b32_e32 v114, 1, v114
	s_delay_alu instid0(VALU_DEP_2) | instskip(NEXT) | instid1(VALU_DEP_1)
	v_and_b32_e32 v10, 0x1fffff, v112
	v_add_nc_u32_e32 v112, v10, v115
                                        ; implicit-def: $vgpr10
	s_delay_alu instid0(VALU_DEP_3)
	v_cmpx_ne_u32_e64 v113, v114
	s_xor_b32 s11, exec_lo, s11
; %bb.593:                              ;   in Loop: Header=BB2_534 Depth=2
	s_delay_alu instid0(VALU_DEP_2) | instskip(SKIP_2) | instid1(VALU_DEP_2)
	v_cmp_lt_u32_e32 vcc_lo, 0xffffff, v112
	v_sub_nc_u32_e32 v10, v113, v114
	v_cndmask_b32_e64 v113, 0, 1, vcc_lo
	v_add_co_ci_u32_e32 v10, vcc_lo, 0, v10, vcc_lo
	s_delay_alu instid0(VALU_DEP_2)
	v_lshrrev_b32_e32 v112, v113, v112
; %bb.594:                              ;   in Loop: Header=BB2_534 Depth=2
	s_and_not1_saveexec_b32 s11, s11
; %bb.595:                              ;   in Loop: Header=BB2_534 Depth=2
	s_delay_alu instid0(VALU_DEP_1)
	v_bfe_u32 v10, v112, 23, 1
; %bb.596:                              ;   in Loop: Header=BB2_534 Depth=2
	s_or_b32 exec_lo, exec_lo, s11
	v_lshrrev_b32_e32 v112, 21, v112
	s_delay_alu instid0(VALU_DEP_2) | instskip(SKIP_2) | instid1(VALU_DEP_4)
	v_cmp_gt_i32_e32 vcc_lo, 32, v10
	v_lshrrev_b32_e32 v14, 24, v14
	v_min_i32_e32 v113, 31, v10
	v_cndmask_b32_e32 v112, 3, v112, vcc_lo
	s_delay_alu instid0(VALU_DEP_3) | instskip(NEXT) | instid1(VALU_DEP_3)
	v_and_b32_e32 v14, 0x80, v14
	v_lshlrev_b32_e32 v113, 2, v113
	s_delay_alu instid0(VALU_DEP_3) | instskip(SKIP_1) | instid1(VALU_DEP_2)
	v_and_b32_e32 v114, 3, v112
	v_or_b32_e32 v10, v10, v112
	v_or3_b32 v14, v113, v14, v114
	s_delay_alu instid0(VALU_DEP_2) | instskip(NEXT) | instid1(VALU_DEP_2)
	v_cmp_ne_u32_e32 vcc_lo, 0, v10
	v_cndmask_b32_e32 v10, 0, v14, vcc_lo
.LBB2_597:                              ;   in Loop: Header=BB2_534 Depth=2
	s_or_b32 exec_lo, exec_lo, s26
.LBB2_598:                              ;   in Loop: Header=BB2_534 Depth=2
	s_delay_alu instid0(SALU_CYCLE_1) | instskip(SKIP_3) | instid1(VALU_DEP_1)
	s_or_b32 exec_lo, exec_lo, s25
	v_and_b32_e32 v112, 0xff, v15
	s_mov_b32 s11, 0
	s_mov_b32 s26, exec_lo
                                        ; implicit-def: $sgpr25
	v_cmpx_lt_i16_e32 0x7f, v112
	s_xor_b32 s26, exec_lo, s26
	s_cbranch_execnz .LBB2_820
; %bb.599:                              ;   in Loop: Header=BB2_534 Depth=2
	s_or_saveexec_b32 s26, s26
	v_mov_b32_e32 v14, s25
	s_xor_b32 exec_lo, exec_lo, s26
	s_cbranch_execnz .LBB2_823
.LBB2_600:                              ;   in Loop: Header=BB2_534 Depth=2
	s_or_b32 exec_lo, exec_lo, s26
	s_and_saveexec_b32 s25, s11
	s_cbranch_execz .LBB2_602
.LBB2_601:                              ;   in Loop: Header=BB2_534 Depth=2
	v_and_b32_e32 v14, 3, v15
	v_bfe_u32 v114, v15, 2, 5
	s_delay_alu instid0(VALU_DEP_2) | instskip(NEXT) | instid1(VALU_DEP_2)
	v_clz_i32_u32_e32 v112, v14
	v_cmp_eq_u32_e32 vcc_lo, 0, v114
	s_delay_alu instid0(VALU_DEP_2) | instskip(NEXT) | instid1(VALU_DEP_1)
	v_min_u32_e32 v112, 32, v112
	v_subrev_nc_u32_e32 v113, 29, v112
	v_sub_nc_u32_e32 v112, 30, v112
	s_delay_alu instid0(VALU_DEP_1) | instskip(NEXT) | instid1(VALU_DEP_1)
	v_dual_cndmask_b32 v112, v114, v112 :: v_dual_lshlrev_b32 v113, v113, v15
	v_and_b32_e32 v113, 3, v113
	v_lshlrev_b32_e32 v115, 24, v15
	s_delay_alu instid0(VALU_DEP_3) | instskip(NEXT) | instid1(VALU_DEP_2)
	v_lshl_add_u32 v112, v112, 23, 0x37800000
	v_dual_cndmask_b32 v14, v14, v113 :: v_dual_and_b32 v113, 0x80000000, v115
	s_delay_alu instid0(VALU_DEP_1) | instskip(NEXT) | instid1(VALU_DEP_1)
	v_lshlrev_b32_e32 v14, 21, v14
	v_or3_b32 v14, v113, v112, v14
.LBB2_602:                              ;   in Loop: Header=BB2_534 Depth=2
	s_or_b32 exec_lo, exec_lo, s25
	v_and_b32_e32 v113, 0xff, v11
	s_mov_b32 s11, 0
	s_mov_b32 s26, exec_lo
                                        ; implicit-def: $sgpr25
	s_delay_alu instid0(VALU_DEP_1)
	v_cmpx_lt_i16_e32 0x7f, v113
	s_xor_b32 s26, exec_lo, s26
	s_cbranch_execnz .LBB2_824
; %bb.603:                              ;   in Loop: Header=BB2_534 Depth=2
	s_or_saveexec_b32 s26, s26
	v_mov_b32_e32 v112, s25
	s_xor_b32 exec_lo, exec_lo, s26
	s_cbranch_execnz .LBB2_827
.LBB2_604:                              ;   in Loop: Header=BB2_534 Depth=2
	s_or_b32 exec_lo, exec_lo, s26
	s_and_saveexec_b32 s25, s11
	s_cbranch_execz .LBB2_606
.LBB2_605:                              ;   in Loop: Header=BB2_534 Depth=2
	v_bfe_u32 v115, v11, 2, 5
	v_lshlrev_b32_e32 v116, 24, v11
	s_delay_alu instid0(VALU_DEP_2) | instskip(SKIP_1) | instid1(VALU_DEP_1)
	v_cmp_eq_u32_e32 vcc_lo, 0, v115
	v_and_b32_e32 v112, 3, v11
	v_clz_i32_u32_e32 v113, v112
	s_delay_alu instid0(VALU_DEP_1) | instskip(NEXT) | instid1(VALU_DEP_1)
	v_min_u32_e32 v113, 32, v113
	v_subrev_nc_u32_e32 v114, 29, v113
	v_sub_nc_u32_e32 v113, 30, v113
	s_delay_alu instid0(VALU_DEP_1) | instskip(NEXT) | instid1(VALU_DEP_1)
	v_dual_cndmask_b32 v113, v115, v113 :: v_dual_lshlrev_b32 v114, v114, v11
	v_and_b32_e32 v114, 3, v114
	s_delay_alu instid0(VALU_DEP_2) | instskip(NEXT) | instid1(VALU_DEP_2)
	v_lshl_add_u32 v113, v113, 23, 0x37800000
	v_cndmask_b32_e32 v112, v112, v114, vcc_lo
	v_and_b32_e32 v114, 0x80000000, v116
	s_delay_alu instid0(VALU_DEP_2) | instskip(NEXT) | instid1(VALU_DEP_1)
	v_lshlrev_b32_e32 v112, 21, v112
	v_or3_b32 v112, v114, v113, v112
.LBB2_606:                              ;   in Loop: Header=BB2_534 Depth=2
	s_or_b32 exec_lo, exec_lo, s25
	s_delay_alu instid0(VALU_DEP_1) | instskip(NEXT) | instid1(VALU_DEP_1)
	v_mul_f32_e32 v112, v14, v112
	v_and_b32_e32 v14, 0x7f800000, v112
	s_delay_alu instid0(VALU_DEP_1)
	v_cmp_ne_u32_e32 vcc_lo, 0x7f800000, v14
	v_mov_b32_e32 v14, 0x80
	s_and_saveexec_b32 s25, vcc_lo
	s_cbranch_execz .LBB2_614
; %bb.607:                              ;   in Loop: Header=BB2_534 Depth=2
	v_mov_b32_e32 v14, 0
	s_mov_b32 s26, exec_lo
	v_cmpx_ne_u32_e32 0, v112
	s_cbranch_execz .LBB2_613
; %bb.608:                              ;   in Loop: Header=BB2_534 Depth=2
	v_bfe_u32 v14, v112, 23, 8
	s_delay_alu instid0(VALU_DEP_1) | instskip(SKIP_1) | instid1(VALU_DEP_2)
	v_sub_nc_u32_e32 v114, 0x70, v14
	v_cmp_gt_u32_e32 vcc_lo, 0x71, v14
	v_dual_cndmask_b32 v114, 0, v114 :: v_dual_and_b32 v113, 0x7fffff, v112
	s_delay_alu instid0(VALU_DEP_1) | instskip(SKIP_2) | instid1(VALU_DEP_4)
	v_or_b32_e32 v115, 0x800000, v113
	v_cmp_eq_u32_e32 vcc_lo, 0, v14
	v_add_nc_u32_e32 v14, 0xffffff91, v14
	v_cndmask_b32_e64 v114, v114, 0x6f, vcc_lo
	s_delay_alu instid0(VALU_DEP_4) | instskip(NEXT) | instid1(VALU_DEP_3)
	v_cndmask_b32_e32 v113, v115, v113, vcc_lo
	v_cndmask_b32_e64 v14, v14, 0xffffff92, vcc_lo
	s_delay_alu instid0(VALU_DEP_3) | instskip(NEXT) | instid1(VALU_DEP_3)
	v_lshl_add_u32 v115, 0x200000, v114, -1
	v_lshrrev_b32_e32 v116, v114, v113
	v_lshlrev_b32_e64 v118, v114, 0x100000
	s_delay_alu instid0(VALU_DEP_4) | instskip(NEXT) | instid1(VALU_DEP_4)
	v_add_nc_u32_e32 v114, v114, v14
	v_and_b32_e32 v113, v115, v113
	s_delay_alu instid0(VALU_DEP_4) | instskip(NEXT) | instid1(VALU_DEP_2)
	v_bfe_u32 v117, v116, 21, 1
	v_cmp_eq_u32_e64 s11, v113, v118
	s_delay_alu instid0(VALU_DEP_2) | instskip(NEXT) | instid1(VALU_DEP_1)
	v_add_nc_u32_e32 v115, -1, v117
	v_cndmask_b32_e64 v113, 0, v115, s11
	v_lshrrev_b32_e32 v115, 23, v116
	s_mov_b32 s11, exec_lo
	s_delay_alu instid0(VALU_DEP_2) | instskip(NEXT) | instid1(VALU_DEP_2)
	v_add_nc_u32_e32 v113, v113, v116
	v_xor_b32_e32 v115, 1, v115
	s_delay_alu instid0(VALU_DEP_2) | instskip(NEXT) | instid1(VALU_DEP_1)
	v_and_b32_e32 v14, 0x1fffff, v113
	v_add_nc_u32_e32 v113, v14, v116
                                        ; implicit-def: $vgpr14
	s_delay_alu instid0(VALU_DEP_3)
	v_cmpx_ne_u32_e64 v114, v115
	s_xor_b32 s11, exec_lo, s11
; %bb.609:                              ;   in Loop: Header=BB2_534 Depth=2
	s_delay_alu instid0(VALU_DEP_2) | instskip(SKIP_2) | instid1(VALU_DEP_2)
	v_cmp_lt_u32_e32 vcc_lo, 0xffffff, v113
	v_sub_nc_u32_e32 v14, v114, v115
	v_cndmask_b32_e64 v114, 0, 1, vcc_lo
	v_add_co_ci_u32_e32 v14, vcc_lo, 0, v14, vcc_lo
	s_delay_alu instid0(VALU_DEP_2)
	v_lshrrev_b32_e32 v113, v114, v113
; %bb.610:                              ;   in Loop: Header=BB2_534 Depth=2
	s_and_not1_saveexec_b32 s11, s11
; %bb.611:                              ;   in Loop: Header=BB2_534 Depth=2
	s_delay_alu instid0(VALU_DEP_1)
	v_bfe_u32 v14, v113, 23, 1
; %bb.612:                              ;   in Loop: Header=BB2_534 Depth=2
	s_or_b32 exec_lo, exec_lo, s11
	v_lshrrev_b32_e32 v113, 21, v113
	s_delay_alu instid0(VALU_DEP_2) | instskip(SKIP_2) | instid1(VALU_DEP_2)
	v_cmp_gt_i32_e32 vcc_lo, 32, v14
	v_lshrrev_b32_e32 v112, 24, v112
	v_min_i32_e32 v114, 31, v14
	v_dual_cndmask_b32 v113, 3, v113 :: v_dual_and_b32 v112, 0x80, v112
	s_delay_alu instid0(VALU_DEP_2) | instskip(NEXT) | instid1(VALU_DEP_2)
	v_lshlrev_b32_e32 v114, 2, v114
	v_or_b32_e32 v14, v14, v113
	s_delay_alu instid0(VALU_DEP_1) | instskip(SKIP_1) | instid1(VALU_DEP_1)
	v_cmp_ne_u32_e32 vcc_lo, 0, v14
	v_and_b32_e32 v115, 3, v113
	v_or3_b32 v112, v114, v112, v115
	s_delay_alu instid0(VALU_DEP_1)
	v_cndmask_b32_e32 v14, 0, v112, vcc_lo
.LBB2_613:                              ;   in Loop: Header=BB2_534 Depth=2
	s_or_b32 exec_lo, exec_lo, s26
.LBB2_614:                              ;   in Loop: Header=BB2_534 Depth=2
	s_delay_alu instid0(SALU_CYCLE_1) | instskip(SKIP_3) | instid1(VALU_DEP_1)
	s_or_b32 exec_lo, exec_lo, s25
	v_lshrrev_b16 v113, 8, v15
	s_mov_b32 s11, 0
	s_mov_b32 s26, exec_lo
                                        ; implicit-def: $sgpr25
	v_cmpx_lt_i16_e32 0x7f, v113
	s_xor_b32 s26, exec_lo, s26
	s_cbranch_execnz .LBB2_828
; %bb.615:                              ;   in Loop: Header=BB2_534 Depth=2
	s_or_saveexec_b32 s26, s26
	v_mov_b32_e32 v112, s25
	s_xor_b32 exec_lo, exec_lo, s26
	s_cbranch_execnz .LBB2_831
.LBB2_616:                              ;   in Loop: Header=BB2_534 Depth=2
	s_or_b32 exec_lo, exec_lo, s26
	s_and_saveexec_b32 s25, s11
	s_cbranch_execz .LBB2_618
.LBB2_617:                              ;   in Loop: Header=BB2_534 Depth=2
	v_and_b32_e32 v112, 0xffff, v113
	s_delay_alu instid0(VALU_DEP_1) | instskip(NEXT) | instid1(VALU_DEP_1)
	v_and_b32_e32 v114, 3, v112
	v_clz_i32_u32_e32 v115, v114
	s_delay_alu instid0(VALU_DEP_1) | instskip(NEXT) | instid1(VALU_DEP_1)
	v_min_u32_e32 v115, 32, v115
	v_subrev_nc_u32_e32 v116, 29, v115
	v_sub_nc_u32_e32 v115, 30, v115
	s_delay_alu instid0(VALU_DEP_2) | instskip(SKIP_1) | instid1(VALU_DEP_2)
	v_lshlrev_b32_e32 v116, v116, v112
	v_bfe_u32 v112, v112, 2, 5
	v_and_b32_e32 v116, 3, v116
	s_delay_alu instid0(VALU_DEP_2) | instskip(SKIP_1) | instid1(VALU_DEP_1)
	v_cmp_eq_u32_e32 vcc_lo, 0, v112
	v_dual_cndmask_b32 v112, v112, v115 :: v_dual_lshlrev_b32 v113, 24, v113
	v_dual_cndmask_b32 v114, v114, v116 :: v_dual_and_b32 v113, 0x80000000, v113
	s_delay_alu instid0(VALU_DEP_2) | instskip(NEXT) | instid1(VALU_DEP_2)
	v_lshl_add_u32 v112, v112, 23, 0x37800000
	v_lshlrev_b32_e32 v114, 21, v114
	s_delay_alu instid0(VALU_DEP_1)
	v_or3_b32 v112, v113, v112, v114
.LBB2_618:                              ;   in Loop: Header=BB2_534 Depth=2
	s_or_b32 exec_lo, exec_lo, s25
	v_lshrrev_b16 v113, 8, v11
	s_mov_b32 s11, 0
	s_mov_b32 s26, exec_lo
                                        ; implicit-def: $sgpr25
	s_delay_alu instid0(VALU_DEP_1)
	v_cmpx_lt_i16_e32 0x7f, v113
	s_xor_b32 s26, exec_lo, s26
	s_cbranch_execnz .LBB2_832
; %bb.619:                              ;   in Loop: Header=BB2_534 Depth=2
	s_or_saveexec_b32 s26, s26
	v_mov_b32_e32 v114, s25
	s_xor_b32 exec_lo, exec_lo, s26
	s_cbranch_execnz .LBB2_835
.LBB2_620:                              ;   in Loop: Header=BB2_534 Depth=2
	s_or_b32 exec_lo, exec_lo, s26
	s_and_saveexec_b32 s25, s11
	s_cbranch_execz .LBB2_622
.LBB2_621:                              ;   in Loop: Header=BB2_534 Depth=2
	v_and_b32_e32 v114, 0xffff, v113
	v_lshlrev_b32_e32 v113, 24, v113
	s_delay_alu instid0(VALU_DEP_2) | instskip(NEXT) | instid1(VALU_DEP_2)
	v_and_b32_e32 v115, 3, v114
	v_and_b32_e32 v113, 0x80000000, v113
	s_delay_alu instid0(VALU_DEP_2) | instskip(NEXT) | instid1(VALU_DEP_1)
	v_clz_i32_u32_e32 v116, v115
	v_min_u32_e32 v116, 32, v116
	s_delay_alu instid0(VALU_DEP_1) | instskip(SKIP_1) | instid1(VALU_DEP_2)
	v_subrev_nc_u32_e32 v117, 29, v116
	v_sub_nc_u32_e32 v116, 30, v116
	v_lshlrev_b32_e32 v117, v117, v114
	v_bfe_u32 v114, v114, 2, 5
	s_delay_alu instid0(VALU_DEP_2) | instskip(NEXT) | instid1(VALU_DEP_2)
	v_and_b32_e32 v117, 3, v117
	v_cmp_eq_u32_e32 vcc_lo, 0, v114
	s_delay_alu instid0(VALU_DEP_2) | instskip(NEXT) | instid1(VALU_DEP_1)
	v_dual_cndmask_b32 v114, v114, v116 :: v_dual_cndmask_b32 v115, v115, v117
	v_lshl_add_u32 v114, v114, 23, 0x37800000
	s_delay_alu instid0(VALU_DEP_2) | instskip(NEXT) | instid1(VALU_DEP_1)
	v_lshlrev_b32_e32 v115, 21, v115
	v_or3_b32 v114, v113, v114, v115
.LBB2_622:                              ;   in Loop: Header=BB2_534 Depth=2
	s_or_b32 exec_lo, exec_lo, s25
	s_delay_alu instid0(VALU_DEP_1) | instskip(NEXT) | instid1(VALU_DEP_1)
	v_mul_f32_e32 v113, v112, v114
	v_and_b32_e32 v112, 0x7f800000, v113
	s_delay_alu instid0(VALU_DEP_1)
	v_cmp_ne_u32_e32 vcc_lo, 0x7f800000, v112
	v_mov_b32_e32 v112, 0x8000
	s_and_saveexec_b32 s25, vcc_lo
	s_cbranch_execz .LBB2_630
; %bb.623:                              ;   in Loop: Header=BB2_534 Depth=2
	v_mov_b32_e32 v112, 0
	s_mov_b32 s26, exec_lo
	v_cmpx_ne_u32_e32 0, v113
	s_cbranch_execz .LBB2_629
; %bb.624:                              ;   in Loop: Header=BB2_534 Depth=2
	v_bfe_u32 v112, v113, 23, 8
	s_delay_alu instid0(VALU_DEP_1) | instskip(SKIP_1) | instid1(VALU_DEP_2)
	v_sub_nc_u32_e32 v115, 0x70, v112
	v_cmp_gt_u32_e32 vcc_lo, 0x71, v112
	v_dual_cndmask_b32 v115, 0, v115 :: v_dual_and_b32 v114, 0x7fffff, v113
	s_delay_alu instid0(VALU_DEP_1) | instskip(SKIP_2) | instid1(VALU_DEP_4)
	v_or_b32_e32 v116, 0x800000, v114
	v_cmp_eq_u32_e32 vcc_lo, 0, v112
	v_add_nc_u32_e32 v112, 0xffffff91, v112
	v_cndmask_b32_e64 v115, v115, 0x6f, vcc_lo
	s_delay_alu instid0(VALU_DEP_2) | instskip(SKIP_1) | instid1(VALU_DEP_3)
	v_cndmask_b32_e64 v112, v112, 0xffffff92, vcc_lo
	v_cndmask_b32_e32 v114, v116, v114, vcc_lo
	v_lshl_add_u32 v116, 0x200000, v115, -1
	v_lshlrev_b32_e64 v119, v115, 0x100000
	s_delay_alu instid0(VALU_DEP_3) | instskip(SKIP_1) | instid1(VALU_DEP_4)
	v_lshrrev_b32_e32 v117, v115, v114
	v_add_nc_u32_e32 v115, v115, v112
	v_and_b32_e32 v114, v116, v114
	s_delay_alu instid0(VALU_DEP_3) | instskip(NEXT) | instid1(VALU_DEP_2)
	v_bfe_u32 v118, v117, 21, 1
	v_cmp_eq_u32_e64 s11, v114, v119
	s_delay_alu instid0(VALU_DEP_2) | instskip(NEXT) | instid1(VALU_DEP_1)
	v_add_nc_u32_e32 v116, -1, v118
	v_cndmask_b32_e64 v114, 0, v116, s11
	v_lshrrev_b32_e32 v116, 23, v117
	s_mov_b32 s11, exec_lo
	s_delay_alu instid0(VALU_DEP_2) | instskip(NEXT) | instid1(VALU_DEP_2)
	v_add_nc_u32_e32 v114, v114, v117
	v_xor_b32_e32 v116, 1, v116
	s_delay_alu instid0(VALU_DEP_2) | instskip(NEXT) | instid1(VALU_DEP_1)
	v_and_b32_e32 v112, 0x1fffff, v114
	v_add_nc_u32_e32 v114, v112, v117
                                        ; implicit-def: $vgpr112
	s_delay_alu instid0(VALU_DEP_3)
	v_cmpx_ne_u32_e64 v115, v116
	s_xor_b32 s11, exec_lo, s11
; %bb.625:                              ;   in Loop: Header=BB2_534 Depth=2
	s_delay_alu instid0(VALU_DEP_2) | instskip(SKIP_2) | instid1(VALU_DEP_2)
	v_cmp_lt_u32_e32 vcc_lo, 0xffffff, v114
	v_sub_nc_u32_e32 v112, v115, v116
	v_cndmask_b32_e64 v115, 0, 1, vcc_lo
	v_add_co_ci_u32_e32 v112, vcc_lo, 0, v112, vcc_lo
	s_delay_alu instid0(VALU_DEP_2)
	v_lshrrev_b32_e32 v114, v115, v114
; %bb.626:                              ;   in Loop: Header=BB2_534 Depth=2
	s_and_not1_saveexec_b32 s11, s11
; %bb.627:                              ;   in Loop: Header=BB2_534 Depth=2
	s_delay_alu instid0(VALU_DEP_1)
	v_bfe_u32 v112, v114, 23, 1
; %bb.628:                              ;   in Loop: Header=BB2_534 Depth=2
	s_or_b32 exec_lo, exec_lo, s11
	v_lshrrev_b32_e32 v114, 21, v114
	s_delay_alu instid0(VALU_DEP_2) | instskip(SKIP_2) | instid1(VALU_DEP_2)
	v_cmp_gt_i32_e32 vcc_lo, 32, v112
	v_min_i32_e32 v115, 31, v112
	v_lshrrev_b32_e32 v113, 24, v113
	v_dual_cndmask_b32 v114, 3, v114 :: v_dual_lshlrev_b32 v115, 2, v115
	s_delay_alu instid0(VALU_DEP_2) | instskip(NEXT) | instid1(VALU_DEP_2)
	v_and_b32_e32 v113, 0x80, v113
	v_or_b32_e32 v112, v112, v114
	v_and_b32_e32 v116, 3, v114
	s_delay_alu instid0(VALU_DEP_2) | instskip(SKIP_1) | instid1(VALU_DEP_1)
	v_cmp_ne_u32_e32 vcc_lo, 0, v112
	v_and_b32_e32 v115, 0xfc, v115
	v_or3_b32 v113, v113, v115, v116
	s_delay_alu instid0(VALU_DEP_1) | instskip(NEXT) | instid1(VALU_DEP_1)
	v_lshlrev_b32_e32 v113, 8, v113
	v_cndmask_b32_e32 v112, 0, v113, vcc_lo
.LBB2_629:                              ;   in Loop: Header=BB2_534 Depth=2
	s_or_b32 exec_lo, exec_lo, s26
.LBB2_630:                              ;   in Loop: Header=BB2_534 Depth=2
	s_delay_alu instid0(SALU_CYCLE_1) | instskip(SKIP_3) | instid1(VALU_DEP_1)
	s_or_b32 exec_lo, exec_lo, s25
	v_lshrrev_b32_e32 v114, 16, v15
	s_mov_b32 s11, 0
	s_mov_b32 s26, exec_lo
                                        ; implicit-def: $sgpr25
	v_and_b32_e32 v115, 0xff, v114
	s_delay_alu instid0(VALU_DEP_1)
	v_cmpx_lt_i16_e32 0x7f, v115
	s_xor_b32 s26, exec_lo, s26
	s_cbranch_execnz .LBB2_836
; %bb.631:                              ;   in Loop: Header=BB2_534 Depth=2
	s_or_saveexec_b32 s26, s26
	v_mov_b32_e32 v113, s25
	s_xor_b32 exec_lo, exec_lo, s26
	s_cbranch_execnz .LBB2_839
.LBB2_632:                              ;   in Loop: Header=BB2_534 Depth=2
	s_or_b32 exec_lo, exec_lo, s26
	s_and_saveexec_b32 s25, s11
	s_cbranch_execz .LBB2_634
.LBB2_633:                              ;   in Loop: Header=BB2_534 Depth=2
	v_bfe_u32 v113, v15, 16, 2
	v_lshlrev_b32_e32 v117, 8, v15
	s_delay_alu instid0(VALU_DEP_2) | instskip(NEXT) | instid1(VALU_DEP_1)
	v_clz_i32_u32_e32 v115, v113
	v_min_u32_e32 v115, 32, v115
	s_delay_alu instid0(VALU_DEP_1) | instskip(SKIP_1) | instid1(VALU_DEP_2)
	v_subrev_nc_u32_e32 v116, 29, v115
	v_sub_nc_u32_e32 v115, 30, v115
	v_lshlrev_b32_e32 v114, v116, v114
	v_bfe_u32 v116, v15, 18, 5
	s_delay_alu instid0(VALU_DEP_1) | instskip(NEXT) | instid1(VALU_DEP_3)
	v_cmp_eq_u32_e32 vcc_lo, 0, v116
	v_dual_cndmask_b32 v115, v116, v115 :: v_dual_and_b32 v114, 3, v114
	s_delay_alu instid0(VALU_DEP_1) | instskip(NEXT) | instid1(VALU_DEP_2)
	v_dual_cndmask_b32 v113, v113, v114 :: v_dual_and_b32 v114, 0x80000000, v117
	v_lshl_add_u32 v115, v115, 23, 0x37800000
	s_delay_alu instid0(VALU_DEP_2) | instskip(NEXT) | instid1(VALU_DEP_1)
	v_lshlrev_b32_e32 v113, 21, v113
	v_or3_b32 v113, v114, v115, v113
.LBB2_634:                              ;   in Loop: Header=BB2_534 Depth=2
	s_or_b32 exec_lo, exec_lo, s25
	v_lshrrev_b32_e32 v114, 16, v11
	s_mov_b32 s11, 0
	s_mov_b32 s26, exec_lo
                                        ; implicit-def: $sgpr25
	s_delay_alu instid0(VALU_DEP_1) | instskip(NEXT) | instid1(VALU_DEP_1)
	v_and_b32_e32 v116, 0xff, v114
	v_cmpx_lt_i16_e32 0x7f, v116
	s_xor_b32 s26, exec_lo, s26
	s_cbranch_execnz .LBB2_840
; %bb.635:                              ;   in Loop: Header=BB2_534 Depth=2
	s_or_saveexec_b32 s26, s26
	v_mov_b32_e32 v115, s25
	s_xor_b32 exec_lo, exec_lo, s26
	s_cbranch_execnz .LBB2_843
.LBB2_636:                              ;   in Loop: Header=BB2_534 Depth=2
	s_or_b32 exec_lo, exec_lo, s26
	s_and_saveexec_b32 s25, s11
	s_cbranch_execz .LBB2_638
.LBB2_637:                              ;   in Loop: Header=BB2_534 Depth=2
	v_bfe_u32 v115, v11, 16, 2
	v_lshlrev_b32_e32 v118, 8, v11
	s_delay_alu instid0(VALU_DEP_2) | instskip(NEXT) | instid1(VALU_DEP_1)
	v_clz_i32_u32_e32 v116, v115
	v_min_u32_e32 v116, 32, v116
	s_delay_alu instid0(VALU_DEP_1) | instskip(SKIP_1) | instid1(VALU_DEP_2)
	v_subrev_nc_u32_e32 v117, 29, v116
	v_sub_nc_u32_e32 v116, 30, v116
	v_lshlrev_b32_e32 v114, v117, v114
	v_bfe_u32 v117, v11, 18, 5
	s_delay_alu instid0(VALU_DEP_2) | instskip(NEXT) | instid1(VALU_DEP_2)
	v_and_b32_e32 v114, 3, v114
	v_cmp_eq_u32_e32 vcc_lo, 0, v117
	v_cndmask_b32_e32 v116, v117, v116, vcc_lo
	s_delay_alu instid0(VALU_DEP_3) | instskip(SKIP_1) | instid1(VALU_DEP_3)
	v_cndmask_b32_e32 v114, v115, v114, vcc_lo
	v_and_b32_e32 v115, 0x80000000, v118
	v_lshl_add_u32 v116, v116, 23, 0x37800000
	s_delay_alu instid0(VALU_DEP_3) | instskip(NEXT) | instid1(VALU_DEP_1)
	v_lshlrev_b32_e32 v114, 21, v114
	v_or3_b32 v115, v115, v116, v114
.LBB2_638:                              ;   in Loop: Header=BB2_534 Depth=2
	s_or_b32 exec_lo, exec_lo, s25
	s_delay_alu instid0(VALU_DEP_1) | instskip(NEXT) | instid1(VALU_DEP_1)
	v_mul_f32_e32 v114, v113, v115
	v_and_b32_e32 v113, 0x7f800000, v114
	s_delay_alu instid0(VALU_DEP_1)
	v_cmp_ne_u32_e32 vcc_lo, 0x7f800000, v113
	v_mov_b32_e32 v113, 0x80
	s_and_saveexec_b32 s25, vcc_lo
	s_cbranch_execz .LBB2_646
; %bb.639:                              ;   in Loop: Header=BB2_534 Depth=2
	v_mov_b32_e32 v113, 0
	s_mov_b32 s26, exec_lo
	v_cmpx_ne_u32_e32 0, v114
	s_cbranch_execz .LBB2_645
; %bb.640:                              ;   in Loop: Header=BB2_534 Depth=2
	v_bfe_u32 v113, v114, 23, 8
	s_delay_alu instid0(VALU_DEP_1) | instskip(SKIP_1) | instid1(VALU_DEP_2)
	v_sub_nc_u32_e32 v116, 0x70, v113
	v_cmp_gt_u32_e32 vcc_lo, 0x71, v113
	v_dual_cndmask_b32 v116, 0, v116 :: v_dual_and_b32 v115, 0x7fffff, v114
	s_delay_alu instid0(VALU_DEP_1) | instskip(SKIP_2) | instid1(VALU_DEP_4)
	v_or_b32_e32 v117, 0x800000, v115
	v_cmp_eq_u32_e32 vcc_lo, 0, v113
	v_add_nc_u32_e32 v113, 0xffffff91, v113
	v_cndmask_b32_e64 v116, v116, 0x6f, vcc_lo
	s_delay_alu instid0(VALU_DEP_2) | instskip(SKIP_1) | instid1(VALU_DEP_3)
	v_cndmask_b32_e64 v113, v113, 0xffffff92, vcc_lo
	v_cndmask_b32_e32 v115, v117, v115, vcc_lo
	v_lshl_add_u32 v117, 0x200000, v116, -1
	v_lshlrev_b32_e64 v128, v116, 0x100000
	s_delay_alu instid0(VALU_DEP_3) | instskip(SKIP_1) | instid1(VALU_DEP_4)
	v_lshrrev_b32_e32 v118, v116, v115
	v_add_nc_u32_e32 v116, v116, v113
	v_and_b32_e32 v115, v117, v115
	s_delay_alu instid0(VALU_DEP_3) | instskip(NEXT) | instid1(VALU_DEP_2)
	v_bfe_u32 v119, v118, 21, 1
	v_cmp_eq_u32_e64 s11, v115, v128
	s_delay_alu instid0(VALU_DEP_2) | instskip(NEXT) | instid1(VALU_DEP_1)
	v_add_nc_u32_e32 v117, -1, v119
	v_cndmask_b32_e64 v115, 0, v117, s11
	v_lshrrev_b32_e32 v117, 23, v118
	s_mov_b32 s11, exec_lo
	s_delay_alu instid0(VALU_DEP_2) | instskip(NEXT) | instid1(VALU_DEP_2)
	v_add_nc_u32_e32 v115, v115, v118
	v_xor_b32_e32 v117, 1, v117
	s_delay_alu instid0(VALU_DEP_2) | instskip(NEXT) | instid1(VALU_DEP_1)
	v_and_b32_e32 v113, 0x1fffff, v115
	v_add_nc_u32_e32 v115, v113, v118
                                        ; implicit-def: $vgpr113
	s_delay_alu instid0(VALU_DEP_3)
	v_cmpx_ne_u32_e64 v116, v117
	s_xor_b32 s11, exec_lo, s11
; %bb.641:                              ;   in Loop: Header=BB2_534 Depth=2
	s_delay_alu instid0(VALU_DEP_2) | instskip(SKIP_2) | instid1(VALU_DEP_2)
	v_cmp_lt_u32_e32 vcc_lo, 0xffffff, v115
	v_sub_nc_u32_e32 v113, v116, v117
	v_cndmask_b32_e64 v116, 0, 1, vcc_lo
	v_add_co_ci_u32_e32 v113, vcc_lo, 0, v113, vcc_lo
	s_delay_alu instid0(VALU_DEP_2)
	v_lshrrev_b32_e32 v115, v116, v115
; %bb.642:                              ;   in Loop: Header=BB2_534 Depth=2
	s_and_not1_saveexec_b32 s11, s11
; %bb.643:                              ;   in Loop: Header=BB2_534 Depth=2
	s_delay_alu instid0(VALU_DEP_1)
	v_bfe_u32 v113, v115, 23, 1
; %bb.644:                              ;   in Loop: Header=BB2_534 Depth=2
	s_or_b32 exec_lo, exec_lo, s11
	v_lshrrev_b32_e32 v115, 21, v115
	s_delay_alu instid0(VALU_DEP_2) | instskip(SKIP_2) | instid1(VALU_DEP_2)
	v_cmp_gt_i32_e32 vcc_lo, 32, v113
	v_min_i32_e32 v116, 31, v113
	v_lshrrev_b32_e32 v114, 24, v114
	v_dual_cndmask_b32 v115, 3, v115 :: v_dual_lshlrev_b32 v116, 2, v116
	s_delay_alu instid0(VALU_DEP_2) | instskip(NEXT) | instid1(VALU_DEP_2)
	v_and_b32_e32 v114, 0x80, v114
	v_or_b32_e32 v113, v113, v115
	v_and_b32_e32 v117, 3, v115
	s_delay_alu instid0(VALU_DEP_2) | instskip(SKIP_1) | instid1(VALU_DEP_1)
	v_cmp_ne_u32_e32 vcc_lo, 0, v113
	v_and_b32_e32 v116, 0xfc, v116
	v_or3_b32 v114, v116, v114, v117
	s_delay_alu instid0(VALU_DEP_1)
	v_cndmask_b32_e32 v113, 0, v114, vcc_lo
.LBB2_645:                              ;   in Loop: Header=BB2_534 Depth=2
	s_or_b32 exec_lo, exec_lo, s26
.LBB2_646:                              ;   in Loop: Header=BB2_534 Depth=2
	s_delay_alu instid0(SALU_CYCLE_1) | instskip(SKIP_3) | instid1(VALU_DEP_1)
	s_or_b32 exec_lo, exec_lo, s25
	v_lshrrev_b32_e32 v115, 24, v15
	s_mov_b32 s11, 0
	s_mov_b32 s26, exec_lo
                                        ; implicit-def: $sgpr25
	v_cmpx_lt_i16_e32 0x7f, v115
	s_xor_b32 s26, exec_lo, s26
	s_cbranch_execnz .LBB2_844
; %bb.647:                              ;   in Loop: Header=BB2_534 Depth=2
	s_or_saveexec_b32 s26, s26
	v_mov_b32_e32 v114, s25
	s_xor_b32 exec_lo, exec_lo, s26
	s_cbranch_execnz .LBB2_847
.LBB2_648:                              ;   in Loop: Header=BB2_534 Depth=2
	s_or_b32 exec_lo, exec_lo, s26
	s_and_saveexec_b32 s25, s11
	s_cbranch_execz .LBB2_650
.LBB2_649:                              ;   in Loop: Header=BB2_534 Depth=2
	v_bfe_u32 v114, v15, 24, 2
	s_delay_alu instid0(VALU_DEP_1) | instskip(NEXT) | instid1(VALU_DEP_1)
	v_clz_i32_u32_e32 v116, v114
	v_min_u32_e32 v116, 32, v116
	s_delay_alu instid0(VALU_DEP_1) | instskip(SKIP_1) | instid1(VALU_DEP_2)
	v_subrev_nc_u32_e32 v117, 29, v116
	v_sub_nc_u32_e32 v116, 30, v116
	v_lshlrev_b32_e32 v115, v117, v115
	v_bfe_u32 v117, v15, 26, 5
	v_and_b32_e32 v15, 0x80000000, v15
	s_delay_alu instid0(VALU_DEP_2) | instskip(NEXT) | instid1(VALU_DEP_4)
	v_cmp_eq_u32_e32 vcc_lo, 0, v117
	v_dual_cndmask_b32 v116, v117, v116 :: v_dual_and_b32 v115, 3, v115
	s_delay_alu instid0(VALU_DEP_1) | instskip(NEXT) | instid1(VALU_DEP_2)
	v_cndmask_b32_e32 v114, v114, v115, vcc_lo
	v_lshl_add_u32 v115, v116, 23, 0x37800000
	s_delay_alu instid0(VALU_DEP_2) | instskip(NEXT) | instid1(VALU_DEP_1)
	v_lshlrev_b32_e32 v114, 21, v114
	v_or3_b32 v114, v15, v115, v114
.LBB2_650:                              ;   in Loop: Header=BB2_534 Depth=2
	s_or_b32 exec_lo, exec_lo, s25
	v_lshrrev_b32_e32 v15, 24, v11
	s_mov_b32 s11, 0
	s_mov_b32 s26, exec_lo
                                        ; implicit-def: $sgpr25
	s_delay_alu instid0(VALU_DEP_1)
	v_cmpx_lt_i16_e32 0x7f, v15
	s_xor_b32 s26, exec_lo, s26
	s_cbranch_execnz .LBB2_848
; %bb.651:                              ;   in Loop: Header=BB2_534 Depth=2
	s_or_saveexec_b32 s26, s26
	v_mov_b32_e32 v115, s25
	s_xor_b32 exec_lo, exec_lo, s26
	s_cbranch_execnz .LBB2_851
.LBB2_652:                              ;   in Loop: Header=BB2_534 Depth=2
	s_or_b32 exec_lo, exec_lo, s26
	s_and_saveexec_b32 s25, s11
	s_cbranch_execz .LBB2_654
.LBB2_653:                              ;   in Loop: Header=BB2_534 Depth=2
	v_bfe_u32 v115, v11, 24, 2
	s_delay_alu instid0(VALU_DEP_1) | instskip(NEXT) | instid1(VALU_DEP_1)
	v_clz_i32_u32_e32 v116, v115
	v_min_u32_e32 v116, 32, v116
	s_delay_alu instid0(VALU_DEP_1) | instskip(SKIP_1) | instid1(VALU_DEP_2)
	v_subrev_nc_u32_e32 v117, 29, v116
	v_sub_nc_u32_e32 v116, 30, v116
	v_lshlrev_b32_e32 v15, v117, v15
	v_bfe_u32 v117, v11, 26, 5
	v_and_b32_e32 v11, 0x80000000, v11
	s_delay_alu instid0(VALU_DEP_2) | instskip(NEXT) | instid1(VALU_DEP_4)
	v_cmp_eq_u32_e32 vcc_lo, 0, v117
	v_dual_cndmask_b32 v116, v117, v116 :: v_dual_and_b32 v15, 3, v15
	s_delay_alu instid0(VALU_DEP_1) | instskip(NEXT) | instid1(VALU_DEP_2)
	v_cndmask_b32_e32 v15, v115, v15, vcc_lo
	v_lshl_add_u32 v115, v116, 23, 0x37800000
	s_delay_alu instid0(VALU_DEP_2) | instskip(NEXT) | instid1(VALU_DEP_1)
	v_lshlrev_b32_e32 v15, 21, v15
	v_or3_b32 v115, v11, v115, v15
.LBB2_654:                              ;   in Loop: Header=BB2_534 Depth=2
	s_or_b32 exec_lo, exec_lo, s25
	s_delay_alu instid0(VALU_DEP_1) | instskip(NEXT) | instid1(VALU_DEP_1)
	v_mul_f32_e32 v15, v114, v115
	v_and_b32_e32 v11, 0x7f800000, v15
	s_delay_alu instid0(VALU_DEP_1)
	v_cmp_ne_u32_e32 vcc_lo, 0x7f800000, v11
	v_mov_b32_e32 v11, 0x8000
	s_and_saveexec_b32 s25, vcc_lo
	s_cbranch_execz .LBB2_662
; %bb.655:                              ;   in Loop: Header=BB2_534 Depth=2
	v_mov_b32_e32 v11, 0
	s_mov_b32 s26, exec_lo
	v_cmpx_ne_u32_e32 0, v15
	s_cbranch_execz .LBB2_661
; %bb.656:                              ;   in Loop: Header=BB2_534 Depth=2
	v_bfe_u32 v11, v15, 23, 8
	v_and_b32_e32 v114, 0x7fffff, v15
	s_delay_alu instid0(VALU_DEP_2) | instskip(SKIP_1) | instid1(VALU_DEP_3)
	v_sub_nc_u32_e32 v115, 0x70, v11
	v_cmp_gt_u32_e32 vcc_lo, 0x71, v11
	v_or_b32_e32 v116, 0x800000, v114
	s_delay_alu instid0(VALU_DEP_3) | instskip(SKIP_1) | instid1(VALU_DEP_3)
	v_cndmask_b32_e32 v115, 0, v115, vcc_lo
	v_cmp_eq_u32_e32 vcc_lo, 0, v11
	v_dual_cndmask_b32 v114, v116, v114 :: v_dual_add_nc_u32 v11, 0xffffff91, v11
	s_delay_alu instid0(VALU_DEP_3) | instskip(NEXT) | instid1(VALU_DEP_2)
	v_cndmask_b32_e64 v115, v115, 0x6f, vcc_lo
	v_cndmask_b32_e64 v11, v11, 0xffffff92, vcc_lo
	s_delay_alu instid0(VALU_DEP_2) | instskip(SKIP_2) | instid1(VALU_DEP_4)
	v_lshrrev_b32_e32 v117, v115, v114
	v_lshl_add_u32 v116, 0x200000, v115, -1
	v_lshlrev_b32_e64 v119, v115, 0x100000
	v_add_nc_u32_e32 v115, v115, v11
	s_delay_alu instid0(VALU_DEP_4) | instskip(NEXT) | instid1(VALU_DEP_4)
	v_bfe_u32 v118, v117, 21, 1
	v_and_b32_e32 v114, v116, v114
	s_delay_alu instid0(VALU_DEP_2) | instskip(NEXT) | instid1(VALU_DEP_2)
	v_add_nc_u32_e32 v116, -1, v118
	v_cmp_eq_u32_e64 s11, v114, v119
	s_delay_alu instid0(VALU_DEP_1) | instskip(SKIP_2) | instid1(VALU_DEP_2)
	v_cndmask_b32_e64 v114, 0, v116, s11
	v_lshrrev_b32_e32 v116, 23, v117
	s_mov_b32 s11, exec_lo
	v_add_nc_u32_e32 v114, v114, v117
	s_delay_alu instid0(VALU_DEP_2) | instskip(NEXT) | instid1(VALU_DEP_2)
	v_xor_b32_e32 v116, 1, v116
	v_and_b32_e32 v11, 0x1fffff, v114
	s_delay_alu instid0(VALU_DEP_1) | instskip(NEXT) | instid1(VALU_DEP_3)
	v_add_nc_u32_e32 v114, v11, v117
                                        ; implicit-def: $vgpr11
	v_cmpx_ne_u32_e64 v115, v116
	s_xor_b32 s11, exec_lo, s11
; %bb.657:                              ;   in Loop: Header=BB2_534 Depth=2
	s_delay_alu instid0(VALU_DEP_2) | instskip(SKIP_2) | instid1(VALU_DEP_2)
	v_cmp_lt_u32_e32 vcc_lo, 0xffffff, v114
	v_sub_nc_u32_e32 v11, v115, v116
	v_cndmask_b32_e64 v115, 0, 1, vcc_lo
	v_add_co_ci_u32_e32 v11, vcc_lo, 0, v11, vcc_lo
	s_delay_alu instid0(VALU_DEP_2)
	v_lshrrev_b32_e32 v114, v115, v114
; %bb.658:                              ;   in Loop: Header=BB2_534 Depth=2
	s_and_not1_saveexec_b32 s11, s11
; %bb.659:                              ;   in Loop: Header=BB2_534 Depth=2
	s_delay_alu instid0(VALU_DEP_1)
	v_bfe_u32 v11, v114, 23, 1
; %bb.660:                              ;   in Loop: Header=BB2_534 Depth=2
	s_or_b32 exec_lo, exec_lo, s11
	v_lshrrev_b32_e32 v114, 21, v114
	s_delay_alu instid0(VALU_DEP_2) | instskip(SKIP_2) | instid1(VALU_DEP_2)
	v_cmp_gt_i32_e32 vcc_lo, 32, v11
	v_min_i32_e32 v115, 31, v11
	v_lshrrev_b32_e32 v15, 24, v15
	v_dual_cndmask_b32 v114, 3, v114 :: v_dual_lshlrev_b32 v115, 2, v115
	s_delay_alu instid0(VALU_DEP_2) | instskip(NEXT) | instid1(VALU_DEP_2)
	v_and_b32_e32 v15, 0x80, v15
	v_or_b32_e32 v11, v11, v114
	s_delay_alu instid0(VALU_DEP_3) | instskip(NEXT) | instid1(VALU_DEP_2)
	v_and_b32_e32 v115, 0xfc, v115
	v_cmp_ne_u32_e32 vcc_lo, 0, v11
	v_and_b32_e32 v116, 3, v114
	s_delay_alu instid0(VALU_DEP_1) | instskip(NEXT) | instid1(VALU_DEP_1)
	v_or3_b32 v15, v15, v115, v116
	v_lshlrev_b32_e32 v15, 8, v15
	s_delay_alu instid0(VALU_DEP_1)
	v_cndmask_b32_e32 v11, 0, v15, vcc_lo
.LBB2_661:                              ;   in Loop: Header=BB2_534 Depth=2
	s_or_b32 exec_lo, exec_lo, s26
.LBB2_662:                              ;   in Loop: Header=BB2_534 Depth=2
	s_delay_alu instid0(SALU_CYCLE_1) | instskip(SKIP_3) | instid1(VALU_DEP_1)
	s_or_b32 exec_lo, exec_lo, s25
	v_and_b32_e32 v114, 0xff, v16
	s_mov_b32 s11, 0
	s_mov_b32 s26, exec_lo
                                        ; implicit-def: $sgpr25
	v_cmpx_lt_i16_e32 0x7f, v114
	s_xor_b32 s26, exec_lo, s26
	s_cbranch_execnz .LBB2_852
; %bb.663:                              ;   in Loop: Header=BB2_534 Depth=2
	s_or_saveexec_b32 s26, s26
	v_mov_b32_e32 v15, s25
	s_xor_b32 exec_lo, exec_lo, s26
	s_cbranch_execnz .LBB2_855
.LBB2_664:                              ;   in Loop: Header=BB2_534 Depth=2
	s_or_b32 exec_lo, exec_lo, s26
	s_and_saveexec_b32 s25, s11
	s_cbranch_execz .LBB2_666
.LBB2_665:                              ;   in Loop: Header=BB2_534 Depth=2
	v_bfe_u32 v116, v16, 2, 5
	v_lshlrev_b32_e32 v117, 24, v16
	s_delay_alu instid0(VALU_DEP_2) | instskip(SKIP_1) | instid1(VALU_DEP_1)
	v_cmp_eq_u32_e32 vcc_lo, 0, v116
	v_and_b32_e32 v15, 3, v16
	v_clz_i32_u32_e32 v114, v15
	s_delay_alu instid0(VALU_DEP_1) | instskip(NEXT) | instid1(VALU_DEP_1)
	v_min_u32_e32 v114, 32, v114
	v_subrev_nc_u32_e32 v115, 29, v114
	v_sub_nc_u32_e32 v114, 30, v114
	s_delay_alu instid0(VALU_DEP_1) | instskip(NEXT) | instid1(VALU_DEP_1)
	v_dual_cndmask_b32 v114, v116, v114 :: v_dual_lshlrev_b32 v115, v115, v16
	v_and_b32_e32 v115, 3, v115
	s_delay_alu instid0(VALU_DEP_2) | instskip(NEXT) | instid1(VALU_DEP_2)
	v_lshl_add_u32 v114, v114, 23, 0x37800000
	v_cndmask_b32_e32 v15, v15, v115, vcc_lo
	v_and_b32_e32 v115, 0x80000000, v117
	s_delay_alu instid0(VALU_DEP_2) | instskip(NEXT) | instid1(VALU_DEP_1)
	v_lshlrev_b32_e32 v15, 21, v15
	v_or3_b32 v15, v115, v114, v15
.LBB2_666:                              ;   in Loop: Header=BB2_534 Depth=2
	s_or_b32 exec_lo, exec_lo, s25
	v_and_b32_e32 v115, 0xff, v12
	s_mov_b32 s11, 0
	s_mov_b32 s26, exec_lo
                                        ; implicit-def: $sgpr25
	s_delay_alu instid0(VALU_DEP_1)
	v_cmpx_lt_i16_e32 0x7f, v115
	s_xor_b32 s26, exec_lo, s26
	s_cbranch_execnz .LBB2_856
; %bb.667:                              ;   in Loop: Header=BB2_534 Depth=2
	s_or_saveexec_b32 s26, s26
	v_mov_b32_e32 v114, s25
	s_xor_b32 exec_lo, exec_lo, s26
	s_cbranch_execnz .LBB2_859
.LBB2_668:                              ;   in Loop: Header=BB2_534 Depth=2
	s_or_b32 exec_lo, exec_lo, s26
	s_and_saveexec_b32 s25, s11
	s_cbranch_execz .LBB2_670
.LBB2_669:                              ;   in Loop: Header=BB2_534 Depth=2
	v_bfe_u32 v117, v12, 2, 5
	v_lshlrev_b32_e32 v118, 24, v12
	s_delay_alu instid0(VALU_DEP_2) | instskip(SKIP_1) | instid1(VALU_DEP_1)
	v_cmp_eq_u32_e32 vcc_lo, 0, v117
	v_and_b32_e32 v114, 3, v12
	v_clz_i32_u32_e32 v115, v114
	s_delay_alu instid0(VALU_DEP_1) | instskip(NEXT) | instid1(VALU_DEP_1)
	v_min_u32_e32 v115, 32, v115
	v_subrev_nc_u32_e32 v116, 29, v115
	v_sub_nc_u32_e32 v115, 30, v115
	s_delay_alu instid0(VALU_DEP_1) | instskip(NEXT) | instid1(VALU_DEP_1)
	v_dual_cndmask_b32 v115, v117, v115 :: v_dual_lshlrev_b32 v116, v116, v12
	v_and_b32_e32 v116, 3, v116
	s_delay_alu instid0(VALU_DEP_2) | instskip(NEXT) | instid1(VALU_DEP_2)
	v_lshl_add_u32 v115, v115, 23, 0x37800000
	v_cndmask_b32_e32 v114, v114, v116, vcc_lo
	v_and_b32_e32 v116, 0x80000000, v118
	s_delay_alu instid0(VALU_DEP_2) | instskip(NEXT) | instid1(VALU_DEP_1)
	v_lshlrev_b32_e32 v114, 21, v114
	v_or3_b32 v114, v116, v115, v114
.LBB2_670:                              ;   in Loop: Header=BB2_534 Depth=2
	s_or_b32 exec_lo, exec_lo, s25
	s_delay_alu instid0(VALU_DEP_1) | instskip(NEXT) | instid1(VALU_DEP_1)
	v_mul_f32_e32 v114, v15, v114
	v_and_b32_e32 v15, 0x7f800000, v114
	s_delay_alu instid0(VALU_DEP_1)
	v_cmp_ne_u32_e32 vcc_lo, 0x7f800000, v15
	v_mov_b32_e32 v15, 0x80
	s_and_saveexec_b32 s25, vcc_lo
	s_cbranch_execz .LBB2_678
; %bb.671:                              ;   in Loop: Header=BB2_534 Depth=2
	v_mov_b32_e32 v15, 0
	s_mov_b32 s26, exec_lo
	v_cmpx_ne_u32_e32 0, v114
	s_cbranch_execz .LBB2_677
; %bb.672:                              ;   in Loop: Header=BB2_534 Depth=2
	v_bfe_u32 v15, v114, 23, 8
	s_delay_alu instid0(VALU_DEP_1) | instskip(SKIP_1) | instid1(VALU_DEP_2)
	v_sub_nc_u32_e32 v116, 0x70, v15
	v_cmp_gt_u32_e32 vcc_lo, 0x71, v15
	v_dual_cndmask_b32 v116, 0, v116 :: v_dual_and_b32 v115, 0x7fffff, v114
	s_delay_alu instid0(VALU_DEP_1) | instskip(SKIP_2) | instid1(VALU_DEP_4)
	v_or_b32_e32 v117, 0x800000, v115
	v_cmp_eq_u32_e32 vcc_lo, 0, v15
	v_add_nc_u32_e32 v15, 0xffffff91, v15
	v_cndmask_b32_e64 v116, v116, 0x6f, vcc_lo
	s_delay_alu instid0(VALU_DEP_4) | instskip(NEXT) | instid1(VALU_DEP_3)
	v_cndmask_b32_e32 v115, v117, v115, vcc_lo
	v_cndmask_b32_e64 v15, v15, 0xffffff92, vcc_lo
	s_delay_alu instid0(VALU_DEP_3) | instskip(NEXT) | instid1(VALU_DEP_3)
	v_lshl_add_u32 v117, 0x200000, v116, -1
	v_lshrrev_b32_e32 v118, v116, v115
	v_lshlrev_b32_e64 v128, v116, 0x100000
	s_delay_alu instid0(VALU_DEP_4) | instskip(NEXT) | instid1(VALU_DEP_4)
	v_add_nc_u32_e32 v116, v116, v15
	v_and_b32_e32 v115, v117, v115
	s_delay_alu instid0(VALU_DEP_4) | instskip(NEXT) | instid1(VALU_DEP_2)
	v_bfe_u32 v119, v118, 21, 1
	v_cmp_eq_u32_e64 s11, v115, v128
	s_delay_alu instid0(VALU_DEP_2) | instskip(NEXT) | instid1(VALU_DEP_1)
	v_add_nc_u32_e32 v117, -1, v119
	v_cndmask_b32_e64 v115, 0, v117, s11
	v_lshrrev_b32_e32 v117, 23, v118
	s_mov_b32 s11, exec_lo
	s_delay_alu instid0(VALU_DEP_2) | instskip(NEXT) | instid1(VALU_DEP_2)
	v_add_nc_u32_e32 v115, v115, v118
	v_xor_b32_e32 v117, 1, v117
	s_delay_alu instid0(VALU_DEP_2) | instskip(NEXT) | instid1(VALU_DEP_1)
	v_and_b32_e32 v15, 0x1fffff, v115
	v_add_nc_u32_e32 v115, v15, v118
                                        ; implicit-def: $vgpr15
	s_delay_alu instid0(VALU_DEP_3)
	v_cmpx_ne_u32_e64 v116, v117
	s_xor_b32 s11, exec_lo, s11
; %bb.673:                              ;   in Loop: Header=BB2_534 Depth=2
	s_delay_alu instid0(VALU_DEP_2) | instskip(SKIP_2) | instid1(VALU_DEP_2)
	v_cmp_lt_u32_e32 vcc_lo, 0xffffff, v115
	v_sub_nc_u32_e32 v15, v116, v117
	v_cndmask_b32_e64 v116, 0, 1, vcc_lo
	v_add_co_ci_u32_e32 v15, vcc_lo, 0, v15, vcc_lo
	s_delay_alu instid0(VALU_DEP_2)
	v_lshrrev_b32_e32 v115, v116, v115
; %bb.674:                              ;   in Loop: Header=BB2_534 Depth=2
	s_and_not1_saveexec_b32 s11, s11
; %bb.675:                              ;   in Loop: Header=BB2_534 Depth=2
	s_delay_alu instid0(VALU_DEP_1)
	v_bfe_u32 v15, v115, 23, 1
; %bb.676:                              ;   in Loop: Header=BB2_534 Depth=2
	s_or_b32 exec_lo, exec_lo, s11
	v_lshrrev_b32_e32 v115, 21, v115
	s_delay_alu instid0(VALU_DEP_2) | instskip(SKIP_2) | instid1(VALU_DEP_2)
	v_cmp_gt_i32_e32 vcc_lo, 32, v15
	v_lshrrev_b32_e32 v114, 24, v114
	v_min_i32_e32 v116, 31, v15
	v_dual_cndmask_b32 v115, 3, v115 :: v_dual_and_b32 v114, 0x80, v114
	s_delay_alu instid0(VALU_DEP_1) | instskip(SKIP_1) | instid1(VALU_DEP_2)
	v_or_b32_e32 v15, v15, v115
	v_and_b32_e32 v117, 3, v115
	v_cmp_ne_u32_e32 vcc_lo, 0, v15
	v_lshlrev_b32_e32 v116, 2, v116
	s_delay_alu instid0(VALU_DEP_1) | instskip(NEXT) | instid1(VALU_DEP_1)
	v_or3_b32 v114, v116, v114, v117
	v_cndmask_b32_e32 v15, 0, v114, vcc_lo
.LBB2_677:                              ;   in Loop: Header=BB2_534 Depth=2
	s_or_b32 exec_lo, exec_lo, s26
.LBB2_678:                              ;   in Loop: Header=BB2_534 Depth=2
	s_delay_alu instid0(SALU_CYCLE_1) | instskip(SKIP_3) | instid1(VALU_DEP_1)
	s_or_b32 exec_lo, exec_lo, s25
	v_lshrrev_b16 v115, 8, v16
	s_mov_b32 s11, 0
	s_mov_b32 s26, exec_lo
                                        ; implicit-def: $sgpr25
	v_cmpx_lt_i16_e32 0x7f, v115
	s_xor_b32 s26, exec_lo, s26
	s_cbranch_execnz .LBB2_860
; %bb.679:                              ;   in Loop: Header=BB2_534 Depth=2
	s_or_saveexec_b32 s26, s26
	v_mov_b32_e32 v114, s25
	s_xor_b32 exec_lo, exec_lo, s26
	s_cbranch_execnz .LBB2_863
.LBB2_680:                              ;   in Loop: Header=BB2_534 Depth=2
	s_or_b32 exec_lo, exec_lo, s26
	s_and_saveexec_b32 s25, s11
	s_cbranch_execz .LBB2_682
.LBB2_681:                              ;   in Loop: Header=BB2_534 Depth=2
	v_and_b32_e32 v114, 0xffff, v115
	s_delay_alu instid0(VALU_DEP_1) | instskip(NEXT) | instid1(VALU_DEP_1)
	v_and_b32_e32 v116, 3, v114
	v_clz_i32_u32_e32 v117, v116
	s_delay_alu instid0(VALU_DEP_1) | instskip(NEXT) | instid1(VALU_DEP_1)
	v_min_u32_e32 v117, 32, v117
	v_subrev_nc_u32_e32 v118, 29, v117
	v_sub_nc_u32_e32 v117, 30, v117
	s_delay_alu instid0(VALU_DEP_2) | instskip(SKIP_1) | instid1(VALU_DEP_2)
	v_lshlrev_b32_e32 v118, v118, v114
	v_bfe_u32 v114, v114, 2, 5
	v_and_b32_e32 v118, 3, v118
	s_delay_alu instid0(VALU_DEP_2) | instskip(SKIP_1) | instid1(VALU_DEP_1)
	v_cmp_eq_u32_e32 vcc_lo, 0, v114
	v_dual_cndmask_b32 v114, v114, v117 :: v_dual_lshlrev_b32 v115, 24, v115
	v_dual_cndmask_b32 v116, v116, v118 :: v_dual_and_b32 v115, 0x80000000, v115
	s_delay_alu instid0(VALU_DEP_2) | instskip(NEXT) | instid1(VALU_DEP_2)
	v_lshl_add_u32 v114, v114, 23, 0x37800000
	v_lshlrev_b32_e32 v116, 21, v116
	s_delay_alu instid0(VALU_DEP_1)
	v_or3_b32 v114, v115, v114, v116
.LBB2_682:                              ;   in Loop: Header=BB2_534 Depth=2
	s_or_b32 exec_lo, exec_lo, s25
	v_lshrrev_b16 v115, 8, v12
	s_mov_b32 s11, 0
	s_mov_b32 s26, exec_lo
                                        ; implicit-def: $sgpr25
	s_delay_alu instid0(VALU_DEP_1)
	v_cmpx_lt_i16_e32 0x7f, v115
	s_xor_b32 s26, exec_lo, s26
	s_cbranch_execnz .LBB2_864
; %bb.683:                              ;   in Loop: Header=BB2_534 Depth=2
	s_or_saveexec_b32 s26, s26
	v_mov_b32_e32 v116, s25
	s_xor_b32 exec_lo, exec_lo, s26
	s_cbranch_execnz .LBB2_867
.LBB2_684:                              ;   in Loop: Header=BB2_534 Depth=2
	s_or_b32 exec_lo, exec_lo, s26
	s_and_saveexec_b32 s25, s11
	s_cbranch_execz .LBB2_686
.LBB2_685:                              ;   in Loop: Header=BB2_534 Depth=2
	v_and_b32_e32 v116, 0xffff, v115
	v_lshlrev_b32_e32 v115, 24, v115
	s_delay_alu instid0(VALU_DEP_2) | instskip(NEXT) | instid1(VALU_DEP_2)
	v_and_b32_e32 v117, 3, v116
	v_and_b32_e32 v115, 0x80000000, v115
	s_delay_alu instid0(VALU_DEP_2) | instskip(NEXT) | instid1(VALU_DEP_1)
	v_clz_i32_u32_e32 v118, v117
	v_min_u32_e32 v118, 32, v118
	s_delay_alu instid0(VALU_DEP_1) | instskip(SKIP_1) | instid1(VALU_DEP_2)
	v_subrev_nc_u32_e32 v119, 29, v118
	v_sub_nc_u32_e32 v118, 30, v118
	v_lshlrev_b32_e32 v119, v119, v116
	v_bfe_u32 v116, v116, 2, 5
	s_delay_alu instid0(VALU_DEP_2) | instskip(NEXT) | instid1(VALU_DEP_2)
	v_and_b32_e32 v119, 3, v119
	v_cmp_eq_u32_e32 vcc_lo, 0, v116
	s_delay_alu instid0(VALU_DEP_2) | instskip(NEXT) | instid1(VALU_DEP_1)
	v_dual_cndmask_b32 v116, v116, v118 :: v_dual_cndmask_b32 v117, v117, v119
	v_lshl_add_u32 v116, v116, 23, 0x37800000
	s_delay_alu instid0(VALU_DEP_2) | instskip(NEXT) | instid1(VALU_DEP_1)
	v_lshlrev_b32_e32 v117, 21, v117
	v_or3_b32 v116, v115, v116, v117
.LBB2_686:                              ;   in Loop: Header=BB2_534 Depth=2
	s_or_b32 exec_lo, exec_lo, s25
	s_delay_alu instid0(VALU_DEP_1) | instskip(NEXT) | instid1(VALU_DEP_1)
	v_mul_f32_e32 v115, v114, v116
	v_and_b32_e32 v114, 0x7f800000, v115
	s_delay_alu instid0(VALU_DEP_1)
	v_cmp_ne_u32_e32 vcc_lo, 0x7f800000, v114
	v_mov_b32_e32 v114, 0x80
	s_and_saveexec_b32 s25, vcc_lo
	s_cbranch_execz .LBB2_694
; %bb.687:                              ;   in Loop: Header=BB2_534 Depth=2
	v_mov_b32_e32 v114, 0
	s_mov_b32 s26, exec_lo
	v_cmpx_ne_u32_e32 0, v115
	s_cbranch_execz .LBB2_693
; %bb.688:                              ;   in Loop: Header=BB2_534 Depth=2
	v_bfe_u32 v114, v115, 23, 8
	s_delay_alu instid0(VALU_DEP_1) | instskip(SKIP_1) | instid1(VALU_DEP_2)
	v_sub_nc_u32_e32 v117, 0x70, v114
	v_cmp_gt_u32_e32 vcc_lo, 0x71, v114
	v_dual_cndmask_b32 v117, 0, v117 :: v_dual_and_b32 v116, 0x7fffff, v115
	s_delay_alu instid0(VALU_DEP_1) | instskip(SKIP_2) | instid1(VALU_DEP_4)
	v_or_b32_e32 v118, 0x800000, v116
	v_cmp_eq_u32_e32 vcc_lo, 0, v114
	v_add_nc_u32_e32 v114, 0xffffff91, v114
	v_cndmask_b32_e64 v117, v117, 0x6f, vcc_lo
	s_delay_alu instid0(VALU_DEP_2) | instskip(SKIP_1) | instid1(VALU_DEP_3)
	v_cndmask_b32_e64 v114, v114, 0xffffff92, vcc_lo
	v_cndmask_b32_e32 v116, v118, v116, vcc_lo
	v_lshl_add_u32 v118, 0x200000, v117, -1
	v_lshlrev_b32_e64 v129, v117, 0x100000
	s_delay_alu instid0(VALU_DEP_3) | instskip(SKIP_1) | instid1(VALU_DEP_4)
	v_lshrrev_b32_e32 v119, v117, v116
	v_add_nc_u32_e32 v117, v117, v114
	v_and_b32_e32 v116, v118, v116
	s_delay_alu instid0(VALU_DEP_3) | instskip(NEXT) | instid1(VALU_DEP_2)
	v_bfe_u32 v128, v119, 21, 1
	v_cmp_eq_u32_e64 s11, v116, v129
	s_delay_alu instid0(VALU_DEP_2) | instskip(NEXT) | instid1(VALU_DEP_1)
	v_add_nc_u32_e32 v118, -1, v128
	v_cndmask_b32_e64 v116, 0, v118, s11
	v_lshrrev_b32_e32 v118, 23, v119
	s_mov_b32 s11, exec_lo
	s_delay_alu instid0(VALU_DEP_2) | instskip(NEXT) | instid1(VALU_DEP_2)
	v_add_nc_u32_e32 v116, v116, v119
	v_xor_b32_e32 v118, 1, v118
	s_delay_alu instid0(VALU_DEP_2) | instskip(NEXT) | instid1(VALU_DEP_1)
	v_and_b32_e32 v114, 0x1fffff, v116
	v_add_nc_u32_e32 v116, v114, v119
                                        ; implicit-def: $vgpr114
	s_delay_alu instid0(VALU_DEP_3)
	v_cmpx_ne_u32_e64 v117, v118
	s_xor_b32 s11, exec_lo, s11
; %bb.689:                              ;   in Loop: Header=BB2_534 Depth=2
	s_delay_alu instid0(VALU_DEP_2) | instskip(SKIP_2) | instid1(VALU_DEP_2)
	v_cmp_lt_u32_e32 vcc_lo, 0xffffff, v116
	v_sub_nc_u32_e32 v114, v117, v118
	v_cndmask_b32_e64 v117, 0, 1, vcc_lo
	v_add_co_ci_u32_e32 v114, vcc_lo, 0, v114, vcc_lo
	s_delay_alu instid0(VALU_DEP_2)
	v_lshrrev_b32_e32 v116, v117, v116
; %bb.690:                              ;   in Loop: Header=BB2_534 Depth=2
	s_and_not1_saveexec_b32 s11, s11
; %bb.691:                              ;   in Loop: Header=BB2_534 Depth=2
	s_delay_alu instid0(VALU_DEP_1)
	v_bfe_u32 v114, v116, 23, 1
; %bb.692:                              ;   in Loop: Header=BB2_534 Depth=2
	s_or_b32 exec_lo, exec_lo, s11
	v_lshrrev_b32_e32 v116, 21, v116
	s_delay_alu instid0(VALU_DEP_2) | instskip(SKIP_2) | instid1(VALU_DEP_2)
	v_cmp_gt_i32_e32 vcc_lo, 32, v114
	v_lshrrev_b32_e32 v115, 24, v115
	v_min_i32_e32 v117, 31, v114
	v_dual_cndmask_b32 v116, 3, v116 :: v_dual_and_b32 v115, 0x80, v115
	s_delay_alu instid0(VALU_DEP_1) | instskip(SKIP_1) | instid1(VALU_DEP_2)
	v_or_b32_e32 v114, v114, v116
	v_and_b32_e32 v118, 3, v116
	v_cmp_ne_u32_e32 vcc_lo, 0, v114
	v_lshlrev_b32_e32 v117, 2, v117
	s_delay_alu instid0(VALU_DEP_1) | instskip(NEXT) | instid1(VALU_DEP_1)
	v_or3_b32 v115, v117, v115, v118
	v_cndmask_b32_e32 v114, 0, v115, vcc_lo
.LBB2_693:                              ;   in Loop: Header=BB2_534 Depth=2
	s_or_b32 exec_lo, exec_lo, s26
.LBB2_694:                              ;   in Loop: Header=BB2_534 Depth=2
	s_delay_alu instid0(SALU_CYCLE_1) | instskip(SKIP_3) | instid1(VALU_DEP_1)
	s_or_b32 exec_lo, exec_lo, s25
	v_lshrrev_b32_e32 v116, 16, v16
	s_mov_b32 s11, 0
	s_mov_b32 s26, exec_lo
                                        ; implicit-def: $sgpr25
	v_and_b32_e32 v117, 0xff, v116
	s_delay_alu instid0(VALU_DEP_1)
	v_cmpx_lt_i16_e32 0x7f, v117
	s_xor_b32 s26, exec_lo, s26
	s_cbranch_execnz .LBB2_868
; %bb.695:                              ;   in Loop: Header=BB2_534 Depth=2
	s_or_saveexec_b32 s26, s26
	v_mov_b32_e32 v115, s25
	s_xor_b32 exec_lo, exec_lo, s26
	s_cbranch_execnz .LBB2_871
.LBB2_696:                              ;   in Loop: Header=BB2_534 Depth=2
	s_or_b32 exec_lo, exec_lo, s26
	s_and_saveexec_b32 s25, s11
	s_cbranch_execz .LBB2_698
.LBB2_697:                              ;   in Loop: Header=BB2_534 Depth=2
	v_bfe_u32 v115, v16, 16, 2
	v_lshlrev_b32_e32 v119, 8, v16
	s_delay_alu instid0(VALU_DEP_2) | instskip(NEXT) | instid1(VALU_DEP_1)
	v_clz_i32_u32_e32 v117, v115
	v_min_u32_e32 v117, 32, v117
	s_delay_alu instid0(VALU_DEP_1) | instskip(SKIP_1) | instid1(VALU_DEP_2)
	v_subrev_nc_u32_e32 v118, 29, v117
	v_sub_nc_u32_e32 v117, 30, v117
	v_lshlrev_b32_e32 v116, v118, v116
	v_bfe_u32 v118, v16, 18, 5
	s_delay_alu instid0(VALU_DEP_1) | instskip(NEXT) | instid1(VALU_DEP_3)
	v_cmp_eq_u32_e32 vcc_lo, 0, v118
	v_dual_cndmask_b32 v117, v118, v117 :: v_dual_and_b32 v116, 3, v116
	s_delay_alu instid0(VALU_DEP_1) | instskip(NEXT) | instid1(VALU_DEP_2)
	v_dual_cndmask_b32 v115, v115, v116 :: v_dual_and_b32 v116, 0x80000000, v119
	v_lshl_add_u32 v117, v117, 23, 0x37800000
	s_delay_alu instid0(VALU_DEP_2) | instskip(NEXT) | instid1(VALU_DEP_1)
	v_lshlrev_b32_e32 v115, 21, v115
	v_or3_b32 v115, v116, v117, v115
.LBB2_698:                              ;   in Loop: Header=BB2_534 Depth=2
	s_or_b32 exec_lo, exec_lo, s25
	v_lshrrev_b32_e32 v116, 16, v12
	s_mov_b32 s11, 0
	s_mov_b32 s26, exec_lo
                                        ; implicit-def: $sgpr25
	s_delay_alu instid0(VALU_DEP_1) | instskip(NEXT) | instid1(VALU_DEP_1)
	v_and_b32_e32 v118, 0xff, v116
	v_cmpx_lt_i16_e32 0x7f, v118
	s_xor_b32 s26, exec_lo, s26
	s_cbranch_execnz .LBB2_872
; %bb.699:                              ;   in Loop: Header=BB2_534 Depth=2
	s_or_saveexec_b32 s26, s26
	v_mov_b32_e32 v117, s25
	s_xor_b32 exec_lo, exec_lo, s26
	s_cbranch_execnz .LBB2_875
.LBB2_700:                              ;   in Loop: Header=BB2_534 Depth=2
	s_or_b32 exec_lo, exec_lo, s26
	s_and_saveexec_b32 s25, s11
	s_cbranch_execz .LBB2_702
.LBB2_701:                              ;   in Loop: Header=BB2_534 Depth=2
	v_bfe_u32 v117, v12, 16, 2
	v_lshlrev_b32_e32 v128, 8, v12
	s_delay_alu instid0(VALU_DEP_2) | instskip(NEXT) | instid1(VALU_DEP_1)
	v_clz_i32_u32_e32 v118, v117
	v_min_u32_e32 v118, 32, v118
	s_delay_alu instid0(VALU_DEP_1) | instskip(SKIP_1) | instid1(VALU_DEP_2)
	v_subrev_nc_u32_e32 v119, 29, v118
	v_sub_nc_u32_e32 v118, 30, v118
	v_lshlrev_b32_e32 v116, v119, v116
	v_bfe_u32 v119, v12, 18, 5
	s_delay_alu instid0(VALU_DEP_2) | instskip(NEXT) | instid1(VALU_DEP_2)
	v_and_b32_e32 v116, 3, v116
	v_cmp_eq_u32_e32 vcc_lo, 0, v119
	v_cndmask_b32_e32 v118, v119, v118, vcc_lo
	s_delay_alu instid0(VALU_DEP_3) | instskip(SKIP_1) | instid1(VALU_DEP_3)
	v_cndmask_b32_e32 v116, v117, v116, vcc_lo
	v_and_b32_e32 v117, 0x80000000, v128
	v_lshl_add_u32 v118, v118, 23, 0x37800000
	s_delay_alu instid0(VALU_DEP_3) | instskip(NEXT) | instid1(VALU_DEP_1)
	v_lshlrev_b32_e32 v116, 21, v116
	v_or3_b32 v117, v117, v118, v116
.LBB2_702:                              ;   in Loop: Header=BB2_534 Depth=2
	s_or_b32 exec_lo, exec_lo, s25
	s_delay_alu instid0(VALU_DEP_1) | instskip(NEXT) | instid1(VALU_DEP_1)
	v_mul_f32_e32 v116, v115, v117
	v_and_b32_e32 v115, 0x7f800000, v116
	s_delay_alu instid0(VALU_DEP_1)
	v_cmp_ne_u32_e32 vcc_lo, 0x7f800000, v115
	v_mov_b32_e32 v115, 0x80
	s_and_saveexec_b32 s25, vcc_lo
	s_cbranch_execz .LBB2_710
; %bb.703:                              ;   in Loop: Header=BB2_534 Depth=2
	v_mov_b32_e32 v115, 0
	s_mov_b32 s26, exec_lo
	v_cmpx_ne_u32_e32 0, v116
	s_cbranch_execz .LBB2_709
; %bb.704:                              ;   in Loop: Header=BB2_534 Depth=2
	v_bfe_u32 v115, v116, 23, 8
	s_delay_alu instid0(VALU_DEP_1) | instskip(SKIP_1) | instid1(VALU_DEP_2)
	v_sub_nc_u32_e32 v118, 0x70, v115
	v_cmp_gt_u32_e32 vcc_lo, 0x71, v115
	v_dual_cndmask_b32 v118, 0, v118 :: v_dual_and_b32 v117, 0x7fffff, v116
	s_delay_alu instid0(VALU_DEP_1) | instskip(SKIP_2) | instid1(VALU_DEP_4)
	v_or_b32_e32 v119, 0x800000, v117
	v_cmp_eq_u32_e32 vcc_lo, 0, v115
	v_add_nc_u32_e32 v115, 0xffffff91, v115
	v_cndmask_b32_e64 v118, v118, 0x6f, vcc_lo
	s_delay_alu instid0(VALU_DEP_2) | instskip(SKIP_1) | instid1(VALU_DEP_3)
	v_cndmask_b32_e64 v115, v115, 0xffffff92, vcc_lo
	v_cndmask_b32_e32 v117, v119, v117, vcc_lo
	v_lshl_add_u32 v119, 0x200000, v118, -1
	v_lshlrev_b32_e64 v130, v118, 0x100000
	s_delay_alu instid0(VALU_DEP_3) | instskip(SKIP_1) | instid1(VALU_DEP_4)
	v_lshrrev_b32_e32 v128, v118, v117
	v_add_nc_u32_e32 v118, v118, v115
	v_and_b32_e32 v117, v119, v117
	s_delay_alu instid0(VALU_DEP_3) | instskip(NEXT) | instid1(VALU_DEP_2)
	v_bfe_u32 v129, v128, 21, 1
	v_cmp_eq_u32_e64 s11, v117, v130
	s_delay_alu instid0(VALU_DEP_2) | instskip(NEXT) | instid1(VALU_DEP_1)
	v_add_nc_u32_e32 v119, -1, v129
	v_cndmask_b32_e64 v117, 0, v119, s11
	v_lshrrev_b32_e32 v119, 23, v128
	s_mov_b32 s11, exec_lo
	s_delay_alu instid0(VALU_DEP_2) | instskip(NEXT) | instid1(VALU_DEP_2)
	v_add_nc_u32_e32 v117, v117, v128
	v_xor_b32_e32 v119, 1, v119
	s_delay_alu instid0(VALU_DEP_2) | instskip(NEXT) | instid1(VALU_DEP_1)
	v_and_b32_e32 v115, 0x1fffff, v117
	v_add_nc_u32_e32 v117, v115, v128
                                        ; implicit-def: $vgpr115
	s_delay_alu instid0(VALU_DEP_3)
	v_cmpx_ne_u32_e64 v118, v119
	s_xor_b32 s11, exec_lo, s11
; %bb.705:                              ;   in Loop: Header=BB2_534 Depth=2
	s_delay_alu instid0(VALU_DEP_2) | instskip(SKIP_2) | instid1(VALU_DEP_2)
	v_cmp_lt_u32_e32 vcc_lo, 0xffffff, v117
	v_sub_nc_u32_e32 v115, v118, v119
	v_cndmask_b32_e64 v118, 0, 1, vcc_lo
	v_add_co_ci_u32_e32 v115, vcc_lo, 0, v115, vcc_lo
	s_delay_alu instid0(VALU_DEP_2)
	v_lshrrev_b32_e32 v117, v118, v117
; %bb.706:                              ;   in Loop: Header=BB2_534 Depth=2
	s_and_not1_saveexec_b32 s11, s11
; %bb.707:                              ;   in Loop: Header=BB2_534 Depth=2
	s_delay_alu instid0(VALU_DEP_1)
	v_bfe_u32 v115, v117, 23, 1
; %bb.708:                              ;   in Loop: Header=BB2_534 Depth=2
	s_or_b32 exec_lo, exec_lo, s11
	v_lshrrev_b32_e32 v117, 21, v117
	s_delay_alu instid0(VALU_DEP_2) | instskip(SKIP_2) | instid1(VALU_DEP_2)
	v_cmp_gt_i32_e32 vcc_lo, 32, v115
	v_lshrrev_b32_e32 v116, 24, v116
	v_min_i32_e32 v118, 31, v115
	v_dual_cndmask_b32 v117, 3, v117 :: v_dual_and_b32 v116, 0x80, v116
	s_delay_alu instid0(VALU_DEP_1) | instskip(SKIP_1) | instid1(VALU_DEP_2)
	v_or_b32_e32 v115, v115, v117
	v_and_b32_e32 v119, 3, v117
	v_cmp_ne_u32_e32 vcc_lo, 0, v115
	v_lshlrev_b32_e32 v118, 2, v118
	s_delay_alu instid0(VALU_DEP_1) | instskip(NEXT) | instid1(VALU_DEP_1)
	v_or3_b32 v116, v118, v116, v119
	v_cndmask_b32_e32 v115, 0, v116, vcc_lo
.LBB2_709:                              ;   in Loop: Header=BB2_534 Depth=2
	s_or_b32 exec_lo, exec_lo, s26
.LBB2_710:                              ;   in Loop: Header=BB2_534 Depth=2
	s_delay_alu instid0(SALU_CYCLE_1) | instskip(SKIP_3) | instid1(VALU_DEP_1)
	s_or_b32 exec_lo, exec_lo, s25
	v_lshrrev_b32_e32 v117, 24, v16
	s_mov_b32 s11, 0
	s_mov_b32 s26, exec_lo
                                        ; implicit-def: $sgpr25
	v_cmpx_lt_i16_e32 0x7f, v117
	s_xor_b32 s26, exec_lo, s26
	s_cbranch_execnz .LBB2_876
; %bb.711:                              ;   in Loop: Header=BB2_534 Depth=2
	s_or_saveexec_b32 s26, s26
	v_mov_b32_e32 v116, s25
	s_xor_b32 exec_lo, exec_lo, s26
	s_cbranch_execnz .LBB2_879
.LBB2_712:                              ;   in Loop: Header=BB2_534 Depth=2
	s_or_b32 exec_lo, exec_lo, s26
	s_and_saveexec_b32 s25, s11
	s_cbranch_execz .LBB2_714
.LBB2_713:                              ;   in Loop: Header=BB2_534 Depth=2
	v_bfe_u32 v116, v16, 24, 2
	s_delay_alu instid0(VALU_DEP_1) | instskip(NEXT) | instid1(VALU_DEP_1)
	v_clz_i32_u32_e32 v118, v116
	v_min_u32_e32 v118, 32, v118
	s_delay_alu instid0(VALU_DEP_1) | instskip(SKIP_1) | instid1(VALU_DEP_2)
	v_subrev_nc_u32_e32 v119, 29, v118
	v_sub_nc_u32_e32 v118, 30, v118
	v_lshlrev_b32_e32 v117, v119, v117
	v_bfe_u32 v119, v16, 26, 5
	v_and_b32_e32 v16, 0x80000000, v16
	s_delay_alu instid0(VALU_DEP_2) | instskip(NEXT) | instid1(VALU_DEP_4)
	v_cmp_eq_u32_e32 vcc_lo, 0, v119
	v_dual_cndmask_b32 v118, v119, v118 :: v_dual_and_b32 v117, 3, v117
	s_delay_alu instid0(VALU_DEP_1) | instskip(NEXT) | instid1(VALU_DEP_2)
	v_cndmask_b32_e32 v116, v116, v117, vcc_lo
	v_lshl_add_u32 v117, v118, 23, 0x37800000
	s_delay_alu instid0(VALU_DEP_2) | instskip(NEXT) | instid1(VALU_DEP_1)
	v_lshlrev_b32_e32 v116, 21, v116
	v_or3_b32 v116, v16, v117, v116
.LBB2_714:                              ;   in Loop: Header=BB2_534 Depth=2
	s_or_b32 exec_lo, exec_lo, s25
	v_lshrrev_b32_e32 v16, 24, v12
	s_mov_b32 s11, 0
	s_mov_b32 s26, exec_lo
                                        ; implicit-def: $sgpr25
	s_delay_alu instid0(VALU_DEP_1)
	v_cmpx_lt_i16_e32 0x7f, v16
	s_xor_b32 s26, exec_lo, s26
	s_cbranch_execnz .LBB2_880
; %bb.715:                              ;   in Loop: Header=BB2_534 Depth=2
	s_or_saveexec_b32 s26, s26
	v_mov_b32_e32 v117, s25
	s_xor_b32 exec_lo, exec_lo, s26
	s_cbranch_execnz .LBB2_883
.LBB2_716:                              ;   in Loop: Header=BB2_534 Depth=2
	s_or_b32 exec_lo, exec_lo, s26
	s_and_saveexec_b32 s25, s11
	s_cbranch_execz .LBB2_718
.LBB2_717:                              ;   in Loop: Header=BB2_534 Depth=2
	v_bfe_u32 v117, v12, 24, 2
	s_delay_alu instid0(VALU_DEP_1) | instskip(NEXT) | instid1(VALU_DEP_1)
	v_clz_i32_u32_e32 v118, v117
	v_min_u32_e32 v118, 32, v118
	s_delay_alu instid0(VALU_DEP_1) | instskip(SKIP_1) | instid1(VALU_DEP_2)
	v_subrev_nc_u32_e32 v119, 29, v118
	v_sub_nc_u32_e32 v118, 30, v118
	v_lshlrev_b32_e32 v16, v119, v16
	v_bfe_u32 v119, v12, 26, 5
	v_and_b32_e32 v12, 0x80000000, v12
	s_delay_alu instid0(VALU_DEP_3) | instskip(NEXT) | instid1(VALU_DEP_3)
	v_and_b32_e32 v16, 3, v16
	v_cmp_eq_u32_e32 vcc_lo, 0, v119
	v_cndmask_b32_e32 v118, v119, v118, vcc_lo
	s_delay_alu instid0(VALU_DEP_3) | instskip(NEXT) | instid1(VALU_DEP_2)
	v_cndmask_b32_e32 v16, v117, v16, vcc_lo
	v_lshl_add_u32 v117, v118, 23, 0x37800000
	s_delay_alu instid0(VALU_DEP_2) | instskip(NEXT) | instid1(VALU_DEP_1)
	v_lshlrev_b32_e32 v16, 21, v16
	v_or3_b32 v117, v12, v117, v16
.LBB2_718:                              ;   in Loop: Header=BB2_534 Depth=2
	s_or_b32 exec_lo, exec_lo, s25
	s_delay_alu instid0(VALU_DEP_1) | instskip(NEXT) | instid1(VALU_DEP_1)
	v_mul_f32_e32 v16, v116, v117
	v_and_b32_e32 v12, 0x7f800000, v16
	s_delay_alu instid0(VALU_DEP_1)
	v_cmp_ne_u32_e32 vcc_lo, 0x7f800000, v12
	v_mov_b32_e32 v12, 0x80
	s_and_saveexec_b32 s25, vcc_lo
	s_cbranch_execz .LBB2_726
; %bb.719:                              ;   in Loop: Header=BB2_534 Depth=2
	v_mov_b32_e32 v12, 0
	s_mov_b32 s26, exec_lo
	v_cmpx_ne_u32_e32 0, v16
	s_cbranch_execz .LBB2_725
; %bb.720:                              ;   in Loop: Header=BB2_534 Depth=2
	v_bfe_u32 v12, v16, 23, 8
	s_delay_alu instid0(VALU_DEP_1) | instskip(SKIP_1) | instid1(VALU_DEP_2)
	v_sub_nc_u32_e32 v117, 0x70, v12
	v_cmp_gt_u32_e32 vcc_lo, 0x71, v12
	v_dual_cndmask_b32 v117, 0, v117 :: v_dual_and_b32 v116, 0x7fffff, v16
	s_delay_alu instid0(VALU_DEP_1) | instskip(SKIP_2) | instid1(VALU_DEP_4)
	v_or_b32_e32 v118, 0x800000, v116
	v_cmp_eq_u32_e32 vcc_lo, 0, v12
	v_add_nc_u32_e32 v12, 0xffffff91, v12
	v_cndmask_b32_e64 v117, v117, 0x6f, vcc_lo
	s_delay_alu instid0(VALU_DEP_4) | instskip(NEXT) | instid1(VALU_DEP_3)
	v_cndmask_b32_e32 v116, v118, v116, vcc_lo
	v_cndmask_b32_e64 v12, v12, 0xffffff92, vcc_lo
	s_delay_alu instid0(VALU_DEP_3) | instskip(NEXT) | instid1(VALU_DEP_3)
	v_lshl_add_u32 v118, 0x200000, v117, -1
	v_lshrrev_b32_e32 v119, v117, v116
	v_lshlrev_b32_e64 v129, v117, 0x100000
	s_delay_alu instid0(VALU_DEP_4) | instskip(NEXT) | instid1(VALU_DEP_4)
	v_add_nc_u32_e32 v117, v117, v12
	v_and_b32_e32 v116, v118, v116
	s_delay_alu instid0(VALU_DEP_4) | instskip(NEXT) | instid1(VALU_DEP_2)
	v_bfe_u32 v128, v119, 21, 1
	v_cmp_eq_u32_e64 s11, v116, v129
	s_delay_alu instid0(VALU_DEP_2) | instskip(NEXT) | instid1(VALU_DEP_1)
	v_add_nc_u32_e32 v118, -1, v128
	v_cndmask_b32_e64 v116, 0, v118, s11
	v_lshrrev_b32_e32 v118, 23, v119
	s_mov_b32 s11, exec_lo
	s_delay_alu instid0(VALU_DEP_2) | instskip(NEXT) | instid1(VALU_DEP_2)
	v_add_nc_u32_e32 v116, v116, v119
	v_xor_b32_e32 v118, 1, v118
	s_delay_alu instid0(VALU_DEP_2) | instskip(NEXT) | instid1(VALU_DEP_1)
	v_and_b32_e32 v12, 0x1fffff, v116
	v_add_nc_u32_e32 v116, v12, v119
                                        ; implicit-def: $vgpr12
	s_delay_alu instid0(VALU_DEP_3)
	v_cmpx_ne_u32_e64 v117, v118
	s_xor_b32 s11, exec_lo, s11
; %bb.721:                              ;   in Loop: Header=BB2_534 Depth=2
	s_delay_alu instid0(VALU_DEP_2) | instskip(SKIP_2) | instid1(VALU_DEP_2)
	v_cmp_lt_u32_e32 vcc_lo, 0xffffff, v116
	v_sub_nc_u32_e32 v12, v117, v118
	v_cndmask_b32_e64 v117, 0, 1, vcc_lo
	v_add_co_ci_u32_e32 v12, vcc_lo, 0, v12, vcc_lo
	s_delay_alu instid0(VALU_DEP_2)
	v_lshrrev_b32_e32 v116, v117, v116
; %bb.722:                              ;   in Loop: Header=BB2_534 Depth=2
	s_and_not1_saveexec_b32 s11, s11
; %bb.723:                              ;   in Loop: Header=BB2_534 Depth=2
	s_delay_alu instid0(VALU_DEP_1)
	v_bfe_u32 v12, v116, 23, 1
; %bb.724:                              ;   in Loop: Header=BB2_534 Depth=2
	s_or_b32 exec_lo, exec_lo, s11
	v_lshrrev_b32_e32 v116, 21, v116
	s_delay_alu instid0(VALU_DEP_2) | instskip(SKIP_2) | instid1(VALU_DEP_4)
	v_cmp_gt_i32_e32 vcc_lo, 32, v12
	v_lshrrev_b32_e32 v16, 24, v16
	v_min_i32_e32 v117, 31, v12
	v_cndmask_b32_e32 v116, 3, v116, vcc_lo
	s_delay_alu instid0(VALU_DEP_3) | instskip(NEXT) | instid1(VALU_DEP_3)
	v_and_b32_e32 v16, 0x80, v16
	v_lshlrev_b32_e32 v117, 2, v117
	s_delay_alu instid0(VALU_DEP_3) | instskip(SKIP_1) | instid1(VALU_DEP_2)
	v_and_b32_e32 v118, 3, v116
	v_or_b32_e32 v12, v12, v116
	v_or3_b32 v16, v117, v16, v118
	s_delay_alu instid0(VALU_DEP_2) | instskip(NEXT) | instid1(VALU_DEP_2)
	v_cmp_ne_u32_e32 vcc_lo, 0, v12
	v_cndmask_b32_e32 v12, 0, v16, vcc_lo
.LBB2_725:                              ;   in Loop: Header=BB2_534 Depth=2
	s_or_b32 exec_lo, exec_lo, s26
.LBB2_726:                              ;   in Loop: Header=BB2_534 Depth=2
	s_delay_alu instid0(SALU_CYCLE_1) | instskip(SKIP_3) | instid1(VALU_DEP_1)
	s_or_b32 exec_lo, exec_lo, s25
	v_and_b32_e32 v116, 0xff, v17
	s_mov_b32 s11, 0
	s_mov_b32 s26, exec_lo
                                        ; implicit-def: $sgpr25
	v_cmpx_lt_i16_e32 0x7f, v116
	s_xor_b32 s26, exec_lo, s26
	s_cbranch_execnz .LBB2_884
; %bb.727:                              ;   in Loop: Header=BB2_534 Depth=2
	s_or_saveexec_b32 s26, s26
	v_mov_b32_e32 v16, s25
	s_xor_b32 exec_lo, exec_lo, s26
	s_cbranch_execnz .LBB2_887
.LBB2_728:                              ;   in Loop: Header=BB2_534 Depth=2
	s_or_b32 exec_lo, exec_lo, s26
	s_and_saveexec_b32 s25, s11
	s_cbranch_execz .LBB2_730
.LBB2_729:                              ;   in Loop: Header=BB2_534 Depth=2
	v_and_b32_e32 v16, 3, v17
	v_bfe_u32 v118, v17, 2, 5
	v_lshlrev_b32_e32 v119, 24, v17
	s_delay_alu instid0(VALU_DEP_3) | instskip(NEXT) | instid1(VALU_DEP_3)
	v_clz_i32_u32_e32 v116, v16
	v_cmp_eq_u32_e32 vcc_lo, 0, v118
	s_delay_alu instid0(VALU_DEP_2) | instskip(NEXT) | instid1(VALU_DEP_1)
	v_min_u32_e32 v116, 32, v116
	v_subrev_nc_u32_e32 v117, 29, v116
	v_sub_nc_u32_e32 v116, 30, v116
	s_delay_alu instid0(VALU_DEP_1) | instskip(NEXT) | instid1(VALU_DEP_1)
	v_dual_cndmask_b32 v116, v118, v116 :: v_dual_lshlrev_b32 v117, v117, v17
	v_and_b32_e32 v117, 3, v117
	s_delay_alu instid0(VALU_DEP_2) | instskip(NEXT) | instid1(VALU_DEP_2)
	v_lshl_add_u32 v116, v116, 23, 0x37800000
	v_dual_cndmask_b32 v16, v16, v117 :: v_dual_and_b32 v117, 0x80000000, v119
	s_delay_alu instid0(VALU_DEP_1) | instskip(NEXT) | instid1(VALU_DEP_1)
	v_lshlrev_b32_e32 v16, 21, v16
	v_or3_b32 v16, v117, v116, v16
.LBB2_730:                              ;   in Loop: Header=BB2_534 Depth=2
	s_or_b32 exec_lo, exec_lo, s25
	v_and_b32_e32 v117, 0xff, v13
	s_mov_b32 s11, 0
	s_mov_b32 s26, exec_lo
                                        ; implicit-def: $sgpr25
	s_delay_alu instid0(VALU_DEP_1)
	v_cmpx_lt_i16_e32 0x7f, v117
	s_xor_b32 s26, exec_lo, s26
	s_cbranch_execnz .LBB2_888
; %bb.731:                              ;   in Loop: Header=BB2_534 Depth=2
	s_or_saveexec_b32 s26, s26
	v_mov_b32_e32 v116, s25
	s_xor_b32 exec_lo, exec_lo, s26
	s_cbranch_execnz .LBB2_891
.LBB2_732:                              ;   in Loop: Header=BB2_534 Depth=2
	s_or_b32 exec_lo, exec_lo, s26
	s_and_saveexec_b32 s25, s11
	s_cbranch_execz .LBB2_734
.LBB2_733:                              ;   in Loop: Header=BB2_534 Depth=2
	v_and_b32_e32 v116, 3, v13
	v_bfe_u32 v119, v13, 2, 5
	v_lshlrev_b32_e32 v128, 24, v13
	s_delay_alu instid0(VALU_DEP_3) | instskip(NEXT) | instid1(VALU_DEP_3)
	v_clz_i32_u32_e32 v117, v116
	v_cmp_eq_u32_e32 vcc_lo, 0, v119
	s_delay_alu instid0(VALU_DEP_2) | instskip(NEXT) | instid1(VALU_DEP_1)
	v_min_u32_e32 v117, 32, v117
	v_subrev_nc_u32_e32 v118, 29, v117
	v_sub_nc_u32_e32 v117, 30, v117
	s_delay_alu instid0(VALU_DEP_2) | instskip(NEXT) | instid1(VALU_DEP_1)
	v_lshlrev_b32_e32 v118, v118, v13
	v_dual_cndmask_b32 v117, v119, v117 :: v_dual_and_b32 v118, 3, v118
	s_delay_alu instid0(VALU_DEP_1) | instskip(NEXT) | instid1(VALU_DEP_2)
	v_lshl_add_u32 v117, v117, 23, 0x37800000
	v_cndmask_b32_e32 v116, v116, v118, vcc_lo
	v_and_b32_e32 v118, 0x80000000, v128
	s_delay_alu instid0(VALU_DEP_2) | instskip(NEXT) | instid1(VALU_DEP_1)
	v_lshlrev_b32_e32 v116, 21, v116
	v_or3_b32 v116, v118, v117, v116
.LBB2_734:                              ;   in Loop: Header=BB2_534 Depth=2
	s_or_b32 exec_lo, exec_lo, s25
	s_delay_alu instid0(VALU_DEP_1) | instskip(NEXT) | instid1(VALU_DEP_1)
	v_mul_f32_e32 v116, v16, v116
	v_and_b32_e32 v16, 0x7f800000, v116
	s_delay_alu instid0(VALU_DEP_1)
	v_cmp_ne_u32_e32 vcc_lo, 0x7f800000, v16
	v_mov_b32_e32 v16, 0x80
	s_and_saveexec_b32 s25, vcc_lo
	s_cbranch_execz .LBB2_742
; %bb.735:                              ;   in Loop: Header=BB2_534 Depth=2
	v_mov_b32_e32 v16, 0
	s_mov_b32 s26, exec_lo
	v_cmpx_ne_u32_e32 0, v116
	s_cbranch_execz .LBB2_741
; %bb.736:                              ;   in Loop: Header=BB2_534 Depth=2
	v_bfe_u32 v16, v116, 23, 8
	s_delay_alu instid0(VALU_DEP_1) | instskip(SKIP_1) | instid1(VALU_DEP_2)
	v_sub_nc_u32_e32 v118, 0x70, v16
	v_cmp_gt_u32_e32 vcc_lo, 0x71, v16
	v_dual_cndmask_b32 v118, 0, v118 :: v_dual_and_b32 v117, 0x7fffff, v116
	s_delay_alu instid0(VALU_DEP_1) | instskip(SKIP_2) | instid1(VALU_DEP_4)
	v_or_b32_e32 v119, 0x800000, v117
	v_cmp_eq_u32_e32 vcc_lo, 0, v16
	v_add_nc_u32_e32 v16, 0xffffff91, v16
	v_cndmask_b32_e64 v118, v118, 0x6f, vcc_lo
	s_delay_alu instid0(VALU_DEP_4) | instskip(NEXT) | instid1(VALU_DEP_3)
	v_cndmask_b32_e32 v117, v119, v117, vcc_lo
	v_cndmask_b32_e64 v16, v16, 0xffffff92, vcc_lo
	s_delay_alu instid0(VALU_DEP_3) | instskip(NEXT) | instid1(VALU_DEP_3)
	v_lshl_add_u32 v119, 0x200000, v118, -1
	v_lshrrev_b32_e32 v128, v118, v117
	v_lshlrev_b32_e64 v130, v118, 0x100000
	s_delay_alu instid0(VALU_DEP_4) | instskip(NEXT) | instid1(VALU_DEP_4)
	v_add_nc_u32_e32 v118, v118, v16
	v_and_b32_e32 v117, v119, v117
	s_delay_alu instid0(VALU_DEP_4) | instskip(NEXT) | instid1(VALU_DEP_2)
	v_bfe_u32 v129, v128, 21, 1
	v_cmp_eq_u32_e64 s11, v117, v130
	s_delay_alu instid0(VALU_DEP_2) | instskip(NEXT) | instid1(VALU_DEP_1)
	v_add_nc_u32_e32 v119, -1, v129
	v_cndmask_b32_e64 v117, 0, v119, s11
	v_lshrrev_b32_e32 v119, 23, v128
	s_mov_b32 s11, exec_lo
	s_delay_alu instid0(VALU_DEP_2) | instskip(NEXT) | instid1(VALU_DEP_2)
	v_add_nc_u32_e32 v117, v117, v128
	v_xor_b32_e32 v119, 1, v119
	s_delay_alu instid0(VALU_DEP_2) | instskip(NEXT) | instid1(VALU_DEP_1)
	v_and_b32_e32 v16, 0x1fffff, v117
	v_add_nc_u32_e32 v117, v16, v128
                                        ; implicit-def: $vgpr16
	s_delay_alu instid0(VALU_DEP_3)
	v_cmpx_ne_u32_e64 v118, v119
	s_xor_b32 s11, exec_lo, s11
; %bb.737:                              ;   in Loop: Header=BB2_534 Depth=2
	s_delay_alu instid0(VALU_DEP_2) | instskip(SKIP_2) | instid1(VALU_DEP_2)
	v_cmp_lt_u32_e32 vcc_lo, 0xffffff, v117
	v_sub_nc_u32_e32 v16, v118, v119
	v_cndmask_b32_e64 v118, 0, 1, vcc_lo
	v_add_co_ci_u32_e32 v16, vcc_lo, 0, v16, vcc_lo
	s_delay_alu instid0(VALU_DEP_2)
	v_lshrrev_b32_e32 v117, v118, v117
; %bb.738:                              ;   in Loop: Header=BB2_534 Depth=2
	s_and_not1_saveexec_b32 s11, s11
; %bb.739:                              ;   in Loop: Header=BB2_534 Depth=2
	s_delay_alu instid0(VALU_DEP_1)
	v_bfe_u32 v16, v117, 23, 1
; %bb.740:                              ;   in Loop: Header=BB2_534 Depth=2
	s_or_b32 exec_lo, exec_lo, s11
	v_lshrrev_b32_e32 v117, 21, v117
	s_delay_alu instid0(VALU_DEP_2) | instskip(SKIP_2) | instid1(VALU_DEP_2)
	v_cmp_gt_i32_e32 vcc_lo, 32, v16
	v_lshrrev_b32_e32 v116, 24, v116
	v_min_i32_e32 v118, 31, v16
	v_dual_cndmask_b32 v117, 3, v117 :: v_dual_and_b32 v116, 0x80, v116
	s_delay_alu instid0(VALU_DEP_2) | instskip(NEXT) | instid1(VALU_DEP_2)
	v_lshlrev_b32_e32 v118, 2, v118
	v_or_b32_e32 v16, v16, v117
	s_delay_alu instid0(VALU_DEP_1) | instskip(SKIP_1) | instid1(VALU_DEP_1)
	v_cmp_ne_u32_e32 vcc_lo, 0, v16
	v_and_b32_e32 v119, 3, v117
	v_or3_b32 v116, v118, v116, v119
	s_delay_alu instid0(VALU_DEP_1)
	v_cndmask_b32_e32 v16, 0, v116, vcc_lo
.LBB2_741:                              ;   in Loop: Header=BB2_534 Depth=2
	s_or_b32 exec_lo, exec_lo, s26
.LBB2_742:                              ;   in Loop: Header=BB2_534 Depth=2
	s_delay_alu instid0(SALU_CYCLE_1) | instskip(SKIP_3) | instid1(VALU_DEP_1)
	s_or_b32 exec_lo, exec_lo, s25
	v_lshrrev_b16 v117, 8, v17
	s_mov_b32 s11, 0
	s_mov_b32 s26, exec_lo
                                        ; implicit-def: $sgpr25
	v_cmpx_lt_i16_e32 0x7f, v117
	s_xor_b32 s26, exec_lo, s26
	s_cbranch_execnz .LBB2_892
; %bb.743:                              ;   in Loop: Header=BB2_534 Depth=2
	s_or_saveexec_b32 s26, s26
	v_mov_b32_e32 v116, s25
	s_xor_b32 exec_lo, exec_lo, s26
	s_cbranch_execnz .LBB2_895
.LBB2_744:                              ;   in Loop: Header=BB2_534 Depth=2
	s_or_b32 exec_lo, exec_lo, s26
	s_and_saveexec_b32 s25, s11
	s_cbranch_execz .LBB2_746
.LBB2_745:                              ;   in Loop: Header=BB2_534 Depth=2
	v_and_b32_e32 v116, 0xffff, v117
	s_delay_alu instid0(VALU_DEP_1) | instskip(NEXT) | instid1(VALU_DEP_1)
	v_and_b32_e32 v118, 3, v116
	v_clz_i32_u32_e32 v119, v118
	s_delay_alu instid0(VALU_DEP_1) | instskip(NEXT) | instid1(VALU_DEP_1)
	v_min_u32_e32 v119, 32, v119
	v_subrev_nc_u32_e32 v128, 29, v119
	v_sub_nc_u32_e32 v119, 30, v119
	s_delay_alu instid0(VALU_DEP_2) | instskip(SKIP_1) | instid1(VALU_DEP_2)
	v_lshlrev_b32_e32 v128, v128, v116
	v_bfe_u32 v116, v116, 2, 5
	v_and_b32_e32 v128, 3, v128
	s_delay_alu instid0(VALU_DEP_2) | instskip(SKIP_1) | instid1(VALU_DEP_1)
	v_cmp_eq_u32_e32 vcc_lo, 0, v116
	v_dual_cndmask_b32 v116, v116, v119 :: v_dual_lshlrev_b32 v117, 24, v117
	v_dual_cndmask_b32 v118, v118, v128 :: v_dual_and_b32 v117, 0x80000000, v117
	s_delay_alu instid0(VALU_DEP_2) | instskip(NEXT) | instid1(VALU_DEP_2)
	v_lshl_add_u32 v116, v116, 23, 0x37800000
	v_lshlrev_b32_e32 v118, 21, v118
	s_delay_alu instid0(VALU_DEP_1)
	v_or3_b32 v116, v117, v116, v118
.LBB2_746:                              ;   in Loop: Header=BB2_534 Depth=2
	s_or_b32 exec_lo, exec_lo, s25
	v_lshrrev_b16 v117, 8, v13
	s_mov_b32 s11, 0
	s_mov_b32 s26, exec_lo
                                        ; implicit-def: $sgpr25
	s_delay_alu instid0(VALU_DEP_1)
	v_cmpx_lt_i16_e32 0x7f, v117
	s_xor_b32 s26, exec_lo, s26
	s_cbranch_execnz .LBB2_896
; %bb.747:                              ;   in Loop: Header=BB2_534 Depth=2
	s_or_saveexec_b32 s26, s26
	v_mov_b32_e32 v118, s25
	s_xor_b32 exec_lo, exec_lo, s26
	s_cbranch_execnz .LBB2_899
.LBB2_748:                              ;   in Loop: Header=BB2_534 Depth=2
	s_or_b32 exec_lo, exec_lo, s26
	s_and_saveexec_b32 s25, s11
	s_cbranch_execz .LBB2_750
.LBB2_749:                              ;   in Loop: Header=BB2_534 Depth=2
	v_and_b32_e32 v118, 0xffff, v117
	v_lshlrev_b32_e32 v117, 24, v117
	s_delay_alu instid0(VALU_DEP_2) | instskip(NEXT) | instid1(VALU_DEP_2)
	v_and_b32_e32 v119, 3, v118
	v_and_b32_e32 v117, 0x80000000, v117
	s_delay_alu instid0(VALU_DEP_2) | instskip(NEXT) | instid1(VALU_DEP_1)
	v_clz_i32_u32_e32 v128, v119
	v_min_u32_e32 v128, 32, v128
	s_delay_alu instid0(VALU_DEP_1) | instskip(SKIP_1) | instid1(VALU_DEP_2)
	v_subrev_nc_u32_e32 v129, 29, v128
	v_sub_nc_u32_e32 v128, 30, v128
	v_lshlrev_b32_e32 v129, v129, v118
	v_bfe_u32 v118, v118, 2, 5
	s_delay_alu instid0(VALU_DEP_2) | instskip(NEXT) | instid1(VALU_DEP_2)
	v_and_b32_e32 v129, 3, v129
	v_cmp_eq_u32_e32 vcc_lo, 0, v118
	s_delay_alu instid0(VALU_DEP_2) | instskip(NEXT) | instid1(VALU_DEP_1)
	v_dual_cndmask_b32 v118, v118, v128 :: v_dual_cndmask_b32 v119, v119, v129
	v_lshl_add_u32 v118, v118, 23, 0x37800000
	s_delay_alu instid0(VALU_DEP_2) | instskip(NEXT) | instid1(VALU_DEP_1)
	v_lshlrev_b32_e32 v119, 21, v119
	v_or3_b32 v118, v117, v118, v119
.LBB2_750:                              ;   in Loop: Header=BB2_534 Depth=2
	s_or_b32 exec_lo, exec_lo, s25
	s_delay_alu instid0(VALU_DEP_1) | instskip(NEXT) | instid1(VALU_DEP_1)
	v_mul_f32_e32 v117, v116, v118
	v_and_b32_e32 v116, 0x7f800000, v117
	s_delay_alu instid0(VALU_DEP_1)
	v_cmp_ne_u32_e32 vcc_lo, 0x7f800000, v116
	v_mov_b32_e32 v116, 0x8000
	s_and_saveexec_b32 s25, vcc_lo
	s_cbranch_execz .LBB2_758
; %bb.751:                              ;   in Loop: Header=BB2_534 Depth=2
	v_mov_b32_e32 v116, 0
	s_mov_b32 s26, exec_lo
	v_cmpx_ne_u32_e32 0, v117
	s_cbranch_execz .LBB2_757
; %bb.752:                              ;   in Loop: Header=BB2_534 Depth=2
	v_bfe_u32 v116, v117, 23, 8
	s_delay_alu instid0(VALU_DEP_1) | instskip(SKIP_1) | instid1(VALU_DEP_2)
	v_sub_nc_u32_e32 v119, 0x70, v116
	v_cmp_gt_u32_e32 vcc_lo, 0x71, v116
	v_dual_cndmask_b32 v119, 0, v119 :: v_dual_and_b32 v118, 0x7fffff, v117
	s_delay_alu instid0(VALU_DEP_1) | instskip(SKIP_2) | instid1(VALU_DEP_4)
	v_or_b32_e32 v128, 0x800000, v118
	v_cmp_eq_u32_e32 vcc_lo, 0, v116
	v_add_nc_u32_e32 v116, 0xffffff91, v116
	v_cndmask_b32_e64 v119, v119, 0x6f, vcc_lo
	s_delay_alu instid0(VALU_DEP_2) | instskip(SKIP_1) | instid1(VALU_DEP_3)
	v_cndmask_b32_e64 v116, v116, 0xffffff92, vcc_lo
	v_cndmask_b32_e32 v118, v128, v118, vcc_lo
	v_lshl_add_u32 v128, 0x200000, v119, -1
	v_lshlrev_b32_e64 v131, v119, 0x100000
	s_delay_alu instid0(VALU_DEP_3) | instskip(SKIP_1) | instid1(VALU_DEP_4)
	v_lshrrev_b32_e32 v129, v119, v118
	v_add_nc_u32_e32 v119, v119, v116
	v_and_b32_e32 v118, v128, v118
	s_delay_alu instid0(VALU_DEP_3) | instskip(NEXT) | instid1(VALU_DEP_2)
	v_bfe_u32 v130, v129, 21, 1
	v_cmp_eq_u32_e64 s11, v118, v131
	s_delay_alu instid0(VALU_DEP_2) | instskip(NEXT) | instid1(VALU_DEP_1)
	v_add_nc_u32_e32 v128, -1, v130
	v_cndmask_b32_e64 v118, 0, v128, s11
	v_lshrrev_b32_e32 v128, 23, v129
	s_mov_b32 s11, exec_lo
	s_delay_alu instid0(VALU_DEP_2) | instskip(NEXT) | instid1(VALU_DEP_2)
	v_add_nc_u32_e32 v118, v118, v129
	v_xor_b32_e32 v128, 1, v128
	s_delay_alu instid0(VALU_DEP_2) | instskip(NEXT) | instid1(VALU_DEP_1)
	v_and_b32_e32 v116, 0x1fffff, v118
	v_add_nc_u32_e32 v118, v116, v129
                                        ; implicit-def: $vgpr116
	s_delay_alu instid0(VALU_DEP_3)
	v_cmpx_ne_u32_e64 v119, v128
	s_xor_b32 s11, exec_lo, s11
; %bb.753:                              ;   in Loop: Header=BB2_534 Depth=2
	s_delay_alu instid0(VALU_DEP_2) | instskip(SKIP_2) | instid1(VALU_DEP_2)
	v_cmp_lt_u32_e32 vcc_lo, 0xffffff, v118
	v_sub_nc_u32_e32 v116, v119, v128
	v_cndmask_b32_e64 v119, 0, 1, vcc_lo
	v_add_co_ci_u32_e32 v116, vcc_lo, 0, v116, vcc_lo
	s_delay_alu instid0(VALU_DEP_2)
	v_lshrrev_b32_e32 v118, v119, v118
; %bb.754:                              ;   in Loop: Header=BB2_534 Depth=2
	s_and_not1_saveexec_b32 s11, s11
; %bb.755:                              ;   in Loop: Header=BB2_534 Depth=2
	s_delay_alu instid0(VALU_DEP_1)
	v_bfe_u32 v116, v118, 23, 1
; %bb.756:                              ;   in Loop: Header=BB2_534 Depth=2
	s_or_b32 exec_lo, exec_lo, s11
	v_lshrrev_b32_e32 v118, 21, v118
	s_delay_alu instid0(VALU_DEP_2) | instskip(SKIP_2) | instid1(VALU_DEP_2)
	v_cmp_gt_i32_e32 vcc_lo, 32, v116
	v_min_i32_e32 v119, 31, v116
	v_lshrrev_b32_e32 v117, 24, v117
	v_dual_cndmask_b32 v118, 3, v118 :: v_dual_lshlrev_b32 v119, 2, v119
	s_delay_alu instid0(VALU_DEP_2) | instskip(NEXT) | instid1(VALU_DEP_2)
	v_and_b32_e32 v117, 0x80, v117
	v_or_b32_e32 v116, v116, v118
	v_and_b32_e32 v128, 3, v118
	s_delay_alu instid0(VALU_DEP_2) | instskip(SKIP_1) | instid1(VALU_DEP_1)
	v_cmp_ne_u32_e32 vcc_lo, 0, v116
	v_and_b32_e32 v119, 0xfc, v119
	v_or3_b32 v117, v117, v119, v128
	s_delay_alu instid0(VALU_DEP_1) | instskip(NEXT) | instid1(VALU_DEP_1)
	v_lshlrev_b32_e32 v117, 8, v117
	v_cndmask_b32_e32 v116, 0, v117, vcc_lo
.LBB2_757:                              ;   in Loop: Header=BB2_534 Depth=2
	s_or_b32 exec_lo, exec_lo, s26
.LBB2_758:                              ;   in Loop: Header=BB2_534 Depth=2
	s_delay_alu instid0(SALU_CYCLE_1) | instskip(SKIP_3) | instid1(VALU_DEP_1)
	s_or_b32 exec_lo, exec_lo, s25
	v_lshrrev_b32_e32 v118, 16, v17
	s_mov_b32 s11, 0
	s_mov_b32 s26, exec_lo
                                        ; implicit-def: $sgpr25
	v_and_b32_e32 v119, 0xff, v118
	s_delay_alu instid0(VALU_DEP_1)
	v_cmpx_lt_i16_e32 0x7f, v119
	s_xor_b32 s26, exec_lo, s26
	s_cbranch_execnz .LBB2_900
; %bb.759:                              ;   in Loop: Header=BB2_534 Depth=2
	s_or_saveexec_b32 s26, s26
	v_mov_b32_e32 v117, s25
	s_xor_b32 exec_lo, exec_lo, s26
	s_cbranch_execnz .LBB2_903
.LBB2_760:                              ;   in Loop: Header=BB2_534 Depth=2
	s_or_b32 exec_lo, exec_lo, s26
	s_and_saveexec_b32 s25, s11
	s_cbranch_execz .LBB2_762
.LBB2_761:                              ;   in Loop: Header=BB2_534 Depth=2
	v_bfe_u32 v117, v17, 16, 2
	v_lshlrev_b32_e32 v129, 8, v17
	s_delay_alu instid0(VALU_DEP_2) | instskip(NEXT) | instid1(VALU_DEP_1)
	v_clz_i32_u32_e32 v119, v117
	v_min_u32_e32 v119, 32, v119
	s_delay_alu instid0(VALU_DEP_1) | instskip(SKIP_1) | instid1(VALU_DEP_2)
	v_subrev_nc_u32_e32 v128, 29, v119
	v_sub_nc_u32_e32 v119, 30, v119
	v_lshlrev_b32_e32 v118, v128, v118
	v_bfe_u32 v128, v17, 18, 5
	s_delay_alu instid0(VALU_DEP_1) | instskip(NEXT) | instid1(VALU_DEP_3)
	v_cmp_eq_u32_e32 vcc_lo, 0, v128
	v_dual_cndmask_b32 v119, v128, v119 :: v_dual_and_b32 v118, 3, v118
	s_delay_alu instid0(VALU_DEP_1) | instskip(NEXT) | instid1(VALU_DEP_2)
	v_dual_cndmask_b32 v117, v117, v118 :: v_dual_and_b32 v118, 0x80000000, v129
	v_lshl_add_u32 v119, v119, 23, 0x37800000
	s_delay_alu instid0(VALU_DEP_2) | instskip(NEXT) | instid1(VALU_DEP_1)
	v_lshlrev_b32_e32 v117, 21, v117
	v_or3_b32 v117, v118, v119, v117
.LBB2_762:                              ;   in Loop: Header=BB2_534 Depth=2
	s_or_b32 exec_lo, exec_lo, s25
	v_lshrrev_b32_e32 v118, 16, v13
	s_mov_b32 s11, 0
	s_mov_b32 s26, exec_lo
                                        ; implicit-def: $sgpr25
	s_delay_alu instid0(VALU_DEP_1) | instskip(NEXT) | instid1(VALU_DEP_1)
	v_and_b32_e32 v128, 0xff, v118
	v_cmpx_lt_i16_e64 0x7f, v128
	s_xor_b32 s26, exec_lo, s26
	s_cbranch_execnz .LBB2_904
; %bb.763:                              ;   in Loop: Header=BB2_534 Depth=2
	s_or_saveexec_b32 s26, s26
	v_mov_b32_e32 v119, s25
	s_xor_b32 exec_lo, exec_lo, s26
	s_cbranch_execnz .LBB2_907
.LBB2_764:                              ;   in Loop: Header=BB2_534 Depth=2
	s_or_b32 exec_lo, exec_lo, s26
	s_and_saveexec_b32 s25, s11
	s_cbranch_execz .LBB2_766
.LBB2_765:                              ;   in Loop: Header=BB2_534 Depth=2
	v_bfe_u32 v119, v13, 16, 2
	v_lshlrev_b32_e32 v130, 8, v13
	s_delay_alu instid0(VALU_DEP_2) | instskip(NEXT) | instid1(VALU_DEP_1)
	v_clz_i32_u32_e32 v128, v119
	v_min_u32_e32 v128, 32, v128
	s_delay_alu instid0(VALU_DEP_1) | instskip(SKIP_1) | instid1(VALU_DEP_2)
	v_subrev_nc_u32_e32 v129, 29, v128
	v_sub_nc_u32_e32 v128, 30, v128
	v_lshlrev_b32_e32 v118, v129, v118
	v_bfe_u32 v129, v13, 18, 5
	s_delay_alu instid0(VALU_DEP_2) | instskip(NEXT) | instid1(VALU_DEP_2)
	v_and_b32_e32 v118, 3, v118
	v_cmp_eq_u32_e32 vcc_lo, 0, v129
	v_cndmask_b32_e32 v128, v129, v128, vcc_lo
	s_delay_alu instid0(VALU_DEP_3) | instskip(SKIP_1) | instid1(VALU_DEP_3)
	v_cndmask_b32_e32 v118, v119, v118, vcc_lo
	v_and_b32_e32 v119, 0x80000000, v130
	v_lshl_add_u32 v128, v128, 23, 0x37800000
	s_delay_alu instid0(VALU_DEP_3) | instskip(NEXT) | instid1(VALU_DEP_1)
	v_lshlrev_b32_e32 v118, 21, v118
	v_or3_b32 v119, v119, v128, v118
.LBB2_766:                              ;   in Loop: Header=BB2_534 Depth=2
	s_or_b32 exec_lo, exec_lo, s25
	s_delay_alu instid0(VALU_DEP_1) | instskip(NEXT) | instid1(VALU_DEP_1)
	v_mul_f32_e32 v118, v117, v119
	v_and_b32_e32 v117, 0x7f800000, v118
	s_delay_alu instid0(VALU_DEP_1)
	v_cmp_ne_u32_e32 vcc_lo, 0x7f800000, v117
	v_mov_b32_e32 v117, 0x80
	s_and_saveexec_b32 s25, vcc_lo
	s_cbranch_execz .LBB2_774
; %bb.767:                              ;   in Loop: Header=BB2_534 Depth=2
	v_mov_b32_e32 v117, 0
	s_mov_b32 s26, exec_lo
	v_cmpx_ne_u32_e32 0, v118
	s_cbranch_execz .LBB2_773
; %bb.768:                              ;   in Loop: Header=BB2_534 Depth=2
	v_bfe_u32 v117, v118, 23, 8
	s_delay_alu instid0(VALU_DEP_1) | instskip(SKIP_1) | instid1(VALU_DEP_2)
	v_sub_nc_u32_e32 v128, 0x70, v117
	v_cmp_gt_u32_e32 vcc_lo, 0x71, v117
	v_dual_cndmask_b32 v128, 0, v128 :: v_dual_and_b32 v119, 0x7fffff, v118
	s_delay_alu instid0(VALU_DEP_1) | instskip(SKIP_2) | instid1(VALU_DEP_4)
	v_or_b32_e32 v129, 0x800000, v119
	v_cmp_eq_u32_e32 vcc_lo, 0, v117
	v_add_nc_u32_e32 v117, 0xffffff91, v117
	v_cndmask_b32_e64 v128, v128, 0x6f, vcc_lo
	s_delay_alu instid0(VALU_DEP_2) | instskip(SKIP_1) | instid1(VALU_DEP_3)
	v_cndmask_b32_e64 v117, v117, 0xffffff92, vcc_lo
	v_cndmask_b32_e32 v119, v129, v119, vcc_lo
	v_lshl_add_u32 v129, 0x200000, v128, -1
	v_lshlrev_b32_e64 v132, v128, 0x100000
	s_delay_alu instid0(VALU_DEP_3) | instskip(SKIP_1) | instid1(VALU_DEP_4)
	v_lshrrev_b32_e32 v130, v128, v119
	v_add_nc_u32_e32 v128, v128, v117
	v_and_b32_e32 v119, v129, v119
	s_delay_alu instid0(VALU_DEP_3) | instskip(NEXT) | instid1(VALU_DEP_2)
	v_bfe_u32 v131, v130, 21, 1
	v_cmp_eq_u32_e64 s11, v119, v132
	s_delay_alu instid0(VALU_DEP_2) | instskip(NEXT) | instid1(VALU_DEP_1)
	v_add_nc_u32_e32 v129, -1, v131
	v_cndmask_b32_e64 v119, 0, v129, s11
	v_lshrrev_b32_e32 v129, 23, v130
	s_mov_b32 s11, exec_lo
	s_delay_alu instid0(VALU_DEP_2) | instskip(NEXT) | instid1(VALU_DEP_2)
	v_add_nc_u32_e32 v119, v119, v130
	v_xor_b32_e32 v129, 1, v129
	s_delay_alu instid0(VALU_DEP_2) | instskip(NEXT) | instid1(VALU_DEP_1)
	v_and_b32_e32 v117, 0x1fffff, v119
	v_add_nc_u32_e32 v119, v117, v130
                                        ; implicit-def: $vgpr117
	s_delay_alu instid0(VALU_DEP_3)
	v_cmpx_ne_u32_e64 v128, v129
	s_xor_b32 s11, exec_lo, s11
; %bb.769:                              ;   in Loop: Header=BB2_534 Depth=2
	s_delay_alu instid0(VALU_DEP_2) | instskip(SKIP_2) | instid1(VALU_DEP_2)
	v_cmp_lt_u32_e32 vcc_lo, 0xffffff, v119
	v_sub_nc_u32_e32 v117, v128, v129
	v_cndmask_b32_e64 v128, 0, 1, vcc_lo
	v_add_co_ci_u32_e32 v117, vcc_lo, 0, v117, vcc_lo
	s_delay_alu instid0(VALU_DEP_2)
	v_lshrrev_b32_e32 v119, v128, v119
; %bb.770:                              ;   in Loop: Header=BB2_534 Depth=2
	s_and_not1_saveexec_b32 s11, s11
; %bb.771:                              ;   in Loop: Header=BB2_534 Depth=2
	s_delay_alu instid0(VALU_DEP_1)
	v_bfe_u32 v117, v119, 23, 1
; %bb.772:                              ;   in Loop: Header=BB2_534 Depth=2
	s_or_b32 exec_lo, exec_lo, s11
	v_lshrrev_b32_e32 v119, 21, v119
	s_delay_alu instid0(VALU_DEP_2) | instskip(SKIP_2) | instid1(VALU_DEP_2)
	v_cmp_gt_i32_e32 vcc_lo, 32, v117
	v_min_i32_e32 v128, 31, v117
	v_lshrrev_b32_e32 v118, 24, v118
	v_dual_cndmask_b32 v119, 3, v119 :: v_dual_lshlrev_b32 v128, 2, v128
	s_delay_alu instid0(VALU_DEP_2) | instskip(NEXT) | instid1(VALU_DEP_2)
	v_and_b32_e32 v118, 0x80, v118
	v_or_b32_e32 v117, v117, v119
	v_and_b32_e32 v129, 3, v119
	s_delay_alu instid0(VALU_DEP_2) | instskip(SKIP_1) | instid1(VALU_DEP_1)
	v_cmp_ne_u32_e32 vcc_lo, 0, v117
	v_and_b32_e32 v128, 0xfc, v128
	v_or3_b32 v118, v128, v118, v129
	s_delay_alu instid0(VALU_DEP_1)
	v_cndmask_b32_e32 v117, 0, v118, vcc_lo
.LBB2_773:                              ;   in Loop: Header=BB2_534 Depth=2
	s_or_b32 exec_lo, exec_lo, s26
.LBB2_774:                              ;   in Loop: Header=BB2_534 Depth=2
	s_delay_alu instid0(SALU_CYCLE_1) | instskip(SKIP_3) | instid1(VALU_DEP_1)
	s_or_b32 exec_lo, exec_lo, s25
	v_lshrrev_b32_e32 v119, 24, v17
	s_mov_b32 s11, 0
	s_mov_b32 s26, exec_lo
                                        ; implicit-def: $sgpr25
	v_cmpx_lt_i16_e32 0x7f, v119
	s_xor_b32 s26, exec_lo, s26
	s_cbranch_execnz .LBB2_908
; %bb.775:                              ;   in Loop: Header=BB2_534 Depth=2
	s_or_saveexec_b32 s26, s26
	v_mov_b32_e32 v118, s25
	s_xor_b32 exec_lo, exec_lo, s26
	s_cbranch_execnz .LBB2_911
.LBB2_776:                              ;   in Loop: Header=BB2_534 Depth=2
	s_or_b32 exec_lo, exec_lo, s26
	s_and_saveexec_b32 s25, s11
	s_cbranch_execz .LBB2_778
.LBB2_777:                              ;   in Loop: Header=BB2_534 Depth=2
	v_bfe_u32 v118, v17, 24, 2
	s_delay_alu instid0(VALU_DEP_1) | instskip(NEXT) | instid1(VALU_DEP_1)
	v_clz_i32_u32_e32 v128, v118
	v_min_u32_e32 v128, 32, v128
	s_delay_alu instid0(VALU_DEP_1) | instskip(SKIP_1) | instid1(VALU_DEP_2)
	v_subrev_nc_u32_e32 v129, 29, v128
	v_sub_nc_u32_e32 v128, 30, v128
	v_lshlrev_b32_e32 v119, v129, v119
	v_bfe_u32 v129, v17, 26, 5
	v_and_b32_e32 v17, 0x80000000, v17
	s_delay_alu instid0(VALU_DEP_2) | instskip(NEXT) | instid1(VALU_DEP_4)
	v_cmp_eq_u32_e32 vcc_lo, 0, v129
	v_dual_cndmask_b32 v128, v129, v128 :: v_dual_and_b32 v119, 3, v119
	s_delay_alu instid0(VALU_DEP_1) | instskip(NEXT) | instid1(VALU_DEP_2)
	v_cndmask_b32_e32 v118, v118, v119, vcc_lo
	v_lshl_add_u32 v119, v128, 23, 0x37800000
	s_delay_alu instid0(VALU_DEP_2) | instskip(NEXT) | instid1(VALU_DEP_1)
	v_lshlrev_b32_e32 v118, 21, v118
	v_or3_b32 v118, v17, v119, v118
.LBB2_778:                              ;   in Loop: Header=BB2_534 Depth=2
	s_or_b32 exec_lo, exec_lo, s25
	v_lshrrev_b32_e32 v17, 24, v13
	s_mov_b32 s11, 0
	s_mov_b32 s26, exec_lo
                                        ; implicit-def: $sgpr25
	s_delay_alu instid0(VALU_DEP_1)
	v_cmpx_lt_i16_e32 0x7f, v17
	s_xor_b32 s26, exec_lo, s26
	s_cbranch_execnz .LBB2_912
; %bb.779:                              ;   in Loop: Header=BB2_534 Depth=2
	s_or_saveexec_b32 s26, s26
	v_mov_b32_e32 v119, s25
	s_xor_b32 exec_lo, exec_lo, s26
	s_cbranch_execnz .LBB2_915
.LBB2_780:                              ;   in Loop: Header=BB2_534 Depth=2
	s_or_b32 exec_lo, exec_lo, s26
	s_and_saveexec_b32 s25, s11
	s_cbranch_execz .LBB2_782
.LBB2_781:                              ;   in Loop: Header=BB2_534 Depth=2
	v_bfe_u32 v119, v13, 24, 2
	s_delay_alu instid0(VALU_DEP_1) | instskip(NEXT) | instid1(VALU_DEP_1)
	v_clz_i32_u32_e32 v128, v119
	v_min_u32_e32 v128, 32, v128
	s_delay_alu instid0(VALU_DEP_1) | instskip(SKIP_1) | instid1(VALU_DEP_2)
	v_subrev_nc_u32_e32 v129, 29, v128
	v_sub_nc_u32_e32 v128, 30, v128
	v_lshlrev_b32_e32 v17, v129, v17
	v_bfe_u32 v129, v13, 26, 5
	v_and_b32_e32 v13, 0x80000000, v13
	s_delay_alu instid0(VALU_DEP_2) | instskip(NEXT) | instid1(VALU_DEP_4)
	v_cmp_eq_u32_e32 vcc_lo, 0, v129
	v_dual_cndmask_b32 v128, v129, v128 :: v_dual_and_b32 v17, 3, v17
	s_delay_alu instid0(VALU_DEP_1) | instskip(NEXT) | instid1(VALU_DEP_2)
	v_cndmask_b32_e32 v17, v119, v17, vcc_lo
	v_lshl_add_u32 v119, v128, 23, 0x37800000
	s_delay_alu instid0(VALU_DEP_2) | instskip(NEXT) | instid1(VALU_DEP_1)
	v_lshlrev_b32_e32 v17, 21, v17
	v_or3_b32 v119, v13, v119, v17
.LBB2_782:                              ;   in Loop: Header=BB2_534 Depth=2
	s_or_b32 exec_lo, exec_lo, s25
	s_delay_alu instid0(VALU_DEP_1) | instskip(NEXT) | instid1(VALU_DEP_1)
	v_mul_f32_e32 v13, v118, v119
	v_and_b32_e32 v17, 0x7f800000, v13
	s_delay_alu instid0(VALU_DEP_1)
	v_cmp_ne_u32_e32 vcc_lo, 0x7f800000, v17
	v_mov_b32_e32 v17, 0x8000
	s_and_saveexec_b32 s25, vcc_lo
	s_cbranch_execz .LBB2_533
; %bb.783:                              ;   in Loop: Header=BB2_534 Depth=2
	v_mov_b32_e32 v17, 0
	s_mov_b32 s26, exec_lo
	v_cmpx_ne_u32_e32 0, v13
	s_cbranch_execz .LBB2_532
; %bb.784:                              ;   in Loop: Header=BB2_534 Depth=2
	v_bfe_u32 v17, v13, 23, 8
	s_delay_alu instid0(VALU_DEP_1) | instskip(SKIP_1) | instid1(VALU_DEP_2)
	v_sub_nc_u32_e32 v119, 0x70, v17
	v_cmp_gt_u32_e32 vcc_lo, 0x71, v17
	v_dual_cndmask_b32 v119, 0, v119 :: v_dual_and_b32 v118, 0x7fffff, v13
	s_delay_alu instid0(VALU_DEP_1) | instskip(SKIP_2) | instid1(VALU_DEP_4)
	v_or_b32_e32 v128, 0x800000, v118
	v_cmp_eq_u32_e32 vcc_lo, 0, v17
	v_add_nc_u32_e32 v17, 0xffffff91, v17
	v_cndmask_b32_e64 v119, v119, 0x6f, vcc_lo
	s_delay_alu instid0(VALU_DEP_4) | instskip(NEXT) | instid1(VALU_DEP_3)
	v_cndmask_b32_e32 v118, v128, v118, vcc_lo
	v_cndmask_b32_e64 v17, v17, 0xffffff92, vcc_lo
	s_delay_alu instid0(VALU_DEP_3) | instskip(NEXT) | instid1(VALU_DEP_3)
	v_lshl_add_u32 v128, 0x200000, v119, -1
	v_lshrrev_b32_e32 v129, v119, v118
	v_lshlrev_b32_e64 v131, v119, 0x100000
	s_delay_alu instid0(VALU_DEP_4) | instskip(NEXT) | instid1(VALU_DEP_4)
	v_add_nc_u32_e32 v119, v119, v17
	v_and_b32_e32 v118, v128, v118
	s_delay_alu instid0(VALU_DEP_4) | instskip(NEXT) | instid1(VALU_DEP_2)
	v_bfe_u32 v130, v129, 21, 1
	v_cmp_eq_u32_e64 s11, v118, v131
	s_delay_alu instid0(VALU_DEP_2) | instskip(NEXT) | instid1(VALU_DEP_1)
	v_add_nc_u32_e32 v128, -1, v130
	v_cndmask_b32_e64 v118, 0, v128, s11
	v_lshrrev_b32_e32 v128, 23, v129
	s_mov_b32 s11, exec_lo
	s_delay_alu instid0(VALU_DEP_2) | instskip(NEXT) | instid1(VALU_DEP_2)
	v_add_nc_u32_e32 v118, v118, v129
	v_xor_b32_e32 v128, 1, v128
	s_delay_alu instid0(VALU_DEP_2) | instskip(NEXT) | instid1(VALU_DEP_1)
	v_and_b32_e32 v17, 0x1fffff, v118
	v_add_nc_u32_e32 v118, v17, v129
                                        ; implicit-def: $vgpr17
	s_delay_alu instid0(VALU_DEP_3)
	v_cmpx_ne_u32_e64 v119, v128
	s_xor_b32 s11, exec_lo, s11
; %bb.785:                              ;   in Loop: Header=BB2_534 Depth=2
	s_delay_alu instid0(VALU_DEP_2) | instskip(SKIP_2) | instid1(VALU_DEP_2)
	v_cmp_lt_u32_e32 vcc_lo, 0xffffff, v118
	v_sub_nc_u32_e32 v17, v119, v128
	v_cndmask_b32_e64 v119, 0, 1, vcc_lo
	v_add_co_ci_u32_e32 v17, vcc_lo, 0, v17, vcc_lo
	s_delay_alu instid0(VALU_DEP_2)
	v_lshrrev_b32_e32 v118, v119, v118
; %bb.786:                              ;   in Loop: Header=BB2_534 Depth=2
	s_and_not1_saveexec_b32 s11, s11
	s_cbranch_execz .LBB2_531
; %bb.787:                              ;   in Loop: Header=BB2_534 Depth=2
	s_delay_alu instid0(VALU_DEP_1)
	v_bfe_u32 v17, v118, 23, 1
	s_branch .LBB2_531
.LBB2_788:                              ;   in Loop: Header=BB2_534 Depth=2
	s_mov_b32 s11, -1
	s_mov_b32 s27, exec_lo
                                        ; implicit-def: $sgpr25
	v_cmpx_eq_u16_e32 0x80, v102
; %bb.789:                              ;   in Loop: Header=BB2_534 Depth=2
	s_mov_b32 s25, 0x7f800001
	s_xor_b32 s11, exec_lo, -1
; %bb.790:                              ;   in Loop: Header=BB2_534 Depth=2
	s_or_b32 exec_lo, exec_lo, s27
	s_delay_alu instid0(SALU_CYCLE_1)
	s_and_b32 s11, s11, exec_lo
                                        ; implicit-def: $vgpr102
	s_or_saveexec_b32 s26, s26
	v_mov_b32_e32 v101, s25
	s_xor_b32 exec_lo, exec_lo, s26
	s_cbranch_execz .LBB2_536
.LBB2_791:                              ;   in Loop: Header=BB2_534 Depth=2
	v_cmp_ne_u16_e32 vcc_lo, 0, v102
	v_mov_b32_e32 v101, 0
	s_and_not1_b32 s11, s11, exec_lo
	s_and_b32 s25, vcc_lo, exec_lo
	s_delay_alu instid0(SALU_CYCLE_1)
	s_or_b32 s11, s11, s25
	s_or_b32 exec_lo, exec_lo, s26
	s_and_saveexec_b32 s25, s11
	s_cbranch_execnz .LBB2_537
	s_branch .LBB2_538
.LBB2_792:                              ;   in Loop: Header=BB2_534 Depth=2
	s_mov_b32 s11, -1
	s_mov_b32 s27, exec_lo
                                        ; implicit-def: $sgpr25
	v_cmpx_eq_u16_e32 0x80, v103
; %bb.793:                              ;   in Loop: Header=BB2_534 Depth=2
	s_mov_b32 s25, 0x7f800001
	s_xor_b32 s11, exec_lo, -1
; %bb.794:                              ;   in Loop: Header=BB2_534 Depth=2
	s_or_b32 exec_lo, exec_lo, s27
	s_delay_alu instid0(SALU_CYCLE_1)
	s_and_b32 s11, s11, exec_lo
                                        ; implicit-def: $vgpr103
	s_or_saveexec_b32 s26, s26
	v_mov_b32_e32 v102, s25
	s_xor_b32 exec_lo, exec_lo, s26
	s_cbranch_execz .LBB2_540
.LBB2_795:                              ;   in Loop: Header=BB2_534 Depth=2
	v_cmp_ne_u16_e32 vcc_lo, 0, v103
	v_mov_b32_e32 v102, 0
	s_and_not1_b32 s11, s11, exec_lo
	s_and_b32 s25, vcc_lo, exec_lo
	s_delay_alu instid0(SALU_CYCLE_1)
	s_or_b32 s11, s11, s25
	s_or_b32 exec_lo, exec_lo, s26
	s_and_saveexec_b32 s25, s11
	s_cbranch_execnz .LBB2_541
	s_branch .LBB2_542
.LBB2_796:                              ;   in Loop: Header=BB2_534 Depth=2
	s_mov_b32 s11, -1
	s_mov_b32 s27, exec_lo
                                        ; implicit-def: $sgpr25
	v_cmpx_eq_u16_e32 0x80, v103
; %bb.797:                              ;   in Loop: Header=BB2_534 Depth=2
	s_mov_b32 s25, 0x7f800001
	s_xor_b32 s11, exec_lo, -1
; %bb.798:                              ;   in Loop: Header=BB2_534 Depth=2
	s_or_b32 exec_lo, exec_lo, s27
	s_delay_alu instid0(SALU_CYCLE_1)
	s_and_b32 s11, s11, exec_lo
	s_or_saveexec_b32 s26, s26
	v_mov_b32_e32 v102, s25
	s_xor_b32 exec_lo, exec_lo, s26
	s_cbranch_execz .LBB2_552
.LBB2_799:                              ;   in Loop: Header=BB2_534 Depth=2
	v_cmp_ne_u16_e32 vcc_lo, 0, v103
	v_mov_b32_e32 v102, 0
	s_and_not1_b32 s11, s11, exec_lo
	s_and_b32 s25, vcc_lo, exec_lo
	s_delay_alu instid0(SALU_CYCLE_1)
	s_or_b32 s11, s11, s25
	s_or_b32 exec_lo, exec_lo, s26
	s_and_saveexec_b32 s25, s11
	s_cbranch_execnz .LBB2_553
	s_branch .LBB2_554
.LBB2_800:                              ;   in Loop: Header=BB2_534 Depth=2
	s_mov_b32 s11, -1
	s_mov_b32 s27, exec_lo
                                        ; implicit-def: $sgpr25
	v_cmpx_eq_u16_e32 0x80, v103
; %bb.801:                              ;   in Loop: Header=BB2_534 Depth=2
	s_mov_b32 s25, 0x7f800001
	s_xor_b32 s11, exec_lo, -1
; %bb.802:                              ;   in Loop: Header=BB2_534 Depth=2
	s_or_b32 exec_lo, exec_lo, s27
	s_delay_alu instid0(SALU_CYCLE_1)
	s_and_b32 s11, s11, exec_lo
	s_or_saveexec_b32 s26, s26
	v_mov_b32_e32 v112, s25
	s_xor_b32 exec_lo, exec_lo, s26
	s_cbranch_execz .LBB2_556
.LBB2_803:                              ;   in Loop: Header=BB2_534 Depth=2
	v_cmp_ne_u16_e32 vcc_lo, 0, v103
	v_mov_b32_e32 v112, 0
	s_and_not1_b32 s11, s11, exec_lo
	s_and_b32 s25, vcc_lo, exec_lo
	s_delay_alu instid0(SALU_CYCLE_1)
	s_or_b32 s11, s11, s25
	s_or_b32 exec_lo, exec_lo, s26
	s_and_saveexec_b32 s25, s11
	s_cbranch_execnz .LBB2_557
	s_branch .LBB2_558
.LBB2_804:                              ;   in Loop: Header=BB2_534 Depth=2
	s_mov_b32 s11, -1
	s_mov_b32 s27, exec_lo
                                        ; implicit-def: $sgpr25
	v_cmpx_eq_u16_e32 0x80, v113
; %bb.805:                              ;   in Loop: Header=BB2_534 Depth=2
	s_mov_b32 s25, 0x7f800001
	s_xor_b32 s11, exec_lo, -1
; %bb.806:                              ;   in Loop: Header=BB2_534 Depth=2
	s_or_b32 exec_lo, exec_lo, s27
	s_delay_alu instid0(SALU_CYCLE_1)
	s_and_b32 s11, s11, exec_lo
                                        ; implicit-def: $vgpr113
	s_or_saveexec_b32 s26, s26
	v_mov_b32_e32 v103, s25
	s_xor_b32 exec_lo, exec_lo, s26
	s_cbranch_execz .LBB2_568
.LBB2_807:                              ;   in Loop: Header=BB2_534 Depth=2
	v_cmp_ne_u16_e32 vcc_lo, 0, v113
	v_mov_b32_e32 v103, 0
	s_and_not1_b32 s11, s11, exec_lo
	s_and_b32 s25, vcc_lo, exec_lo
	s_delay_alu instid0(SALU_CYCLE_1)
	s_or_b32 s11, s11, s25
	s_or_b32 exec_lo, exec_lo, s26
	s_and_saveexec_b32 s25, s11
	s_cbranch_execnz .LBB2_569
	s_branch .LBB2_570
.LBB2_808:                              ;   in Loop: Header=BB2_534 Depth=2
	s_mov_b32 s11, -1
	s_mov_b32 s27, exec_lo
                                        ; implicit-def: $sgpr25
	v_cmpx_eq_u16_e32 0x80, v114
; %bb.809:                              ;   in Loop: Header=BB2_534 Depth=2
	s_mov_b32 s25, 0x7f800001
	s_xor_b32 s11, exec_lo, -1
; %bb.810:                              ;   in Loop: Header=BB2_534 Depth=2
	s_or_b32 exec_lo, exec_lo, s27
	s_delay_alu instid0(SALU_CYCLE_1)
	s_and_b32 s11, s11, exec_lo
                                        ; implicit-def: $vgpr114
	s_or_saveexec_b32 s26, s26
	v_mov_b32_e32 v113, s25
	s_xor_b32 exec_lo, exec_lo, s26
	s_cbranch_execz .LBB2_572
.LBB2_811:                              ;   in Loop: Header=BB2_534 Depth=2
	v_cmp_ne_u16_e32 vcc_lo, 0, v114
	v_mov_b32_e32 v113, 0
	s_and_not1_b32 s11, s11, exec_lo
	s_and_b32 s25, vcc_lo, exec_lo
	s_delay_alu instid0(SALU_CYCLE_1)
	s_or_b32 s11, s11, s25
	s_or_b32 exec_lo, exec_lo, s26
	s_and_saveexec_b32 s25, s11
	s_cbranch_execnz .LBB2_573
	s_branch .LBB2_574
.LBB2_812:                              ;   in Loop: Header=BB2_534 Depth=2
	s_mov_b32 s11, -1
	s_mov_b32 s27, exec_lo
                                        ; implicit-def: $sgpr25
	v_cmpx_eq_u16_e32 0x80, v113
; %bb.813:                              ;   in Loop: Header=BB2_534 Depth=2
	s_mov_b32 s25, 0x7f800001
	s_xor_b32 s11, exec_lo, -1
; %bb.814:                              ;   in Loop: Header=BB2_534 Depth=2
	s_or_b32 exec_lo, exec_lo, s27
	s_delay_alu instid0(SALU_CYCLE_1)
	s_and_b32 s11, s11, exec_lo
	s_or_saveexec_b32 s26, s26
	v_mov_b32_e32 v112, s25
	s_xor_b32 exec_lo, exec_lo, s26
	s_cbranch_execz .LBB2_584
.LBB2_815:                              ;   in Loop: Header=BB2_534 Depth=2
	v_cmp_ne_u16_e32 vcc_lo, 0, v113
	v_mov_b32_e32 v112, 0
	s_and_not1_b32 s11, s11, exec_lo
	s_and_b32 s25, vcc_lo, exec_lo
	s_delay_alu instid0(SALU_CYCLE_1)
	s_or_b32 s11, s11, s25
	s_or_b32 exec_lo, exec_lo, s26
	s_and_saveexec_b32 s25, s11
	s_cbranch_execnz .LBB2_585
	s_branch .LBB2_586
.LBB2_816:                              ;   in Loop: Header=BB2_534 Depth=2
	s_mov_b32 s11, -1
	s_mov_b32 s27, exec_lo
                                        ; implicit-def: $sgpr25
	v_cmpx_eq_u16_e32 0x80, v14
; %bb.817:                              ;   in Loop: Header=BB2_534 Depth=2
	s_mov_b32 s25, 0x7f800001
	s_xor_b32 s11, exec_lo, -1
; %bb.818:                              ;   in Loop: Header=BB2_534 Depth=2
	s_or_b32 exec_lo, exec_lo, s27
	s_delay_alu instid0(SALU_CYCLE_1)
	s_and_b32 s11, s11, exec_lo
	s_or_saveexec_b32 s26, s26
	v_mov_b32_e32 v113, s25
	s_xor_b32 exec_lo, exec_lo, s26
	s_cbranch_execz .LBB2_588
.LBB2_819:                              ;   in Loop: Header=BB2_534 Depth=2
	v_cmp_ne_u16_e32 vcc_lo, 0, v14
	v_mov_b32_e32 v113, 0
	s_and_not1_b32 s11, s11, exec_lo
	s_and_b32 s25, vcc_lo, exec_lo
	s_delay_alu instid0(SALU_CYCLE_1)
	s_or_b32 s11, s11, s25
	s_or_b32 exec_lo, exec_lo, s26
	s_and_saveexec_b32 s25, s11
	s_cbranch_execnz .LBB2_589
	s_branch .LBB2_590
.LBB2_820:                              ;   in Loop: Header=BB2_534 Depth=2
	s_mov_b32 s11, -1
	s_mov_b32 s27, exec_lo
                                        ; implicit-def: $sgpr25
	v_cmpx_eq_u16_e32 0x80, v112
; %bb.821:                              ;   in Loop: Header=BB2_534 Depth=2
	s_mov_b32 s25, 0x7f800001
	s_xor_b32 s11, exec_lo, -1
; %bb.822:                              ;   in Loop: Header=BB2_534 Depth=2
	s_or_b32 exec_lo, exec_lo, s27
	s_delay_alu instid0(SALU_CYCLE_1)
	s_and_b32 s11, s11, exec_lo
                                        ; implicit-def: $vgpr112
	s_or_saveexec_b32 s26, s26
	v_mov_b32_e32 v14, s25
	s_xor_b32 exec_lo, exec_lo, s26
	s_cbranch_execz .LBB2_600
.LBB2_823:                              ;   in Loop: Header=BB2_534 Depth=2
	v_cmp_ne_u16_e32 vcc_lo, 0, v112
	v_mov_b32_e32 v14, 0
	s_and_not1_b32 s11, s11, exec_lo
	s_and_b32 s25, vcc_lo, exec_lo
	s_delay_alu instid0(SALU_CYCLE_1)
	s_or_b32 s11, s11, s25
	s_or_b32 exec_lo, exec_lo, s26
	s_and_saveexec_b32 s25, s11
	s_cbranch_execnz .LBB2_601
	s_branch .LBB2_602
.LBB2_824:                              ;   in Loop: Header=BB2_534 Depth=2
	s_mov_b32 s11, -1
	s_mov_b32 s27, exec_lo
                                        ; implicit-def: $sgpr25
	v_cmpx_eq_u16_e32 0x80, v113
; %bb.825:                              ;   in Loop: Header=BB2_534 Depth=2
	s_mov_b32 s25, 0x7f800001
	s_xor_b32 s11, exec_lo, -1
; %bb.826:                              ;   in Loop: Header=BB2_534 Depth=2
	s_or_b32 exec_lo, exec_lo, s27
	s_delay_alu instid0(SALU_CYCLE_1)
	s_and_b32 s11, s11, exec_lo
                                        ; implicit-def: $vgpr113
	s_or_saveexec_b32 s26, s26
	v_mov_b32_e32 v112, s25
	s_xor_b32 exec_lo, exec_lo, s26
	s_cbranch_execz .LBB2_604
.LBB2_827:                              ;   in Loop: Header=BB2_534 Depth=2
	v_cmp_ne_u16_e32 vcc_lo, 0, v113
	v_mov_b32_e32 v112, 0
	s_and_not1_b32 s11, s11, exec_lo
	s_and_b32 s25, vcc_lo, exec_lo
	s_delay_alu instid0(SALU_CYCLE_1)
	s_or_b32 s11, s11, s25
	s_or_b32 exec_lo, exec_lo, s26
	s_and_saveexec_b32 s25, s11
	s_cbranch_execnz .LBB2_605
	s_branch .LBB2_606
.LBB2_828:                              ;   in Loop: Header=BB2_534 Depth=2
	s_mov_b32 s11, -1
	s_mov_b32 s27, exec_lo
                                        ; implicit-def: $sgpr25
	v_cmpx_eq_u16_e32 0x80, v113
; %bb.829:                              ;   in Loop: Header=BB2_534 Depth=2
	s_mov_b32 s25, 0x7f800001
	s_xor_b32 s11, exec_lo, -1
; %bb.830:                              ;   in Loop: Header=BB2_534 Depth=2
	s_or_b32 exec_lo, exec_lo, s27
	s_delay_alu instid0(SALU_CYCLE_1)
	s_and_b32 s11, s11, exec_lo
	s_or_saveexec_b32 s26, s26
	v_mov_b32_e32 v112, s25
	s_xor_b32 exec_lo, exec_lo, s26
	s_cbranch_execz .LBB2_616
.LBB2_831:                              ;   in Loop: Header=BB2_534 Depth=2
	v_cmp_ne_u16_e32 vcc_lo, 0, v113
	v_mov_b32_e32 v112, 0
	s_and_not1_b32 s11, s11, exec_lo
	s_and_b32 s25, vcc_lo, exec_lo
	s_delay_alu instid0(SALU_CYCLE_1)
	s_or_b32 s11, s11, s25
	s_or_b32 exec_lo, exec_lo, s26
	s_and_saveexec_b32 s25, s11
	s_cbranch_execnz .LBB2_617
	s_branch .LBB2_618
.LBB2_832:                              ;   in Loop: Header=BB2_534 Depth=2
	s_mov_b32 s11, -1
	s_mov_b32 s27, exec_lo
                                        ; implicit-def: $sgpr25
	v_cmpx_eq_u16_e32 0x80, v113
; %bb.833:                              ;   in Loop: Header=BB2_534 Depth=2
	s_mov_b32 s25, 0x7f800001
	s_xor_b32 s11, exec_lo, -1
; %bb.834:                              ;   in Loop: Header=BB2_534 Depth=2
	s_or_b32 exec_lo, exec_lo, s27
	s_delay_alu instid0(SALU_CYCLE_1)
	s_and_b32 s11, s11, exec_lo
	s_or_saveexec_b32 s26, s26
	v_mov_b32_e32 v114, s25
	s_xor_b32 exec_lo, exec_lo, s26
	s_cbranch_execz .LBB2_620
.LBB2_835:                              ;   in Loop: Header=BB2_534 Depth=2
	v_cmp_ne_u16_e32 vcc_lo, 0, v113
	v_mov_b32_e32 v114, 0
	s_and_not1_b32 s11, s11, exec_lo
	s_and_b32 s25, vcc_lo, exec_lo
	s_delay_alu instid0(SALU_CYCLE_1)
	s_or_b32 s11, s11, s25
	s_or_b32 exec_lo, exec_lo, s26
	s_and_saveexec_b32 s25, s11
	s_cbranch_execnz .LBB2_621
	s_branch .LBB2_622
.LBB2_836:                              ;   in Loop: Header=BB2_534 Depth=2
	s_mov_b32 s11, -1
	s_mov_b32 s27, exec_lo
                                        ; implicit-def: $sgpr25
	v_cmpx_eq_u16_e32 0x80, v115
; %bb.837:                              ;   in Loop: Header=BB2_534 Depth=2
	s_mov_b32 s25, 0x7f800001
	s_xor_b32 s11, exec_lo, -1
; %bb.838:                              ;   in Loop: Header=BB2_534 Depth=2
	s_or_b32 exec_lo, exec_lo, s27
	s_delay_alu instid0(SALU_CYCLE_1)
	s_and_b32 s11, s11, exec_lo
                                        ; implicit-def: $vgpr115
	s_or_saveexec_b32 s26, s26
	v_mov_b32_e32 v113, s25
	s_xor_b32 exec_lo, exec_lo, s26
	s_cbranch_execz .LBB2_632
.LBB2_839:                              ;   in Loop: Header=BB2_534 Depth=2
	v_cmp_ne_u16_e32 vcc_lo, 0, v115
	v_mov_b32_e32 v113, 0
	s_and_not1_b32 s11, s11, exec_lo
	s_and_b32 s25, vcc_lo, exec_lo
	s_delay_alu instid0(SALU_CYCLE_1)
	s_or_b32 s11, s11, s25
	s_or_b32 exec_lo, exec_lo, s26
	s_and_saveexec_b32 s25, s11
	s_cbranch_execnz .LBB2_633
	s_branch .LBB2_634
.LBB2_840:                              ;   in Loop: Header=BB2_534 Depth=2
	s_mov_b32 s11, -1
	s_mov_b32 s27, exec_lo
                                        ; implicit-def: $sgpr25
	v_cmpx_eq_u16_e32 0x80, v116
; %bb.841:                              ;   in Loop: Header=BB2_534 Depth=2
	s_mov_b32 s25, 0x7f800001
	s_xor_b32 s11, exec_lo, -1
; %bb.842:                              ;   in Loop: Header=BB2_534 Depth=2
	s_or_b32 exec_lo, exec_lo, s27
	s_delay_alu instid0(SALU_CYCLE_1)
	s_and_b32 s11, s11, exec_lo
                                        ; implicit-def: $vgpr116
	s_or_saveexec_b32 s26, s26
	v_mov_b32_e32 v115, s25
	s_xor_b32 exec_lo, exec_lo, s26
	s_cbranch_execz .LBB2_636
.LBB2_843:                              ;   in Loop: Header=BB2_534 Depth=2
	v_cmp_ne_u16_e32 vcc_lo, 0, v116
	v_mov_b32_e32 v115, 0
	s_and_not1_b32 s11, s11, exec_lo
	s_and_b32 s25, vcc_lo, exec_lo
	s_delay_alu instid0(SALU_CYCLE_1)
	s_or_b32 s11, s11, s25
	s_or_b32 exec_lo, exec_lo, s26
	s_and_saveexec_b32 s25, s11
	s_cbranch_execnz .LBB2_637
	s_branch .LBB2_638
.LBB2_844:                              ;   in Loop: Header=BB2_534 Depth=2
	s_mov_b32 s11, -1
	s_mov_b32 s27, exec_lo
                                        ; implicit-def: $sgpr25
	v_cmpx_eq_u16_e32 0x80, v115
; %bb.845:                              ;   in Loop: Header=BB2_534 Depth=2
	s_mov_b32 s25, 0x7f800001
	s_xor_b32 s11, exec_lo, -1
; %bb.846:                              ;   in Loop: Header=BB2_534 Depth=2
	s_or_b32 exec_lo, exec_lo, s27
	s_delay_alu instid0(SALU_CYCLE_1)
	s_and_b32 s11, s11, exec_lo
	s_or_saveexec_b32 s26, s26
	v_mov_b32_e32 v114, s25
	s_xor_b32 exec_lo, exec_lo, s26
	s_cbranch_execz .LBB2_648
.LBB2_847:                              ;   in Loop: Header=BB2_534 Depth=2
	v_cmp_ne_u16_e32 vcc_lo, 0, v115
	v_mov_b32_e32 v114, 0
	s_and_not1_b32 s11, s11, exec_lo
	s_and_b32 s25, vcc_lo, exec_lo
	s_delay_alu instid0(SALU_CYCLE_1)
	s_or_b32 s11, s11, s25
	s_or_b32 exec_lo, exec_lo, s26
	s_and_saveexec_b32 s25, s11
	s_cbranch_execnz .LBB2_649
	s_branch .LBB2_650
.LBB2_848:                              ;   in Loop: Header=BB2_534 Depth=2
	s_mov_b32 s11, -1
	s_mov_b32 s27, exec_lo
                                        ; implicit-def: $sgpr25
	v_cmpx_eq_u16_e32 0x80, v15
; %bb.849:                              ;   in Loop: Header=BB2_534 Depth=2
	s_mov_b32 s25, 0x7f800001
	s_xor_b32 s11, exec_lo, -1
; %bb.850:                              ;   in Loop: Header=BB2_534 Depth=2
	s_or_b32 exec_lo, exec_lo, s27
	s_delay_alu instid0(SALU_CYCLE_1)
	s_and_b32 s11, s11, exec_lo
	s_or_saveexec_b32 s26, s26
	v_mov_b32_e32 v115, s25
	s_xor_b32 exec_lo, exec_lo, s26
	s_cbranch_execz .LBB2_652
.LBB2_851:                              ;   in Loop: Header=BB2_534 Depth=2
	v_cmp_ne_u16_e32 vcc_lo, 0, v15
	v_mov_b32_e32 v115, 0
	s_and_not1_b32 s11, s11, exec_lo
	s_and_b32 s25, vcc_lo, exec_lo
	s_delay_alu instid0(SALU_CYCLE_1)
	s_or_b32 s11, s11, s25
	s_or_b32 exec_lo, exec_lo, s26
	s_and_saveexec_b32 s25, s11
	s_cbranch_execnz .LBB2_653
	s_branch .LBB2_654
.LBB2_852:                              ;   in Loop: Header=BB2_534 Depth=2
	s_mov_b32 s11, -1
	s_mov_b32 s27, exec_lo
                                        ; implicit-def: $sgpr25
	v_cmpx_eq_u16_e32 0x80, v114
; %bb.853:                              ;   in Loop: Header=BB2_534 Depth=2
	s_mov_b32 s25, 0x7f800001
	s_xor_b32 s11, exec_lo, -1
; %bb.854:                              ;   in Loop: Header=BB2_534 Depth=2
	s_or_b32 exec_lo, exec_lo, s27
	s_delay_alu instid0(SALU_CYCLE_1)
	s_and_b32 s11, s11, exec_lo
                                        ; implicit-def: $vgpr114
	s_or_saveexec_b32 s26, s26
	v_mov_b32_e32 v15, s25
	s_xor_b32 exec_lo, exec_lo, s26
	s_cbranch_execz .LBB2_664
.LBB2_855:                              ;   in Loop: Header=BB2_534 Depth=2
	v_cmp_ne_u16_e32 vcc_lo, 0, v114
	v_mov_b32_e32 v15, 0
	s_and_not1_b32 s11, s11, exec_lo
	s_and_b32 s25, vcc_lo, exec_lo
	s_delay_alu instid0(SALU_CYCLE_1)
	s_or_b32 s11, s11, s25
	s_or_b32 exec_lo, exec_lo, s26
	s_and_saveexec_b32 s25, s11
	s_cbranch_execnz .LBB2_665
	s_branch .LBB2_666
.LBB2_856:                              ;   in Loop: Header=BB2_534 Depth=2
	s_mov_b32 s11, -1
	s_mov_b32 s27, exec_lo
                                        ; implicit-def: $sgpr25
	v_cmpx_eq_u16_e32 0x80, v115
; %bb.857:                              ;   in Loop: Header=BB2_534 Depth=2
	s_mov_b32 s25, 0x7f800001
	s_xor_b32 s11, exec_lo, -1
; %bb.858:                              ;   in Loop: Header=BB2_534 Depth=2
	s_or_b32 exec_lo, exec_lo, s27
	s_delay_alu instid0(SALU_CYCLE_1)
	s_and_b32 s11, s11, exec_lo
                                        ; implicit-def: $vgpr115
	s_or_saveexec_b32 s26, s26
	v_mov_b32_e32 v114, s25
	s_xor_b32 exec_lo, exec_lo, s26
	s_cbranch_execz .LBB2_668
.LBB2_859:                              ;   in Loop: Header=BB2_534 Depth=2
	v_cmp_ne_u16_e32 vcc_lo, 0, v115
	v_mov_b32_e32 v114, 0
	s_and_not1_b32 s11, s11, exec_lo
	s_and_b32 s25, vcc_lo, exec_lo
	s_delay_alu instid0(SALU_CYCLE_1)
	s_or_b32 s11, s11, s25
	s_or_b32 exec_lo, exec_lo, s26
	s_and_saveexec_b32 s25, s11
	s_cbranch_execnz .LBB2_669
	s_branch .LBB2_670
.LBB2_860:                              ;   in Loop: Header=BB2_534 Depth=2
	s_mov_b32 s11, -1
	s_mov_b32 s27, exec_lo
                                        ; implicit-def: $sgpr25
	v_cmpx_eq_u16_e32 0x80, v115
; %bb.861:                              ;   in Loop: Header=BB2_534 Depth=2
	s_mov_b32 s25, 0x7f800001
	s_xor_b32 s11, exec_lo, -1
; %bb.862:                              ;   in Loop: Header=BB2_534 Depth=2
	s_or_b32 exec_lo, exec_lo, s27
	s_delay_alu instid0(SALU_CYCLE_1)
	s_and_b32 s11, s11, exec_lo
	s_or_saveexec_b32 s26, s26
	v_mov_b32_e32 v114, s25
	s_xor_b32 exec_lo, exec_lo, s26
	s_cbranch_execz .LBB2_680
.LBB2_863:                              ;   in Loop: Header=BB2_534 Depth=2
	v_cmp_ne_u16_e32 vcc_lo, 0, v115
	v_mov_b32_e32 v114, 0
	s_and_not1_b32 s11, s11, exec_lo
	s_and_b32 s25, vcc_lo, exec_lo
	s_delay_alu instid0(SALU_CYCLE_1)
	s_or_b32 s11, s11, s25
	s_or_b32 exec_lo, exec_lo, s26
	s_and_saveexec_b32 s25, s11
	s_cbranch_execnz .LBB2_681
	s_branch .LBB2_682
.LBB2_864:                              ;   in Loop: Header=BB2_534 Depth=2
	s_mov_b32 s11, -1
	s_mov_b32 s27, exec_lo
                                        ; implicit-def: $sgpr25
	v_cmpx_eq_u16_e32 0x80, v115
; %bb.865:                              ;   in Loop: Header=BB2_534 Depth=2
	s_mov_b32 s25, 0x7f800001
	s_xor_b32 s11, exec_lo, -1
; %bb.866:                              ;   in Loop: Header=BB2_534 Depth=2
	s_or_b32 exec_lo, exec_lo, s27
	s_delay_alu instid0(SALU_CYCLE_1)
	s_and_b32 s11, s11, exec_lo
	s_or_saveexec_b32 s26, s26
	v_mov_b32_e32 v116, s25
	s_xor_b32 exec_lo, exec_lo, s26
	s_cbranch_execz .LBB2_684
.LBB2_867:                              ;   in Loop: Header=BB2_534 Depth=2
	v_cmp_ne_u16_e32 vcc_lo, 0, v115
	v_mov_b32_e32 v116, 0
	s_and_not1_b32 s11, s11, exec_lo
	s_and_b32 s25, vcc_lo, exec_lo
	s_delay_alu instid0(SALU_CYCLE_1)
	s_or_b32 s11, s11, s25
	s_or_b32 exec_lo, exec_lo, s26
	s_and_saveexec_b32 s25, s11
	s_cbranch_execnz .LBB2_685
	s_branch .LBB2_686
.LBB2_868:                              ;   in Loop: Header=BB2_534 Depth=2
	s_mov_b32 s11, -1
	s_mov_b32 s27, exec_lo
                                        ; implicit-def: $sgpr25
	v_cmpx_eq_u16_e32 0x80, v117
; %bb.869:                              ;   in Loop: Header=BB2_534 Depth=2
	s_mov_b32 s25, 0x7f800001
	s_xor_b32 s11, exec_lo, -1
; %bb.870:                              ;   in Loop: Header=BB2_534 Depth=2
	s_or_b32 exec_lo, exec_lo, s27
	s_delay_alu instid0(SALU_CYCLE_1)
	s_and_b32 s11, s11, exec_lo
                                        ; implicit-def: $vgpr117
	s_or_saveexec_b32 s26, s26
	v_mov_b32_e32 v115, s25
	s_xor_b32 exec_lo, exec_lo, s26
	s_cbranch_execz .LBB2_696
.LBB2_871:                              ;   in Loop: Header=BB2_534 Depth=2
	v_cmp_ne_u16_e32 vcc_lo, 0, v117
	v_mov_b32_e32 v115, 0
	s_and_not1_b32 s11, s11, exec_lo
	s_and_b32 s25, vcc_lo, exec_lo
	s_delay_alu instid0(SALU_CYCLE_1)
	s_or_b32 s11, s11, s25
	s_or_b32 exec_lo, exec_lo, s26
	s_and_saveexec_b32 s25, s11
	s_cbranch_execnz .LBB2_697
	s_branch .LBB2_698
.LBB2_872:                              ;   in Loop: Header=BB2_534 Depth=2
	s_mov_b32 s11, -1
	s_mov_b32 s27, exec_lo
                                        ; implicit-def: $sgpr25
	v_cmpx_eq_u16_e32 0x80, v118
; %bb.873:                              ;   in Loop: Header=BB2_534 Depth=2
	s_mov_b32 s25, 0x7f800001
	s_xor_b32 s11, exec_lo, -1
; %bb.874:                              ;   in Loop: Header=BB2_534 Depth=2
	s_or_b32 exec_lo, exec_lo, s27
	s_delay_alu instid0(SALU_CYCLE_1)
	s_and_b32 s11, s11, exec_lo
                                        ; implicit-def: $vgpr118
	s_or_saveexec_b32 s26, s26
	v_mov_b32_e32 v117, s25
	s_xor_b32 exec_lo, exec_lo, s26
	s_cbranch_execz .LBB2_700
.LBB2_875:                              ;   in Loop: Header=BB2_534 Depth=2
	v_cmp_ne_u16_e32 vcc_lo, 0, v118
	v_mov_b32_e32 v117, 0
	s_and_not1_b32 s11, s11, exec_lo
	s_and_b32 s25, vcc_lo, exec_lo
	s_delay_alu instid0(SALU_CYCLE_1)
	s_or_b32 s11, s11, s25
	s_or_b32 exec_lo, exec_lo, s26
	s_and_saveexec_b32 s25, s11
	s_cbranch_execnz .LBB2_701
	s_branch .LBB2_702
.LBB2_876:                              ;   in Loop: Header=BB2_534 Depth=2
	s_mov_b32 s11, -1
	s_mov_b32 s27, exec_lo
                                        ; implicit-def: $sgpr25
	v_cmpx_eq_u16_e32 0x80, v117
; %bb.877:                              ;   in Loop: Header=BB2_534 Depth=2
	s_mov_b32 s25, 0x7f800001
	s_xor_b32 s11, exec_lo, -1
; %bb.878:                              ;   in Loop: Header=BB2_534 Depth=2
	s_or_b32 exec_lo, exec_lo, s27
	s_delay_alu instid0(SALU_CYCLE_1)
	s_and_b32 s11, s11, exec_lo
	s_or_saveexec_b32 s26, s26
	v_mov_b32_e32 v116, s25
	s_xor_b32 exec_lo, exec_lo, s26
	s_cbranch_execz .LBB2_712
.LBB2_879:                              ;   in Loop: Header=BB2_534 Depth=2
	v_cmp_ne_u16_e32 vcc_lo, 0, v117
	v_mov_b32_e32 v116, 0
	s_and_not1_b32 s11, s11, exec_lo
	s_and_b32 s25, vcc_lo, exec_lo
	s_delay_alu instid0(SALU_CYCLE_1)
	s_or_b32 s11, s11, s25
	s_or_b32 exec_lo, exec_lo, s26
	s_and_saveexec_b32 s25, s11
	s_cbranch_execnz .LBB2_713
	s_branch .LBB2_714
.LBB2_880:                              ;   in Loop: Header=BB2_534 Depth=2
	s_mov_b32 s11, -1
	s_mov_b32 s27, exec_lo
                                        ; implicit-def: $sgpr25
	v_cmpx_eq_u16_e32 0x80, v16
; %bb.881:                              ;   in Loop: Header=BB2_534 Depth=2
	s_mov_b32 s25, 0x7f800001
	s_xor_b32 s11, exec_lo, -1
; %bb.882:                              ;   in Loop: Header=BB2_534 Depth=2
	s_or_b32 exec_lo, exec_lo, s27
	s_delay_alu instid0(SALU_CYCLE_1)
	s_and_b32 s11, s11, exec_lo
	s_or_saveexec_b32 s26, s26
	v_mov_b32_e32 v117, s25
	s_xor_b32 exec_lo, exec_lo, s26
	s_cbranch_execz .LBB2_716
.LBB2_883:                              ;   in Loop: Header=BB2_534 Depth=2
	v_cmp_ne_u16_e32 vcc_lo, 0, v16
	v_mov_b32_e32 v117, 0
	s_and_not1_b32 s11, s11, exec_lo
	s_and_b32 s25, vcc_lo, exec_lo
	s_delay_alu instid0(SALU_CYCLE_1)
	s_or_b32 s11, s11, s25
	s_or_b32 exec_lo, exec_lo, s26
	s_and_saveexec_b32 s25, s11
	s_cbranch_execnz .LBB2_717
	s_branch .LBB2_718
.LBB2_884:                              ;   in Loop: Header=BB2_534 Depth=2
	s_mov_b32 s11, -1
	s_mov_b32 s27, exec_lo
                                        ; implicit-def: $sgpr25
	v_cmpx_eq_u16_e32 0x80, v116
; %bb.885:                              ;   in Loop: Header=BB2_534 Depth=2
	s_mov_b32 s25, 0x7f800001
	s_xor_b32 s11, exec_lo, -1
; %bb.886:                              ;   in Loop: Header=BB2_534 Depth=2
	s_or_b32 exec_lo, exec_lo, s27
	s_delay_alu instid0(SALU_CYCLE_1)
	s_and_b32 s11, s11, exec_lo
                                        ; implicit-def: $vgpr116
	s_or_saveexec_b32 s26, s26
	v_mov_b32_e32 v16, s25
	s_xor_b32 exec_lo, exec_lo, s26
	s_cbranch_execz .LBB2_728
.LBB2_887:                              ;   in Loop: Header=BB2_534 Depth=2
	v_cmp_ne_u16_e32 vcc_lo, 0, v116
	v_mov_b32_e32 v16, 0
	s_and_not1_b32 s11, s11, exec_lo
	s_and_b32 s25, vcc_lo, exec_lo
	s_delay_alu instid0(SALU_CYCLE_1)
	s_or_b32 s11, s11, s25
	s_or_b32 exec_lo, exec_lo, s26
	s_and_saveexec_b32 s25, s11
	s_cbranch_execnz .LBB2_729
	s_branch .LBB2_730
.LBB2_888:                              ;   in Loop: Header=BB2_534 Depth=2
	s_mov_b32 s11, -1
	s_mov_b32 s27, exec_lo
                                        ; implicit-def: $sgpr25
	v_cmpx_eq_u16_e32 0x80, v117
; %bb.889:                              ;   in Loop: Header=BB2_534 Depth=2
	s_mov_b32 s25, 0x7f800001
	s_xor_b32 s11, exec_lo, -1
; %bb.890:                              ;   in Loop: Header=BB2_534 Depth=2
	s_or_b32 exec_lo, exec_lo, s27
	s_delay_alu instid0(SALU_CYCLE_1)
	s_and_b32 s11, s11, exec_lo
                                        ; implicit-def: $vgpr117
	s_or_saveexec_b32 s26, s26
	v_mov_b32_e32 v116, s25
	s_xor_b32 exec_lo, exec_lo, s26
	s_cbranch_execz .LBB2_732
.LBB2_891:                              ;   in Loop: Header=BB2_534 Depth=2
	v_cmp_ne_u16_e32 vcc_lo, 0, v117
	v_mov_b32_e32 v116, 0
	s_and_not1_b32 s11, s11, exec_lo
	s_and_b32 s25, vcc_lo, exec_lo
	s_delay_alu instid0(SALU_CYCLE_1)
	s_or_b32 s11, s11, s25
	s_or_b32 exec_lo, exec_lo, s26
	s_and_saveexec_b32 s25, s11
	s_cbranch_execnz .LBB2_733
	s_branch .LBB2_734
.LBB2_892:                              ;   in Loop: Header=BB2_534 Depth=2
	s_mov_b32 s11, -1
	s_mov_b32 s27, exec_lo
                                        ; implicit-def: $sgpr25
	v_cmpx_eq_u16_e32 0x80, v117
; %bb.893:                              ;   in Loop: Header=BB2_534 Depth=2
	s_mov_b32 s25, 0x7f800001
	s_xor_b32 s11, exec_lo, -1
; %bb.894:                              ;   in Loop: Header=BB2_534 Depth=2
	s_or_b32 exec_lo, exec_lo, s27
	s_delay_alu instid0(SALU_CYCLE_1)
	s_and_b32 s11, s11, exec_lo
	s_or_saveexec_b32 s26, s26
	v_mov_b32_e32 v116, s25
	s_xor_b32 exec_lo, exec_lo, s26
	s_cbranch_execz .LBB2_744
.LBB2_895:                              ;   in Loop: Header=BB2_534 Depth=2
	v_cmp_ne_u16_e32 vcc_lo, 0, v117
	v_mov_b32_e32 v116, 0
	s_and_not1_b32 s11, s11, exec_lo
	s_and_b32 s25, vcc_lo, exec_lo
	s_delay_alu instid0(SALU_CYCLE_1)
	s_or_b32 s11, s11, s25
	s_or_b32 exec_lo, exec_lo, s26
	s_and_saveexec_b32 s25, s11
	s_cbranch_execnz .LBB2_745
	s_branch .LBB2_746
.LBB2_896:                              ;   in Loop: Header=BB2_534 Depth=2
	s_mov_b32 s11, -1
	s_mov_b32 s27, exec_lo
                                        ; implicit-def: $sgpr25
	v_cmpx_eq_u16_e32 0x80, v117
; %bb.897:                              ;   in Loop: Header=BB2_534 Depth=2
	s_mov_b32 s25, 0x7f800001
	s_xor_b32 s11, exec_lo, -1
; %bb.898:                              ;   in Loop: Header=BB2_534 Depth=2
	s_or_b32 exec_lo, exec_lo, s27
	s_delay_alu instid0(SALU_CYCLE_1)
	s_and_b32 s11, s11, exec_lo
	s_or_saveexec_b32 s26, s26
	v_mov_b32_e32 v118, s25
	s_xor_b32 exec_lo, exec_lo, s26
	s_cbranch_execz .LBB2_748
.LBB2_899:                              ;   in Loop: Header=BB2_534 Depth=2
	v_cmp_ne_u16_e32 vcc_lo, 0, v117
	v_mov_b32_e32 v118, 0
	s_and_not1_b32 s11, s11, exec_lo
	s_and_b32 s25, vcc_lo, exec_lo
	s_delay_alu instid0(SALU_CYCLE_1)
	s_or_b32 s11, s11, s25
	s_or_b32 exec_lo, exec_lo, s26
	s_and_saveexec_b32 s25, s11
	s_cbranch_execnz .LBB2_749
	s_branch .LBB2_750
.LBB2_900:                              ;   in Loop: Header=BB2_534 Depth=2
	s_mov_b32 s11, -1
	s_mov_b32 s27, exec_lo
                                        ; implicit-def: $sgpr25
	v_cmpx_eq_u16_e32 0x80, v119
; %bb.901:                              ;   in Loop: Header=BB2_534 Depth=2
	s_mov_b32 s25, 0x7f800001
	s_xor_b32 s11, exec_lo, -1
; %bb.902:                              ;   in Loop: Header=BB2_534 Depth=2
	s_or_b32 exec_lo, exec_lo, s27
	s_delay_alu instid0(SALU_CYCLE_1)
	s_and_b32 s11, s11, exec_lo
                                        ; implicit-def: $vgpr119
	s_or_saveexec_b32 s26, s26
	v_mov_b32_e32 v117, s25
	s_xor_b32 exec_lo, exec_lo, s26
	s_cbranch_execz .LBB2_760
.LBB2_903:                              ;   in Loop: Header=BB2_534 Depth=2
	v_cmp_ne_u16_e32 vcc_lo, 0, v119
	v_mov_b32_e32 v117, 0
	s_and_not1_b32 s11, s11, exec_lo
	s_and_b32 s25, vcc_lo, exec_lo
	s_delay_alu instid0(SALU_CYCLE_1)
	s_or_b32 s11, s11, s25
	s_or_b32 exec_lo, exec_lo, s26
	s_and_saveexec_b32 s25, s11
	s_cbranch_execnz .LBB2_761
	s_branch .LBB2_762
.LBB2_904:                              ;   in Loop: Header=BB2_534 Depth=2
	s_mov_b32 s11, -1
	s_mov_b32 s27, exec_lo
                                        ; implicit-def: $sgpr25
	v_cmpx_eq_u16_e64 0x80, v128
; %bb.905:                              ;   in Loop: Header=BB2_534 Depth=2
	s_mov_b32 s25, 0x7f800001
	s_xor_b32 s11, exec_lo, -1
; %bb.906:                              ;   in Loop: Header=BB2_534 Depth=2
	s_or_b32 exec_lo, exec_lo, s27
	s_delay_alu instid0(SALU_CYCLE_1)
	s_and_b32 s11, s11, exec_lo
                                        ; implicit-def: $vgpr128
	s_or_saveexec_b32 s26, s26
	v_mov_b32_e32 v119, s25
	s_xor_b32 exec_lo, exec_lo, s26
	s_cbranch_execz .LBB2_764
.LBB2_907:                              ;   in Loop: Header=BB2_534 Depth=2
	v_cmp_ne_u16_e64 vcc_lo, 0, v128
	v_mov_b32_e32 v119, 0
	s_and_not1_b32 s11, s11, exec_lo
	s_delay_alu instid0(VALU_DEP_2) | instskip(NEXT) | instid1(SALU_CYCLE_1)
	s_and_b32 s25, vcc_lo, exec_lo
	s_or_b32 s11, s11, s25
	s_or_b32 exec_lo, exec_lo, s26
	s_and_saveexec_b32 s25, s11
	s_cbranch_execnz .LBB2_765
	s_branch .LBB2_766
.LBB2_908:                              ;   in Loop: Header=BB2_534 Depth=2
	s_mov_b32 s11, -1
	s_mov_b32 s27, exec_lo
                                        ; implicit-def: $sgpr25
	v_cmpx_eq_u16_e32 0x80, v119
; %bb.909:                              ;   in Loop: Header=BB2_534 Depth=2
	s_mov_b32 s25, 0x7f800001
	s_xor_b32 s11, exec_lo, -1
; %bb.910:                              ;   in Loop: Header=BB2_534 Depth=2
	s_or_b32 exec_lo, exec_lo, s27
	s_delay_alu instid0(SALU_CYCLE_1)
	s_and_b32 s11, s11, exec_lo
	s_or_saveexec_b32 s26, s26
	v_mov_b32_e32 v118, s25
	s_xor_b32 exec_lo, exec_lo, s26
	s_cbranch_execz .LBB2_776
.LBB2_911:                              ;   in Loop: Header=BB2_534 Depth=2
	v_cmp_ne_u16_e32 vcc_lo, 0, v119
	v_mov_b32_e32 v118, 0
	s_and_not1_b32 s11, s11, exec_lo
	s_and_b32 s25, vcc_lo, exec_lo
	s_delay_alu instid0(SALU_CYCLE_1)
	s_or_b32 s11, s11, s25
	s_or_b32 exec_lo, exec_lo, s26
	s_and_saveexec_b32 s25, s11
	s_cbranch_execnz .LBB2_777
	s_branch .LBB2_778
.LBB2_912:                              ;   in Loop: Header=BB2_534 Depth=2
	s_mov_b32 s11, -1
	s_mov_b32 s27, exec_lo
                                        ; implicit-def: $sgpr25
	v_cmpx_eq_u16_e32 0x80, v17
; %bb.913:                              ;   in Loop: Header=BB2_534 Depth=2
	s_mov_b32 s25, 0x7f800001
	s_xor_b32 s11, exec_lo, -1
; %bb.914:                              ;   in Loop: Header=BB2_534 Depth=2
	s_or_b32 exec_lo, exec_lo, s27
	s_delay_alu instid0(SALU_CYCLE_1)
	s_and_b32 s11, s11, exec_lo
	s_or_saveexec_b32 s26, s26
	v_mov_b32_e32 v119, s25
	s_xor_b32 exec_lo, exec_lo, s26
	s_cbranch_execz .LBB2_780
.LBB2_915:                              ;   in Loop: Header=BB2_534 Depth=2
	v_cmp_ne_u16_e32 vcc_lo, 0, v17
	v_mov_b32_e32 v119, 0
	s_and_not1_b32 s11, s11, exec_lo
	s_and_b32 s25, vcc_lo, exec_lo
	s_delay_alu instid0(SALU_CYCLE_1)
	s_or_b32 s11, s11, s25
	s_or_b32 exec_lo, exec_lo, s26
	s_and_saveexec_b32 s25, s11
	s_cbranch_execnz .LBB2_781
	s_branch .LBB2_782
.LBB2_916:                              ;   in Loop: Header=BB2_53 Depth=1
	s_or_b32 exec_lo, exec_lo, s24
.LBB2_917:                              ;   in Loop: Header=BB2_53 Depth=1
	s_delay_alu instid0(SALU_CYCLE_1) | instskip(SKIP_3) | instid1(VALU_DEP_1)
	s_or_b32 exec_lo, exec_lo, s23
	v_cmp_lt_i32_e32 vcc_lo, 0, v98
	s_mov_b32 s23, exec_lo
	v_cndmask_b32_e32 v10, 0, v67, vcc_lo
	v_sub_nc_u32_e32 v10, v10, v98
	s_delay_alu instid0(VALU_DEP_1)
	v_lshl_add_u32 v16, v10, 5, v99
.LBB2_918:                              ;   in Loop: Header=BB2_53 Depth=1
	s_or_b32 exec_lo, exec_lo, s12
.LBB2_919:                              ;   in Loop: Header=BB2_53 Depth=1
	s_and_saveexec_b32 s12, s23
	s_cbranch_execz .LBB2_1146
; %bb.920:                              ;   in Loop: Header=BB2_53 Depth=1
	s_delay_alu instid0(VALU_DEP_1) | instskip(SKIP_2) | instid1(VALU_DEP_2)
	v_ashrrev_i32_e32 v10, 31, v16
	v_lshrrev_b32_e32 v11, 8, v97
	s_mov_b32 s23, exec_lo
	v_lshrrev_b32_e32 v10, 27, v10
	s_delay_alu instid0(VALU_DEP_1) | instskip(NEXT) | instid1(VALU_DEP_1)
	v_add_nc_u32_e32 v10, v16, v10
	v_ashrrev_i32_e32 v17, 5, v10
	s_delay_alu instid0(VALU_DEP_1) | instskip(NEXT) | instid1(VALU_DEP_1)
	v_sub_nc_u32_e32 v50, v11, v17
	v_cmpx_lt_i32_e32 0, v50
	s_cbranch_execz .LBB2_1117
; %bb.921:                              ;   in Loop: Header=BB2_53 Depth=1
	s_cbranch_execnz .LBB2_2809
; %bb.922:                              ;   in Loop: Header=BB2_53 Depth=1
	ds_load_b128 v[11:14], v0
	ds_load_b64 v[51:52], v0
	v_and_b32_e32 v10, 0xffffffe0, v10
	v_lshlrev_b32_e32 v15, 8, v17
	s_mov_b32 s24, 0
	s_delay_alu instid0(VALU_DEP_2) | instskip(NEXT) | instid1(VALU_DEP_1)
	v_sub_nc_u32_e32 v10, v16, v10
	v_add3_u32 v15, v96, v10, v15
	s_delay_alu instid0(VALU_DEP_1) | instskip(SKIP_2) | instid1(VALU_DEP_2)
	v_ashrrev_i32_e32 v53, 31, v15
	s_waitcnt lgkmcnt(1)
	v_add_co_u32 v10, vcc_lo, v11, v15
	v_add_co_ci_u32_e32 v11, vcc_lo, v12, v53, vcc_lo
	s_waitcnt lgkmcnt(0)
	v_add_co_u32 v51, vcc_lo, 0xe0, v51
	v_add_co_ci_u32_e32 v52, vcc_lo, 0, v52, vcc_lo
	v_add_co_u32 v12, vcc_lo, v13, v15
	v_add_co_ci_u32_e32 v13, vcc_lo, v14, v53, vcc_lo
	s_delay_alu instid0(VALU_DEP_4) | instskip(NEXT) | instid1(VALU_DEP_4)
	v_add_co_u32 v14, vcc_lo, v51, v15
	v_add_co_ci_u32_e32 v15, vcc_lo, v52, v53, vcc_lo
	s_branch .LBB2_926
.LBB2_923:                              ;   in Loop: Header=BB2_926 Depth=2
	s_or_b32 exec_lo, exec_lo, s11
	s_delay_alu instid0(VALU_DEP_1) | instskip(NEXT) | instid1(VALU_DEP_2)
	v_lshrrev_b32_e32 v55, 21, v55
	v_cmp_gt_i32_e32 vcc_lo, 32, v52
	v_lshrrev_b32_e32 v51, 24, v51
	v_min_i32_e32 v100, 31, v52
	s_delay_alu instid0(VALU_DEP_4) | instskip(NEXT) | instid1(VALU_DEP_3)
	v_cndmask_b32_e32 v55, 3, v55, vcc_lo
	v_and_b32_e32 v51, 0x80, v51
	s_delay_alu instid0(VALU_DEP_3) | instskip(NEXT) | instid1(VALU_DEP_3)
	v_lshlrev_b32_e32 v100, 2, v100
	v_and_b32_e32 v103, 3, v55
	v_or_b32_e32 v52, v52, v55
	s_delay_alu instid0(VALU_DEP_2) | instskip(NEXT) | instid1(VALU_DEP_2)
	v_or3_b32 v51, v100, v51, v103
	v_cmp_ne_u32_e32 vcc_lo, 0, v52
	s_delay_alu instid0(VALU_DEP_2)
	v_cndmask_b32_e32 v52, 0, v51, vcc_lo
.LBB2_924:                              ;   in Loop: Header=BB2_926 Depth=2
	s_or_b32 exec_lo, exec_lo, s26
.LBB2_925:                              ;   in Loop: Header=BB2_926 Depth=2
	s_delay_alu instid0(SALU_CYCLE_1)
	s_or_b32 exec_lo, exec_lo, s25
	v_add_co_u32 v113, vcc_lo, 0xffffff20, v14
	v_add_co_ci_u32_e32 v114, vcc_lo, -1, v15, vcc_lo
	v_add_co_u32 v115, vcc_lo, 0xffffff40, v14
	v_add_co_ci_u32_e32 v116, vcc_lo, -1, v15, vcc_lo
	v_sub_nc_u32_e32 v50, v50, v67
	flat_store_b8 v[113:114], v53 glc slc dlc
	flat_store_b8 v[115:116], v98 glc slc dlc
	v_add_co_u32 v113, vcc_lo, 0xffffff60, v14
	v_add_co_ci_u32_e32 v114, vcc_lo, -1, v15, vcc_lo
	v_add_co_u32 v115, vcc_lo, 0xffffff80, v14
	v_add_co_ci_u32_e32 v116, vcc_lo, -1, v15, vcc_lo
	;; [unrolled: 2-line block ×5, first 2 shown]
	v_add_co_u32 v10, vcc_lo, v10, v84
	v_add_co_ci_u32_e32 v11, vcc_lo, v11, v85, vcc_lo
	v_add_co_u32 v12, vcc_lo, v12, v84
	v_add_co_ci_u32_e32 v13, vcc_lo, v13, v85, vcc_lo
	flat_store_b8 v[113:114], v101 glc slc dlc
	flat_store_b8 v[115:116], v112 glc slc dlc
	;; [unrolled: 1-line block ×6, first 2 shown]
	v_cmp_gt_i32_e32 vcc_lo, 1, v50
	v_add_co_u32 v14, s11, v14, v84
	s_delay_alu instid0(VALU_DEP_1) | instskip(SKIP_1) | instid1(SALU_CYCLE_1)
	v_add_co_ci_u32_e64 v15, s11, v15, v85, s11
	s_or_b32 s24, vcc_lo, s24
	s_and_not1_b32 exec_lo, exec_lo, s24
	s_cbranch_execz .LBB2_1116
.LBB2_926:                              ;   Parent Loop BB2_53 Depth=1
                                        ; =>  This Inner Loop Header: Depth=2
	s_clause 0x7
	flat_load_u8 v117, v[10:11] slc dlc
	flat_load_u8 v115, v[10:11] offset:32 slc dlc
	flat_load_u8 v114, v[10:11] offset:64 slc dlc
	;; [unrolled: 1-line block ×7, first 2 shown]
	s_clause 0x7
	flat_load_u8 v53, v[12:13] slc dlc
	flat_load_u8 v98, v[12:13] offset:32 slc dlc
	flat_load_u8 v101, v[12:13] offset:64 slc dlc
	;; [unrolled: 1-line block ×7, first 2 shown]
	s_mov_b32 s11, 0
	s_mov_b32 s26, exec_lo
                                        ; implicit-def: $sgpr25
	s_waitcnt vmcnt(15) lgkmcnt(15)
	v_cmpx_lt_i16_e32 0x7f, v117
	s_xor_b32 s26, exec_lo, s26
	s_cbranch_execnz .LBB2_1052
; %bb.927:                              ;   in Loop: Header=BB2_926 Depth=2
	s_or_saveexec_b32 s26, s26
	v_mov_b32_e32 v116, s25
	s_xor_b32 exec_lo, exec_lo, s26
	s_cbranch_execnz .LBB2_1055
.LBB2_928:                              ;   in Loop: Header=BB2_926 Depth=2
	s_or_b32 exec_lo, exec_lo, s26
	s_and_saveexec_b32 s25, s11
	s_cbranch_execz .LBB2_930
.LBB2_929:                              ;   in Loop: Header=BB2_926 Depth=2
	v_and_b32_e32 v116, 0xffff, v117
	s_delay_alu instid0(VALU_DEP_1) | instskip(NEXT) | instid1(VALU_DEP_1)
	v_and_b32_e32 v118, 3, v116
	v_clz_i32_u32_e32 v119, v118
	s_delay_alu instid0(VALU_DEP_1) | instskip(NEXT) | instid1(VALU_DEP_1)
	v_min_u32_e32 v119, 32, v119
	v_subrev_nc_u32_e32 v128, 29, v119
	v_sub_nc_u32_e32 v119, 30, v119
	s_delay_alu instid0(VALU_DEP_2) | instskip(SKIP_1) | instid1(VALU_DEP_2)
	v_lshlrev_b32_e32 v128, v128, v116
	v_bfe_u32 v116, v116, 2, 5
	v_and_b32_e32 v128, 3, v128
	s_delay_alu instid0(VALU_DEP_2) | instskip(SKIP_1) | instid1(VALU_DEP_1)
	v_cmp_eq_u32_e32 vcc_lo, 0, v116
	v_dual_cndmask_b32 v116, v116, v119 :: v_dual_lshlrev_b32 v117, 24, v117
	v_dual_cndmask_b32 v118, v118, v128 :: v_dual_and_b32 v117, 0x80000000, v117
	s_delay_alu instid0(VALU_DEP_2) | instskip(NEXT) | instid1(VALU_DEP_2)
	v_lshl_add_u32 v116, v116, 23, 0x37800000
	v_lshlrev_b32_e32 v118, 21, v118
	s_delay_alu instid0(VALU_DEP_1)
	v_or3_b32 v116, v117, v116, v118
.LBB2_930:                              ;   in Loop: Header=BB2_926 Depth=2
	s_or_b32 exec_lo, exec_lo, s25
	s_waitcnt vmcnt(7) lgkmcnt(7)
	v_and_b32_e32 v118, 0xff, v53
	s_mov_b32 s11, 0
	s_mov_b32 s26, exec_lo
                                        ; implicit-def: $sgpr25
	s_delay_alu instid0(VALU_DEP_1)
	v_cmpx_lt_i16_e32 0x7f, v118
	s_xor_b32 s26, exec_lo, s26
	s_cbranch_execnz .LBB2_1056
; %bb.931:                              ;   in Loop: Header=BB2_926 Depth=2
	s_or_saveexec_b32 s26, s26
	v_mov_b32_e32 v117, s25
	s_xor_b32 exec_lo, exec_lo, s26
	s_cbranch_execnz .LBB2_1059
.LBB2_932:                              ;   in Loop: Header=BB2_926 Depth=2
	s_or_b32 exec_lo, exec_lo, s26
	s_and_saveexec_b32 s25, s11
	s_cbranch_execz .LBB2_934
.LBB2_933:                              ;   in Loop: Header=BB2_926 Depth=2
	v_lshrrev_b16 v128, 2, v53
	s_delay_alu instid0(VALU_DEP_1) | instskip(NEXT) | instid1(VALU_DEP_1)
	v_and_b32_e32 v128, 31, v128
	v_cmp_eq_u32_e32 vcc_lo, 0, v128
	v_and_b32_e32 v117, 3, v53
	s_delay_alu instid0(VALU_DEP_1) | instskip(NEXT) | instid1(VALU_DEP_1)
	v_clz_i32_u32_e32 v118, v117
	v_min_u32_e32 v118, 32, v118
	s_delay_alu instid0(VALU_DEP_1) | instskip(SKIP_1) | instid1(VALU_DEP_1)
	v_subrev_nc_u32_e32 v119, 29, v118
	v_sub_nc_u32_e32 v118, 30, v118
	v_dual_cndmask_b32 v118, v128, v118 :: v_dual_lshlrev_b32 v119, v119, v53
	v_lshlrev_b32_e32 v53, 24, v53
	s_delay_alu instid0(VALU_DEP_2) | instskip(NEXT) | instid1(VALU_DEP_3)
	v_and_b32_e32 v119, 3, v119
	v_lshl_add_u32 v118, v118, 23, 0x37800000
	s_delay_alu instid0(VALU_DEP_3) | instskip(NEXT) | instid1(VALU_DEP_3)
	v_and_b32_e32 v53, 0x80000000, v53
	v_cndmask_b32_e32 v117, v117, v119, vcc_lo
	s_delay_alu instid0(VALU_DEP_1) | instskip(NEXT) | instid1(VALU_DEP_1)
	v_lshlrev_b32_e32 v117, 21, v117
	v_or3_b32 v117, v53, v118, v117
.LBB2_934:                              ;   in Loop: Header=BB2_926 Depth=2
	s_or_b32 exec_lo, exec_lo, s25
	s_delay_alu instid0(VALU_DEP_1) | instskip(NEXT) | instid1(VALU_DEP_1)
	v_mul_f32_e32 v116, v116, v117
	v_and_b32_e32 v53, 0x7f800000, v116
	s_delay_alu instid0(VALU_DEP_1)
	v_cmp_ne_u32_e32 vcc_lo, 0x7f800000, v53
	v_mov_b32_e32 v53, 0x80
	s_and_saveexec_b32 s25, vcc_lo
	s_cbranch_execz .LBB2_942
; %bb.935:                              ;   in Loop: Header=BB2_926 Depth=2
	v_mov_b32_e32 v53, 0
	s_mov_b32 s26, exec_lo
	v_cmpx_ne_u32_e32 0, v116
	s_cbranch_execz .LBB2_941
; %bb.936:                              ;   in Loop: Header=BB2_926 Depth=2
	v_bfe_u32 v53, v116, 23, 8
	s_delay_alu instid0(VALU_DEP_1) | instskip(SKIP_1) | instid1(VALU_DEP_2)
	v_sub_nc_u32_e32 v118, 0x70, v53
	v_cmp_gt_u32_e32 vcc_lo, 0x71, v53
	v_dual_cndmask_b32 v118, 0, v118 :: v_dual_and_b32 v117, 0x7fffff, v116
	s_delay_alu instid0(VALU_DEP_1) | instskip(SKIP_2) | instid1(VALU_DEP_4)
	v_or_b32_e32 v119, 0x800000, v117
	v_cmp_eq_u32_e32 vcc_lo, 0, v53
	v_add_nc_u32_e32 v53, 0xffffff91, v53
	v_cndmask_b32_e64 v118, v118, 0x6f, vcc_lo
	s_delay_alu instid0(VALU_DEP_4) | instskip(NEXT) | instid1(VALU_DEP_3)
	v_cndmask_b32_e32 v117, v119, v117, vcc_lo
	v_cndmask_b32_e64 v53, v53, 0xffffff92, vcc_lo
	s_delay_alu instid0(VALU_DEP_3) | instskip(NEXT) | instid1(VALU_DEP_3)
	v_lshl_add_u32 v119, 0x200000, v118, -1
	v_lshrrev_b32_e32 v128, v118, v117
	v_lshlrev_b32_e64 v130, v118, 0x100000
	s_delay_alu instid0(VALU_DEP_4) | instskip(NEXT) | instid1(VALU_DEP_4)
	v_add_nc_u32_e32 v118, v118, v53
	v_and_b32_e32 v117, v119, v117
	s_delay_alu instid0(VALU_DEP_4) | instskip(NEXT) | instid1(VALU_DEP_2)
	v_bfe_u32 v129, v128, 21, 1
	v_cmp_eq_u32_e64 s11, v117, v130
	s_delay_alu instid0(VALU_DEP_2) | instskip(NEXT) | instid1(VALU_DEP_1)
	v_add_nc_u32_e32 v119, -1, v129
	v_cndmask_b32_e64 v117, 0, v119, s11
	v_lshrrev_b32_e32 v119, 23, v128
	s_mov_b32 s11, exec_lo
	s_delay_alu instid0(VALU_DEP_2) | instskip(NEXT) | instid1(VALU_DEP_2)
	v_add_nc_u32_e32 v117, v117, v128
	v_xor_b32_e32 v119, 1, v119
	s_delay_alu instid0(VALU_DEP_2) | instskip(NEXT) | instid1(VALU_DEP_1)
	v_and_b32_e32 v53, 0x1fffff, v117
	v_add_nc_u32_e32 v117, v53, v128
                                        ; implicit-def: $vgpr53
	s_delay_alu instid0(VALU_DEP_3)
	v_cmpx_ne_u32_e64 v118, v119
	s_xor_b32 s11, exec_lo, s11
; %bb.937:                              ;   in Loop: Header=BB2_926 Depth=2
	s_delay_alu instid0(VALU_DEP_2) | instskip(SKIP_2) | instid1(VALU_DEP_2)
	v_cmp_lt_u32_e32 vcc_lo, 0xffffff, v117
	v_sub_nc_u32_e32 v53, v118, v119
	v_cndmask_b32_e64 v118, 0, 1, vcc_lo
	v_add_co_ci_u32_e32 v53, vcc_lo, 0, v53, vcc_lo
	s_delay_alu instid0(VALU_DEP_2)
	v_lshrrev_b32_e32 v117, v118, v117
; %bb.938:                              ;   in Loop: Header=BB2_926 Depth=2
	s_and_not1_saveexec_b32 s11, s11
; %bb.939:                              ;   in Loop: Header=BB2_926 Depth=2
	s_delay_alu instid0(VALU_DEP_1)
	v_bfe_u32 v53, v117, 23, 1
; %bb.940:                              ;   in Loop: Header=BB2_926 Depth=2
	s_or_b32 exec_lo, exec_lo, s11
	v_lshrrev_b32_e32 v117, 21, v117
	s_delay_alu instid0(VALU_DEP_2) | instskip(SKIP_2) | instid1(VALU_DEP_2)
	v_cmp_gt_i32_e32 vcc_lo, 32, v53
	v_lshrrev_b32_e32 v116, 24, v116
	v_min_i32_e32 v118, 31, v53
	v_dual_cndmask_b32 v117, 3, v117 :: v_dual_and_b32 v116, 0x80, v116
	s_delay_alu instid0(VALU_DEP_1) | instskip(SKIP_1) | instid1(VALU_DEP_2)
	v_or_b32_e32 v53, v53, v117
	v_and_b32_e32 v119, 3, v117
	v_cmp_ne_u32_e32 vcc_lo, 0, v53
	v_lshlrev_b32_e32 v118, 2, v118
	s_delay_alu instid0(VALU_DEP_1) | instskip(NEXT) | instid1(VALU_DEP_1)
	v_or3_b32 v116, v118, v116, v119
	v_cndmask_b32_e32 v53, 0, v116, vcc_lo
.LBB2_941:                              ;   in Loop: Header=BB2_926 Depth=2
	s_or_b32 exec_lo, exec_lo, s26
.LBB2_942:                              ;   in Loop: Header=BB2_926 Depth=2
	s_delay_alu instid0(SALU_CYCLE_1) | instskip(SKIP_3) | instid1(VALU_DEP_1)
	s_or_b32 exec_lo, exec_lo, s25
	v_and_b32_e32 v117, 0xff, v115
	s_mov_b32 s11, 0
	s_mov_b32 s26, exec_lo
                                        ; implicit-def: $sgpr25
	v_cmpx_lt_i16_e32 0x7f, v117
	s_xor_b32 s26, exec_lo, s26
	s_cbranch_execnz .LBB2_1060
; %bb.943:                              ;   in Loop: Header=BB2_926 Depth=2
	s_or_saveexec_b32 s26, s26
	v_mov_b32_e32 v116, s25
	s_xor_b32 exec_lo, exec_lo, s26
	s_cbranch_execnz .LBB2_1063
.LBB2_944:                              ;   in Loop: Header=BB2_926 Depth=2
	s_or_b32 exec_lo, exec_lo, s26
	s_and_saveexec_b32 s25, s11
	s_cbranch_execz .LBB2_946
.LBB2_945:                              ;   in Loop: Header=BB2_926 Depth=2
	v_lshrrev_b16 v119, 2, v115
	s_delay_alu instid0(VALU_DEP_1) | instskip(NEXT) | instid1(VALU_DEP_1)
	v_and_b32_e32 v119, 31, v119
	v_cmp_eq_u32_e32 vcc_lo, 0, v119
	v_and_b32_e32 v116, 3, v115
	s_delay_alu instid0(VALU_DEP_1) | instskip(NEXT) | instid1(VALU_DEP_1)
	v_clz_i32_u32_e32 v117, v116
	v_min_u32_e32 v117, 32, v117
	s_delay_alu instid0(VALU_DEP_1) | instskip(SKIP_1) | instid1(VALU_DEP_1)
	v_subrev_nc_u32_e32 v118, 29, v117
	v_sub_nc_u32_e32 v117, 30, v117
	v_dual_cndmask_b32 v117, v119, v117 :: v_dual_lshlrev_b32 v118, v118, v115
	v_lshlrev_b32_e32 v115, 24, v115
	s_delay_alu instid0(VALU_DEP_2) | instskip(NEXT) | instid1(VALU_DEP_3)
	v_and_b32_e32 v118, 3, v118
	v_lshl_add_u32 v117, v117, 23, 0x37800000
	s_delay_alu instid0(VALU_DEP_2) | instskip(NEXT) | instid1(VALU_DEP_1)
	v_dual_cndmask_b32 v116, v116, v118 :: v_dual_and_b32 v115, 0x80000000, v115
	v_lshlrev_b32_e32 v116, 21, v116
	s_delay_alu instid0(VALU_DEP_1)
	v_or3_b32 v116, v115, v117, v116
.LBB2_946:                              ;   in Loop: Header=BB2_926 Depth=2
	s_or_b32 exec_lo, exec_lo, s25
	s_waitcnt vmcnt(6) lgkmcnt(6)
	v_and_b32_e32 v117, 0xff, v98
	s_mov_b32 s11, 0
	s_mov_b32 s26, exec_lo
                                        ; implicit-def: $sgpr25
	s_delay_alu instid0(VALU_DEP_1)
	v_cmpx_lt_i16_e32 0x7f, v117
	s_xor_b32 s26, exec_lo, s26
	s_cbranch_execnz .LBB2_1064
; %bb.947:                              ;   in Loop: Header=BB2_926 Depth=2
	s_or_saveexec_b32 s26, s26
	v_mov_b32_e32 v115, s25
	s_xor_b32 exec_lo, exec_lo, s26
	s_cbranch_execnz .LBB2_1067
.LBB2_948:                              ;   in Loop: Header=BB2_926 Depth=2
	s_or_b32 exec_lo, exec_lo, s26
	s_and_saveexec_b32 s25, s11
	s_cbranch_execz .LBB2_950
.LBB2_949:                              ;   in Loop: Header=BB2_926 Depth=2
	v_and_b32_e32 v115, 3, v98
	v_lshrrev_b16 v119, 2, v98
	s_delay_alu instid0(VALU_DEP_2) | instskip(NEXT) | instid1(VALU_DEP_2)
	v_clz_i32_u32_e32 v117, v115
	v_and_b32_e32 v119, 31, v119
	s_delay_alu instid0(VALU_DEP_2) | instskip(NEXT) | instid1(VALU_DEP_2)
	v_min_u32_e32 v117, 32, v117
	v_cmp_eq_u32_e32 vcc_lo, 0, v119
	s_delay_alu instid0(VALU_DEP_2) | instskip(SKIP_1) | instid1(VALU_DEP_1)
	v_subrev_nc_u32_e32 v118, 29, v117
	v_sub_nc_u32_e32 v117, 30, v117
	v_dual_cndmask_b32 v117, v119, v117 :: v_dual_lshlrev_b32 v118, v118, v98
	v_lshlrev_b32_e32 v98, 24, v98
	s_delay_alu instid0(VALU_DEP_2) | instskip(NEXT) | instid1(VALU_DEP_3)
	v_and_b32_e32 v118, 3, v118
	v_lshl_add_u32 v117, v117, 23, 0x37800000
	s_delay_alu instid0(VALU_DEP_3) | instskip(NEXT) | instid1(VALU_DEP_3)
	v_and_b32_e32 v98, 0x80000000, v98
	v_cndmask_b32_e32 v115, v115, v118, vcc_lo
	s_delay_alu instid0(VALU_DEP_1) | instskip(NEXT) | instid1(VALU_DEP_1)
	v_lshlrev_b32_e32 v115, 21, v115
	v_or3_b32 v115, v98, v117, v115
.LBB2_950:                              ;   in Loop: Header=BB2_926 Depth=2
	s_or_b32 exec_lo, exec_lo, s25
	s_delay_alu instid0(VALU_DEP_1) | instskip(NEXT) | instid1(VALU_DEP_1)
	v_mul_f32_e32 v115, v116, v115
	v_and_b32_e32 v98, 0x7f800000, v115
	s_delay_alu instid0(VALU_DEP_1)
	v_cmp_ne_u32_e32 vcc_lo, 0x7f800000, v98
	v_mov_b32_e32 v98, 0x80
	s_and_saveexec_b32 s25, vcc_lo
	s_cbranch_execz .LBB2_958
; %bb.951:                              ;   in Loop: Header=BB2_926 Depth=2
	v_mov_b32_e32 v98, 0
	s_mov_b32 s26, exec_lo
	v_cmpx_ne_u32_e32 0, v115
	s_cbranch_execz .LBB2_957
; %bb.952:                              ;   in Loop: Header=BB2_926 Depth=2
	v_bfe_u32 v98, v115, 23, 8
	s_delay_alu instid0(VALU_DEP_1) | instskip(SKIP_1) | instid1(VALU_DEP_2)
	v_sub_nc_u32_e32 v117, 0x70, v98
	v_cmp_gt_u32_e32 vcc_lo, 0x71, v98
	v_dual_cndmask_b32 v117, 0, v117 :: v_dual_and_b32 v116, 0x7fffff, v115
	s_delay_alu instid0(VALU_DEP_1) | instskip(SKIP_2) | instid1(VALU_DEP_4)
	v_or_b32_e32 v118, 0x800000, v116
	v_cmp_eq_u32_e32 vcc_lo, 0, v98
	v_add_nc_u32_e32 v98, 0xffffff91, v98
	v_cndmask_b32_e64 v117, v117, 0x6f, vcc_lo
	s_delay_alu instid0(VALU_DEP_2) | instskip(SKIP_1) | instid1(VALU_DEP_3)
	v_cndmask_b32_e64 v98, v98, 0xffffff92, vcc_lo
	v_cndmask_b32_e32 v116, v118, v116, vcc_lo
	v_lshl_add_u32 v118, 0x200000, v117, -1
	v_lshlrev_b32_e64 v129, v117, 0x100000
	s_delay_alu instid0(VALU_DEP_3) | instskip(SKIP_1) | instid1(VALU_DEP_4)
	v_lshrrev_b32_e32 v119, v117, v116
	v_add_nc_u32_e32 v117, v117, v98
	v_and_b32_e32 v116, v118, v116
	s_delay_alu instid0(VALU_DEP_3) | instskip(NEXT) | instid1(VALU_DEP_2)
	v_bfe_u32 v128, v119, 21, 1
	v_cmp_eq_u32_e64 s11, v116, v129
	s_delay_alu instid0(VALU_DEP_2) | instskip(NEXT) | instid1(VALU_DEP_1)
	v_add_nc_u32_e32 v118, -1, v128
	v_cndmask_b32_e64 v116, 0, v118, s11
	v_lshrrev_b32_e32 v118, 23, v119
	s_mov_b32 s11, exec_lo
	s_delay_alu instid0(VALU_DEP_2) | instskip(NEXT) | instid1(VALU_DEP_2)
	v_add_nc_u32_e32 v116, v116, v119
	v_xor_b32_e32 v118, 1, v118
	s_delay_alu instid0(VALU_DEP_2) | instskip(NEXT) | instid1(VALU_DEP_1)
	v_and_b32_e32 v98, 0x1fffff, v116
	v_add_nc_u32_e32 v116, v98, v119
                                        ; implicit-def: $vgpr98
	s_delay_alu instid0(VALU_DEP_3)
	v_cmpx_ne_u32_e64 v117, v118
	s_xor_b32 s11, exec_lo, s11
; %bb.953:                              ;   in Loop: Header=BB2_926 Depth=2
	s_delay_alu instid0(VALU_DEP_2) | instskip(SKIP_2) | instid1(VALU_DEP_2)
	v_cmp_lt_u32_e32 vcc_lo, 0xffffff, v116
	v_sub_nc_u32_e32 v98, v117, v118
	v_cndmask_b32_e64 v117, 0, 1, vcc_lo
	v_add_co_ci_u32_e32 v98, vcc_lo, 0, v98, vcc_lo
	s_delay_alu instid0(VALU_DEP_2)
	v_lshrrev_b32_e32 v116, v117, v116
; %bb.954:                              ;   in Loop: Header=BB2_926 Depth=2
	s_and_not1_saveexec_b32 s11, s11
; %bb.955:                              ;   in Loop: Header=BB2_926 Depth=2
	s_delay_alu instid0(VALU_DEP_1)
	v_bfe_u32 v98, v116, 23, 1
; %bb.956:                              ;   in Loop: Header=BB2_926 Depth=2
	s_or_b32 exec_lo, exec_lo, s11
	v_lshrrev_b32_e32 v116, 21, v116
	s_delay_alu instid0(VALU_DEP_2) | instskip(SKIP_2) | instid1(VALU_DEP_2)
	v_cmp_gt_i32_e32 vcc_lo, 32, v98
	v_lshrrev_b32_e32 v115, 24, v115
	v_min_i32_e32 v117, 31, v98
	v_dual_cndmask_b32 v116, 3, v116 :: v_dual_and_b32 v115, 0x80, v115
	s_delay_alu instid0(VALU_DEP_1) | instskip(SKIP_1) | instid1(VALU_DEP_2)
	v_or_b32_e32 v98, v98, v116
	v_and_b32_e32 v118, 3, v116
	v_cmp_ne_u32_e32 vcc_lo, 0, v98
	v_lshlrev_b32_e32 v117, 2, v117
	s_delay_alu instid0(VALU_DEP_1) | instskip(NEXT) | instid1(VALU_DEP_1)
	v_or3_b32 v115, v117, v115, v118
	v_cndmask_b32_e32 v98, 0, v115, vcc_lo
.LBB2_957:                              ;   in Loop: Header=BB2_926 Depth=2
	s_or_b32 exec_lo, exec_lo, s26
.LBB2_958:                              ;   in Loop: Header=BB2_926 Depth=2
	s_delay_alu instid0(SALU_CYCLE_1) | instskip(SKIP_3) | instid1(VALU_DEP_1)
	s_or_b32 exec_lo, exec_lo, s25
	v_and_b32_e32 v116, 0xff, v114
	s_mov_b32 s11, 0
	s_mov_b32 s26, exec_lo
                                        ; implicit-def: $sgpr25
	v_cmpx_lt_i16_e32 0x7f, v116
	s_xor_b32 s26, exec_lo, s26
	s_cbranch_execnz .LBB2_1068
; %bb.959:                              ;   in Loop: Header=BB2_926 Depth=2
	s_or_saveexec_b32 s26, s26
	v_mov_b32_e32 v115, s25
	s_xor_b32 exec_lo, exec_lo, s26
	s_cbranch_execnz .LBB2_1071
.LBB2_960:                              ;   in Loop: Header=BB2_926 Depth=2
	s_or_b32 exec_lo, exec_lo, s26
	s_and_saveexec_b32 s25, s11
	s_cbranch_execz .LBB2_962
.LBB2_961:                              ;   in Loop: Header=BB2_926 Depth=2
	v_lshrrev_b16 v118, 2, v114
	s_delay_alu instid0(VALU_DEP_1) | instskip(NEXT) | instid1(VALU_DEP_1)
	v_and_b32_e32 v118, 31, v118
	v_cmp_eq_u32_e32 vcc_lo, 0, v118
	v_and_b32_e32 v115, 3, v114
	s_delay_alu instid0(VALU_DEP_1) | instskip(NEXT) | instid1(VALU_DEP_1)
	v_clz_i32_u32_e32 v116, v115
	v_min_u32_e32 v116, 32, v116
	s_delay_alu instid0(VALU_DEP_1) | instskip(SKIP_1) | instid1(VALU_DEP_1)
	v_subrev_nc_u32_e32 v117, 29, v116
	v_sub_nc_u32_e32 v116, 30, v116
	v_dual_cndmask_b32 v116, v118, v116 :: v_dual_lshlrev_b32 v117, v117, v114
	v_lshlrev_b32_e32 v114, 24, v114
	s_delay_alu instid0(VALU_DEP_2) | instskip(NEXT) | instid1(VALU_DEP_3)
	v_and_b32_e32 v117, 3, v117
	v_lshl_add_u32 v116, v116, 23, 0x37800000
	s_delay_alu instid0(VALU_DEP_2) | instskip(NEXT) | instid1(VALU_DEP_1)
	v_dual_cndmask_b32 v115, v115, v117 :: v_dual_and_b32 v114, 0x80000000, v114
	v_lshlrev_b32_e32 v115, 21, v115
	s_delay_alu instid0(VALU_DEP_1)
	v_or3_b32 v115, v114, v116, v115
.LBB2_962:                              ;   in Loop: Header=BB2_926 Depth=2
	s_or_b32 exec_lo, exec_lo, s25
	s_waitcnt vmcnt(5) lgkmcnt(5)
	v_and_b32_e32 v116, 0xff, v101
	s_mov_b32 s11, 0
	s_mov_b32 s26, exec_lo
                                        ; implicit-def: $sgpr25
	s_delay_alu instid0(VALU_DEP_1)
	v_cmpx_lt_i16_e32 0x7f, v116
	s_xor_b32 s26, exec_lo, s26
	s_cbranch_execnz .LBB2_1072
; %bb.963:                              ;   in Loop: Header=BB2_926 Depth=2
	s_or_saveexec_b32 s26, s26
	v_mov_b32_e32 v114, s25
	s_xor_b32 exec_lo, exec_lo, s26
	s_cbranch_execnz .LBB2_1075
.LBB2_964:                              ;   in Loop: Header=BB2_926 Depth=2
	s_or_b32 exec_lo, exec_lo, s26
	s_and_saveexec_b32 s25, s11
	s_cbranch_execz .LBB2_966
.LBB2_965:                              ;   in Loop: Header=BB2_926 Depth=2
	v_and_b32_e32 v114, 3, v101
	v_lshrrev_b16 v118, 2, v101
	s_delay_alu instid0(VALU_DEP_2) | instskip(NEXT) | instid1(VALU_DEP_2)
	v_clz_i32_u32_e32 v116, v114
	v_and_b32_e32 v118, 31, v118
	s_delay_alu instid0(VALU_DEP_2) | instskip(NEXT) | instid1(VALU_DEP_2)
	v_min_u32_e32 v116, 32, v116
	v_cmp_eq_u32_e32 vcc_lo, 0, v118
	s_delay_alu instid0(VALU_DEP_2) | instskip(SKIP_1) | instid1(VALU_DEP_1)
	v_subrev_nc_u32_e32 v117, 29, v116
	v_sub_nc_u32_e32 v116, 30, v116
	v_dual_cndmask_b32 v116, v118, v116 :: v_dual_lshlrev_b32 v117, v117, v101
	v_lshlrev_b32_e32 v101, 24, v101
	s_delay_alu instid0(VALU_DEP_2) | instskip(NEXT) | instid1(VALU_DEP_3)
	v_and_b32_e32 v117, 3, v117
	v_lshl_add_u32 v116, v116, 23, 0x37800000
	s_delay_alu instid0(VALU_DEP_3) | instskip(NEXT) | instid1(VALU_DEP_3)
	v_and_b32_e32 v101, 0x80000000, v101
	v_cndmask_b32_e32 v114, v114, v117, vcc_lo
	s_delay_alu instid0(VALU_DEP_1) | instskip(NEXT) | instid1(VALU_DEP_1)
	v_lshlrev_b32_e32 v114, 21, v114
	v_or3_b32 v114, v101, v116, v114
.LBB2_966:                              ;   in Loop: Header=BB2_926 Depth=2
	s_or_b32 exec_lo, exec_lo, s25
	s_delay_alu instid0(VALU_DEP_1) | instskip(NEXT) | instid1(VALU_DEP_1)
	v_mul_f32_e32 v114, v115, v114
	v_and_b32_e32 v101, 0x7f800000, v114
	s_delay_alu instid0(VALU_DEP_1)
	v_cmp_ne_u32_e32 vcc_lo, 0x7f800000, v101
	v_mov_b32_e32 v101, 0x80
	s_and_saveexec_b32 s25, vcc_lo
	s_cbranch_execz .LBB2_974
; %bb.967:                              ;   in Loop: Header=BB2_926 Depth=2
	v_mov_b32_e32 v101, 0
	s_mov_b32 s26, exec_lo
	v_cmpx_ne_u32_e32 0, v114
	s_cbranch_execz .LBB2_973
; %bb.968:                              ;   in Loop: Header=BB2_926 Depth=2
	v_bfe_u32 v101, v114, 23, 8
	s_delay_alu instid0(VALU_DEP_1) | instskip(SKIP_1) | instid1(VALU_DEP_2)
	v_sub_nc_u32_e32 v116, 0x70, v101
	v_cmp_gt_u32_e32 vcc_lo, 0x71, v101
	v_dual_cndmask_b32 v116, 0, v116 :: v_dual_and_b32 v115, 0x7fffff, v114
	s_delay_alu instid0(VALU_DEP_1) | instskip(SKIP_2) | instid1(VALU_DEP_4)
	v_or_b32_e32 v117, 0x800000, v115
	v_cmp_eq_u32_e32 vcc_lo, 0, v101
	v_add_nc_u32_e32 v101, 0xffffff91, v101
	v_cndmask_b32_e64 v116, v116, 0x6f, vcc_lo
	s_delay_alu instid0(VALU_DEP_2) | instskip(SKIP_1) | instid1(VALU_DEP_3)
	v_cndmask_b32_e64 v101, v101, 0xffffff92, vcc_lo
	v_cndmask_b32_e32 v115, v117, v115, vcc_lo
	v_lshl_add_u32 v117, 0x200000, v116, -1
	v_lshlrev_b32_e64 v128, v116, 0x100000
	s_delay_alu instid0(VALU_DEP_3) | instskip(SKIP_1) | instid1(VALU_DEP_4)
	v_lshrrev_b32_e32 v118, v116, v115
	v_add_nc_u32_e32 v116, v116, v101
	v_and_b32_e32 v115, v117, v115
	s_delay_alu instid0(VALU_DEP_3) | instskip(NEXT) | instid1(VALU_DEP_2)
	v_bfe_u32 v119, v118, 21, 1
	v_cmp_eq_u32_e64 s11, v115, v128
	s_delay_alu instid0(VALU_DEP_2) | instskip(NEXT) | instid1(VALU_DEP_1)
	v_add_nc_u32_e32 v117, -1, v119
	v_cndmask_b32_e64 v115, 0, v117, s11
	v_lshrrev_b32_e32 v117, 23, v118
	s_mov_b32 s11, exec_lo
	s_delay_alu instid0(VALU_DEP_2) | instskip(NEXT) | instid1(VALU_DEP_2)
	v_add_nc_u32_e32 v115, v115, v118
	v_xor_b32_e32 v117, 1, v117
	s_delay_alu instid0(VALU_DEP_2) | instskip(NEXT) | instid1(VALU_DEP_1)
	v_and_b32_e32 v101, 0x1fffff, v115
	v_add_nc_u32_e32 v115, v101, v118
                                        ; implicit-def: $vgpr101
	s_delay_alu instid0(VALU_DEP_3)
	v_cmpx_ne_u32_e64 v116, v117
	s_xor_b32 s11, exec_lo, s11
; %bb.969:                              ;   in Loop: Header=BB2_926 Depth=2
	s_delay_alu instid0(VALU_DEP_2) | instskip(SKIP_2) | instid1(VALU_DEP_2)
	v_cmp_lt_u32_e32 vcc_lo, 0xffffff, v115
	v_sub_nc_u32_e32 v101, v116, v117
	v_cndmask_b32_e64 v116, 0, 1, vcc_lo
	v_add_co_ci_u32_e32 v101, vcc_lo, 0, v101, vcc_lo
	s_delay_alu instid0(VALU_DEP_2)
	v_lshrrev_b32_e32 v115, v116, v115
; %bb.970:                              ;   in Loop: Header=BB2_926 Depth=2
	s_and_not1_saveexec_b32 s11, s11
; %bb.971:                              ;   in Loop: Header=BB2_926 Depth=2
	s_delay_alu instid0(VALU_DEP_1)
	v_bfe_u32 v101, v115, 23, 1
; %bb.972:                              ;   in Loop: Header=BB2_926 Depth=2
	s_or_b32 exec_lo, exec_lo, s11
	v_lshrrev_b32_e32 v115, 21, v115
	s_delay_alu instid0(VALU_DEP_2) | instskip(SKIP_2) | instid1(VALU_DEP_2)
	v_cmp_gt_i32_e32 vcc_lo, 32, v101
	v_lshrrev_b32_e32 v114, 24, v114
	v_min_i32_e32 v116, 31, v101
	v_dual_cndmask_b32 v115, 3, v115 :: v_dual_and_b32 v114, 0x80, v114
	s_delay_alu instid0(VALU_DEP_1) | instskip(SKIP_1) | instid1(VALU_DEP_2)
	v_or_b32_e32 v101, v101, v115
	v_and_b32_e32 v117, 3, v115
	v_cmp_ne_u32_e32 vcc_lo, 0, v101
	v_lshlrev_b32_e32 v116, 2, v116
	s_delay_alu instid0(VALU_DEP_1) | instskip(NEXT) | instid1(VALU_DEP_1)
	v_or3_b32 v114, v116, v114, v117
	v_cndmask_b32_e32 v101, 0, v114, vcc_lo
.LBB2_973:                              ;   in Loop: Header=BB2_926 Depth=2
	s_or_b32 exec_lo, exec_lo, s26
.LBB2_974:                              ;   in Loop: Header=BB2_926 Depth=2
	s_delay_alu instid0(SALU_CYCLE_1) | instskip(SKIP_3) | instid1(VALU_DEP_1)
	s_or_b32 exec_lo, exec_lo, s25
	v_and_b32_e32 v115, 0xff, v113
	s_mov_b32 s11, 0
	s_mov_b32 s26, exec_lo
                                        ; implicit-def: $sgpr25
	v_cmpx_lt_i16_e32 0x7f, v115
	s_xor_b32 s26, exec_lo, s26
	s_cbranch_execnz .LBB2_1076
; %bb.975:                              ;   in Loop: Header=BB2_926 Depth=2
	s_or_saveexec_b32 s26, s26
	v_mov_b32_e32 v114, s25
	s_xor_b32 exec_lo, exec_lo, s26
	s_cbranch_execnz .LBB2_1079
.LBB2_976:                              ;   in Loop: Header=BB2_926 Depth=2
	s_or_b32 exec_lo, exec_lo, s26
	s_and_saveexec_b32 s25, s11
	s_cbranch_execz .LBB2_978
.LBB2_977:                              ;   in Loop: Header=BB2_926 Depth=2
	v_lshrrev_b16 v117, 2, v113
	s_delay_alu instid0(VALU_DEP_1) | instskip(NEXT) | instid1(VALU_DEP_1)
	v_and_b32_e32 v117, 31, v117
	v_cmp_eq_u32_e32 vcc_lo, 0, v117
	v_and_b32_e32 v114, 3, v113
	s_delay_alu instid0(VALU_DEP_1) | instskip(NEXT) | instid1(VALU_DEP_1)
	v_clz_i32_u32_e32 v115, v114
	v_min_u32_e32 v115, 32, v115
	s_delay_alu instid0(VALU_DEP_1) | instskip(SKIP_1) | instid1(VALU_DEP_1)
	v_subrev_nc_u32_e32 v116, 29, v115
	v_sub_nc_u32_e32 v115, 30, v115
	v_dual_cndmask_b32 v115, v117, v115 :: v_dual_lshlrev_b32 v116, v116, v113
	v_lshlrev_b32_e32 v113, 24, v113
	s_delay_alu instid0(VALU_DEP_2) | instskip(NEXT) | instid1(VALU_DEP_3)
	v_and_b32_e32 v116, 3, v116
	v_lshl_add_u32 v115, v115, 23, 0x37800000
	s_delay_alu instid0(VALU_DEP_2) | instskip(NEXT) | instid1(VALU_DEP_1)
	v_dual_cndmask_b32 v114, v114, v116 :: v_dual_and_b32 v113, 0x80000000, v113
	v_lshlrev_b32_e32 v114, 21, v114
	s_delay_alu instid0(VALU_DEP_1)
	v_or3_b32 v114, v113, v115, v114
.LBB2_978:                              ;   in Loop: Header=BB2_926 Depth=2
	s_or_b32 exec_lo, exec_lo, s25
	s_waitcnt vmcnt(4) lgkmcnt(4)
	v_and_b32_e32 v115, 0xff, v112
	s_mov_b32 s11, 0
	s_mov_b32 s26, exec_lo
                                        ; implicit-def: $sgpr25
	s_delay_alu instid0(VALU_DEP_1)
	v_cmpx_lt_i16_e32 0x7f, v115
	s_xor_b32 s26, exec_lo, s26
	s_cbranch_execnz .LBB2_1080
; %bb.979:                              ;   in Loop: Header=BB2_926 Depth=2
	s_or_saveexec_b32 s26, s26
	v_mov_b32_e32 v113, s25
	s_xor_b32 exec_lo, exec_lo, s26
	s_cbranch_execnz .LBB2_1083
.LBB2_980:                              ;   in Loop: Header=BB2_926 Depth=2
	s_or_b32 exec_lo, exec_lo, s26
	s_and_saveexec_b32 s25, s11
	s_cbranch_execz .LBB2_982
.LBB2_981:                              ;   in Loop: Header=BB2_926 Depth=2
	v_and_b32_e32 v113, 3, v112
	v_lshrrev_b16 v117, 2, v112
	s_delay_alu instid0(VALU_DEP_2) | instskip(NEXT) | instid1(VALU_DEP_2)
	v_clz_i32_u32_e32 v115, v113
	v_and_b32_e32 v117, 31, v117
	s_delay_alu instid0(VALU_DEP_2) | instskip(NEXT) | instid1(VALU_DEP_2)
	v_min_u32_e32 v115, 32, v115
	v_cmp_eq_u32_e32 vcc_lo, 0, v117
	s_delay_alu instid0(VALU_DEP_2) | instskip(SKIP_1) | instid1(VALU_DEP_1)
	v_subrev_nc_u32_e32 v116, 29, v115
	v_sub_nc_u32_e32 v115, 30, v115
	v_dual_cndmask_b32 v115, v117, v115 :: v_dual_lshlrev_b32 v116, v116, v112
	v_lshlrev_b32_e32 v112, 24, v112
	s_delay_alu instid0(VALU_DEP_2) | instskip(NEXT) | instid1(VALU_DEP_3)
	v_and_b32_e32 v116, 3, v116
	v_lshl_add_u32 v115, v115, 23, 0x37800000
	s_delay_alu instid0(VALU_DEP_3) | instskip(NEXT) | instid1(VALU_DEP_3)
	v_and_b32_e32 v112, 0x80000000, v112
	v_cndmask_b32_e32 v113, v113, v116, vcc_lo
	s_delay_alu instid0(VALU_DEP_1) | instskip(NEXT) | instid1(VALU_DEP_1)
	v_lshlrev_b32_e32 v113, 21, v113
	v_or3_b32 v113, v112, v115, v113
.LBB2_982:                              ;   in Loop: Header=BB2_926 Depth=2
	s_or_b32 exec_lo, exec_lo, s25
	s_delay_alu instid0(VALU_DEP_1) | instskip(NEXT) | instid1(VALU_DEP_1)
	v_mul_f32_e32 v113, v114, v113
	v_and_b32_e32 v112, 0x7f800000, v113
	s_delay_alu instid0(VALU_DEP_1)
	v_cmp_ne_u32_e32 vcc_lo, 0x7f800000, v112
	v_mov_b32_e32 v112, 0x80
	s_and_saveexec_b32 s25, vcc_lo
	s_cbranch_execz .LBB2_990
; %bb.983:                              ;   in Loop: Header=BB2_926 Depth=2
	v_mov_b32_e32 v112, 0
	s_mov_b32 s26, exec_lo
	v_cmpx_ne_u32_e32 0, v113
	s_cbranch_execz .LBB2_989
; %bb.984:                              ;   in Loop: Header=BB2_926 Depth=2
	v_bfe_u32 v112, v113, 23, 8
	s_delay_alu instid0(VALU_DEP_1) | instskip(SKIP_1) | instid1(VALU_DEP_2)
	v_sub_nc_u32_e32 v115, 0x70, v112
	v_cmp_gt_u32_e32 vcc_lo, 0x71, v112
	v_dual_cndmask_b32 v115, 0, v115 :: v_dual_and_b32 v114, 0x7fffff, v113
	s_delay_alu instid0(VALU_DEP_1) | instskip(SKIP_2) | instid1(VALU_DEP_4)
	v_or_b32_e32 v116, 0x800000, v114
	v_cmp_eq_u32_e32 vcc_lo, 0, v112
	v_add_nc_u32_e32 v112, 0xffffff91, v112
	v_cndmask_b32_e64 v115, v115, 0x6f, vcc_lo
	s_delay_alu instid0(VALU_DEP_2) | instskip(SKIP_1) | instid1(VALU_DEP_3)
	v_cndmask_b32_e64 v112, v112, 0xffffff92, vcc_lo
	v_cndmask_b32_e32 v114, v116, v114, vcc_lo
	v_lshl_add_u32 v116, 0x200000, v115, -1
	v_lshlrev_b32_e64 v119, v115, 0x100000
	s_delay_alu instid0(VALU_DEP_3) | instskip(SKIP_1) | instid1(VALU_DEP_4)
	v_lshrrev_b32_e32 v117, v115, v114
	v_add_nc_u32_e32 v115, v115, v112
	v_and_b32_e32 v114, v116, v114
	s_delay_alu instid0(VALU_DEP_3) | instskip(NEXT) | instid1(VALU_DEP_2)
	v_bfe_u32 v118, v117, 21, 1
	v_cmp_eq_u32_e64 s11, v114, v119
	s_delay_alu instid0(VALU_DEP_2) | instskip(NEXT) | instid1(VALU_DEP_1)
	v_add_nc_u32_e32 v116, -1, v118
	v_cndmask_b32_e64 v114, 0, v116, s11
	v_lshrrev_b32_e32 v116, 23, v117
	s_mov_b32 s11, exec_lo
	s_delay_alu instid0(VALU_DEP_2) | instskip(NEXT) | instid1(VALU_DEP_2)
	v_add_nc_u32_e32 v114, v114, v117
	v_xor_b32_e32 v116, 1, v116
	s_delay_alu instid0(VALU_DEP_2) | instskip(NEXT) | instid1(VALU_DEP_1)
	v_and_b32_e32 v112, 0x1fffff, v114
	v_add_nc_u32_e32 v114, v112, v117
                                        ; implicit-def: $vgpr112
	s_delay_alu instid0(VALU_DEP_3)
	v_cmpx_ne_u32_e64 v115, v116
	s_xor_b32 s11, exec_lo, s11
; %bb.985:                              ;   in Loop: Header=BB2_926 Depth=2
	s_delay_alu instid0(VALU_DEP_2) | instskip(SKIP_2) | instid1(VALU_DEP_2)
	v_cmp_lt_u32_e32 vcc_lo, 0xffffff, v114
	v_sub_nc_u32_e32 v112, v115, v116
	v_cndmask_b32_e64 v115, 0, 1, vcc_lo
	v_add_co_ci_u32_e32 v112, vcc_lo, 0, v112, vcc_lo
	s_delay_alu instid0(VALU_DEP_2)
	v_lshrrev_b32_e32 v114, v115, v114
; %bb.986:                              ;   in Loop: Header=BB2_926 Depth=2
	s_and_not1_saveexec_b32 s11, s11
; %bb.987:                              ;   in Loop: Header=BB2_926 Depth=2
	s_delay_alu instid0(VALU_DEP_1)
	v_bfe_u32 v112, v114, 23, 1
; %bb.988:                              ;   in Loop: Header=BB2_926 Depth=2
	s_or_b32 exec_lo, exec_lo, s11
	v_lshrrev_b32_e32 v114, 21, v114
	s_delay_alu instid0(VALU_DEP_2) | instskip(SKIP_2) | instid1(VALU_DEP_2)
	v_cmp_gt_i32_e32 vcc_lo, 32, v112
	v_lshrrev_b32_e32 v113, 24, v113
	v_min_i32_e32 v115, 31, v112
	v_dual_cndmask_b32 v114, 3, v114 :: v_dual_and_b32 v113, 0x80, v113
	s_delay_alu instid0(VALU_DEP_1) | instskip(SKIP_1) | instid1(VALU_DEP_2)
	v_or_b32_e32 v112, v112, v114
	v_and_b32_e32 v116, 3, v114
	v_cmp_ne_u32_e32 vcc_lo, 0, v112
	v_lshlrev_b32_e32 v115, 2, v115
	s_delay_alu instid0(VALU_DEP_1) | instskip(NEXT) | instid1(VALU_DEP_1)
	v_or3_b32 v113, v115, v113, v116
	v_cndmask_b32_e32 v112, 0, v113, vcc_lo
.LBB2_989:                              ;   in Loop: Header=BB2_926 Depth=2
	s_or_b32 exec_lo, exec_lo, s26
.LBB2_990:                              ;   in Loop: Header=BB2_926 Depth=2
	s_delay_alu instid0(SALU_CYCLE_1) | instskip(SKIP_3) | instid1(VALU_DEP_1)
	s_or_b32 exec_lo, exec_lo, s25
	v_and_b32_e32 v114, 0xff, v103
	s_mov_b32 s11, 0
	s_mov_b32 s26, exec_lo
                                        ; implicit-def: $sgpr25
	v_cmpx_lt_i16_e32 0x7f, v114
	s_xor_b32 s26, exec_lo, s26
	s_cbranch_execnz .LBB2_1084
; %bb.991:                              ;   in Loop: Header=BB2_926 Depth=2
	s_or_saveexec_b32 s26, s26
	v_mov_b32_e32 v113, s25
	s_xor_b32 exec_lo, exec_lo, s26
	s_cbranch_execnz .LBB2_1087
.LBB2_992:                              ;   in Loop: Header=BB2_926 Depth=2
	s_or_b32 exec_lo, exec_lo, s26
	s_and_saveexec_b32 s25, s11
	s_cbranch_execz .LBB2_994
.LBB2_993:                              ;   in Loop: Header=BB2_926 Depth=2
	v_lshrrev_b16 v116, 2, v103
	s_delay_alu instid0(VALU_DEP_1) | instskip(NEXT) | instid1(VALU_DEP_1)
	v_and_b32_e32 v116, 31, v116
	v_cmp_eq_u32_e32 vcc_lo, 0, v116
	v_and_b32_e32 v113, 3, v103
	s_delay_alu instid0(VALU_DEP_1) | instskip(NEXT) | instid1(VALU_DEP_1)
	v_clz_i32_u32_e32 v114, v113
	v_min_u32_e32 v114, 32, v114
	s_delay_alu instid0(VALU_DEP_1) | instskip(SKIP_1) | instid1(VALU_DEP_1)
	v_subrev_nc_u32_e32 v115, 29, v114
	v_sub_nc_u32_e32 v114, 30, v114
	v_dual_cndmask_b32 v114, v116, v114 :: v_dual_lshlrev_b32 v115, v115, v103
	v_lshlrev_b32_e32 v103, 24, v103
	s_delay_alu instid0(VALU_DEP_2) | instskip(NEXT) | instid1(VALU_DEP_3)
	v_and_b32_e32 v115, 3, v115
	v_lshl_add_u32 v114, v114, 23, 0x37800000
	s_delay_alu instid0(VALU_DEP_3) | instskip(NEXT) | instid1(VALU_DEP_3)
	v_and_b32_e32 v103, 0x80000000, v103
	v_cndmask_b32_e32 v113, v113, v115, vcc_lo
	s_delay_alu instid0(VALU_DEP_1) | instskip(NEXT) | instid1(VALU_DEP_1)
	v_lshlrev_b32_e32 v113, 21, v113
	v_or3_b32 v113, v103, v114, v113
.LBB2_994:                              ;   in Loop: Header=BB2_926 Depth=2
	s_or_b32 exec_lo, exec_lo, s25
	s_waitcnt vmcnt(3) lgkmcnt(3)
	v_and_b32_e32 v114, 0xff, v102
	s_mov_b32 s11, 0
	s_mov_b32 s26, exec_lo
                                        ; implicit-def: $sgpr25
	s_delay_alu instid0(VALU_DEP_1)
	v_cmpx_lt_i16_e32 0x7f, v114
	s_xor_b32 s26, exec_lo, s26
	s_cbranch_execnz .LBB2_1088
; %bb.995:                              ;   in Loop: Header=BB2_926 Depth=2
	s_or_saveexec_b32 s26, s26
	v_mov_b32_e32 v103, s25
	s_xor_b32 exec_lo, exec_lo, s26
	s_cbranch_execnz .LBB2_1091
.LBB2_996:                              ;   in Loop: Header=BB2_926 Depth=2
	s_or_b32 exec_lo, exec_lo, s26
	s_and_saveexec_b32 s25, s11
	s_cbranch_execz .LBB2_998
.LBB2_997:                              ;   in Loop: Header=BB2_926 Depth=2
	v_and_b32_e32 v103, 3, v102
	v_lshrrev_b16 v116, 2, v102
	s_delay_alu instid0(VALU_DEP_2) | instskip(NEXT) | instid1(VALU_DEP_1)
	v_clz_i32_u32_e32 v114, v103
	v_min_u32_e32 v114, 32, v114
	s_delay_alu instid0(VALU_DEP_1) | instskip(SKIP_1) | instid1(VALU_DEP_2)
	v_subrev_nc_u32_e32 v115, 29, v114
	v_sub_nc_u32_e32 v114, 30, v114
	v_lshlrev_b32_e32 v115, v115, v102
	v_lshlrev_b32_e32 v102, 24, v102
	s_delay_alu instid0(VALU_DEP_2) | instskip(SKIP_1) | instid1(VALU_DEP_3)
	v_and_b32_e32 v115, 3, v115
	v_and_b32_e32 v116, 31, v116
	;; [unrolled: 1-line block ×3, first 2 shown]
	s_delay_alu instid0(VALU_DEP_2) | instskip(NEXT) | instid1(VALU_DEP_4)
	v_cmp_eq_u32_e32 vcc_lo, 0, v116
	v_dual_cndmask_b32 v103, v103, v115 :: v_dual_cndmask_b32 v114, v116, v114
	s_delay_alu instid0(VALU_DEP_1) | instskip(NEXT) | instid1(VALU_DEP_2)
	v_lshlrev_b32_e32 v103, 21, v103
	v_lshl_add_u32 v114, v114, 23, 0x37800000
	s_delay_alu instid0(VALU_DEP_1)
	v_or3_b32 v103, v102, v114, v103
.LBB2_998:                              ;   in Loop: Header=BB2_926 Depth=2
	s_or_b32 exec_lo, exec_lo, s25
	s_delay_alu instid0(VALU_DEP_1) | instskip(NEXT) | instid1(VALU_DEP_1)
	v_mul_f32_e32 v103, v113, v103
	v_and_b32_e32 v102, 0x7f800000, v103
	s_delay_alu instid0(VALU_DEP_1)
	v_cmp_ne_u32_e32 vcc_lo, 0x7f800000, v102
	v_mov_b32_e32 v102, 0x80
	s_and_saveexec_b32 s25, vcc_lo
	s_cbranch_execz .LBB2_1006
; %bb.999:                              ;   in Loop: Header=BB2_926 Depth=2
	v_mov_b32_e32 v102, 0
	s_mov_b32 s26, exec_lo
	v_cmpx_ne_u32_e32 0, v103
	s_cbranch_execz .LBB2_1005
; %bb.1000:                             ;   in Loop: Header=BB2_926 Depth=2
	v_bfe_u32 v102, v103, 23, 8
	s_delay_alu instid0(VALU_DEP_1) | instskip(SKIP_1) | instid1(VALU_DEP_2)
	v_sub_nc_u32_e32 v114, 0x70, v102
	v_cmp_gt_u32_e32 vcc_lo, 0x71, v102
	v_dual_cndmask_b32 v114, 0, v114 :: v_dual_and_b32 v113, 0x7fffff, v103
	s_delay_alu instid0(VALU_DEP_1) | instskip(SKIP_2) | instid1(VALU_DEP_4)
	v_or_b32_e32 v115, 0x800000, v113
	v_cmp_eq_u32_e32 vcc_lo, 0, v102
	v_add_nc_u32_e32 v102, 0xffffff91, v102
	v_cndmask_b32_e64 v114, v114, 0x6f, vcc_lo
	s_delay_alu instid0(VALU_DEP_4) | instskip(NEXT) | instid1(VALU_DEP_3)
	v_cndmask_b32_e32 v113, v115, v113, vcc_lo
	v_cndmask_b32_e64 v102, v102, 0xffffff92, vcc_lo
	s_delay_alu instid0(VALU_DEP_3) | instskip(NEXT) | instid1(VALU_DEP_3)
	v_lshl_add_u32 v115, 0x200000, v114, -1
	v_lshrrev_b32_e32 v116, v114, v113
	v_lshlrev_b32_e64 v118, v114, 0x100000
	s_delay_alu instid0(VALU_DEP_4) | instskip(NEXT) | instid1(VALU_DEP_4)
	v_add_nc_u32_e32 v114, v114, v102
	v_and_b32_e32 v113, v115, v113
	s_delay_alu instid0(VALU_DEP_4) | instskip(NEXT) | instid1(VALU_DEP_2)
	v_bfe_u32 v117, v116, 21, 1
	v_cmp_eq_u32_e64 s11, v113, v118
	s_delay_alu instid0(VALU_DEP_2) | instskip(NEXT) | instid1(VALU_DEP_1)
	v_add_nc_u32_e32 v115, -1, v117
	v_cndmask_b32_e64 v113, 0, v115, s11
	v_lshrrev_b32_e32 v115, 23, v116
	s_mov_b32 s11, exec_lo
	s_delay_alu instid0(VALU_DEP_2) | instskip(NEXT) | instid1(VALU_DEP_2)
	v_add_nc_u32_e32 v113, v113, v116
	v_xor_b32_e32 v115, 1, v115
	s_delay_alu instid0(VALU_DEP_2) | instskip(NEXT) | instid1(VALU_DEP_1)
	v_and_b32_e32 v102, 0x1fffff, v113
	v_add_nc_u32_e32 v113, v102, v116
                                        ; implicit-def: $vgpr102
	s_delay_alu instid0(VALU_DEP_3)
	v_cmpx_ne_u32_e64 v114, v115
	s_xor_b32 s11, exec_lo, s11
; %bb.1001:                             ;   in Loop: Header=BB2_926 Depth=2
	s_delay_alu instid0(VALU_DEP_2) | instskip(SKIP_2) | instid1(VALU_DEP_2)
	v_cmp_lt_u32_e32 vcc_lo, 0xffffff, v113
	v_sub_nc_u32_e32 v102, v114, v115
	v_cndmask_b32_e64 v114, 0, 1, vcc_lo
	v_add_co_ci_u32_e32 v102, vcc_lo, 0, v102, vcc_lo
	s_delay_alu instid0(VALU_DEP_2)
	v_lshrrev_b32_e32 v113, v114, v113
; %bb.1002:                             ;   in Loop: Header=BB2_926 Depth=2
	s_and_not1_saveexec_b32 s11, s11
; %bb.1003:                             ;   in Loop: Header=BB2_926 Depth=2
	s_delay_alu instid0(VALU_DEP_1)
	v_bfe_u32 v102, v113, 23, 1
; %bb.1004:                             ;   in Loop: Header=BB2_926 Depth=2
	s_or_b32 exec_lo, exec_lo, s11
	v_lshrrev_b32_e32 v113, 21, v113
	s_delay_alu instid0(VALU_DEP_2) | instskip(SKIP_2) | instid1(VALU_DEP_2)
	v_cmp_gt_i32_e32 vcc_lo, 32, v102
	v_min_i32_e32 v114, 31, v102
	v_lshrrev_b32_e32 v103, 24, v103
	v_dual_cndmask_b32 v113, 3, v113 :: v_dual_lshlrev_b32 v114, 2, v114
	s_delay_alu instid0(VALU_DEP_2) | instskip(NEXT) | instid1(VALU_DEP_2)
	v_and_b32_e32 v103, 0x80, v103
	v_or_b32_e32 v102, v102, v113
	s_delay_alu instid0(VALU_DEP_1) | instskip(SKIP_1) | instid1(VALU_DEP_1)
	v_cmp_ne_u32_e32 vcc_lo, 0, v102
	v_and_b32_e32 v115, 3, v113
	v_or3_b32 v103, v114, v103, v115
	s_delay_alu instid0(VALU_DEP_1)
	v_cndmask_b32_e32 v102, 0, v103, vcc_lo
.LBB2_1005:                             ;   in Loop: Header=BB2_926 Depth=2
	s_or_b32 exec_lo, exec_lo, s26
.LBB2_1006:                             ;   in Loop: Header=BB2_926 Depth=2
	s_delay_alu instid0(SALU_CYCLE_1) | instskip(SKIP_3) | instid1(VALU_DEP_1)
	s_or_b32 exec_lo, exec_lo, s25
	v_and_b32_e32 v113, 0xff, v100
	s_mov_b32 s11, 0
	s_mov_b32 s26, exec_lo
                                        ; implicit-def: $sgpr25
	v_cmpx_lt_i16_e32 0x7f, v113
	s_xor_b32 s26, exec_lo, s26
	s_cbranch_execnz .LBB2_1092
; %bb.1007:                             ;   in Loop: Header=BB2_926 Depth=2
	s_or_saveexec_b32 s26, s26
	v_mov_b32_e32 v103, s25
	s_xor_b32 exec_lo, exec_lo, s26
	s_cbranch_execnz .LBB2_1095
.LBB2_1008:                             ;   in Loop: Header=BB2_926 Depth=2
	s_or_b32 exec_lo, exec_lo, s26
	s_and_saveexec_b32 s25, s11
	s_cbranch_execz .LBB2_1010
.LBB2_1009:                             ;   in Loop: Header=BB2_926 Depth=2
	v_and_b32_e32 v103, 3, v100
	v_lshrrev_b16 v115, 2, v100
	s_delay_alu instid0(VALU_DEP_2) | instskip(NEXT) | instid1(VALU_DEP_2)
	v_clz_i32_u32_e32 v113, v103
	v_and_b32_e32 v115, 31, v115
	s_delay_alu instid0(VALU_DEP_2) | instskip(NEXT) | instid1(VALU_DEP_2)
	v_min_u32_e32 v113, 32, v113
	v_cmp_eq_u32_e32 vcc_lo, 0, v115
	s_delay_alu instid0(VALU_DEP_2) | instskip(SKIP_1) | instid1(VALU_DEP_1)
	v_subrev_nc_u32_e32 v114, 29, v113
	v_sub_nc_u32_e32 v113, 30, v113
	v_dual_cndmask_b32 v113, v115, v113 :: v_dual_lshlrev_b32 v114, v114, v100
	s_delay_alu instid0(VALU_DEP_1) | instskip(SKIP_1) | instid1(VALU_DEP_3)
	v_and_b32_e32 v114, 3, v114
	v_lshlrev_b32_e32 v100, 24, v100
	v_lshl_add_u32 v113, v113, 23, 0x37800000
	s_delay_alu instid0(VALU_DEP_2) | instskip(NEXT) | instid1(VALU_DEP_1)
	v_dual_cndmask_b32 v103, v103, v114 :: v_dual_and_b32 v100, 0x80000000, v100
	v_lshlrev_b32_e32 v103, 21, v103
	s_delay_alu instid0(VALU_DEP_1)
	v_or3_b32 v103, v100, v113, v103
.LBB2_1010:                             ;   in Loop: Header=BB2_926 Depth=2
	s_or_b32 exec_lo, exec_lo, s25
	s_waitcnt vmcnt(2) lgkmcnt(2)
	v_and_b32_e32 v113, 0xff, v99
	s_mov_b32 s11, 0
	s_mov_b32 s26, exec_lo
                                        ; implicit-def: $sgpr25
	s_delay_alu instid0(VALU_DEP_1)
	v_cmpx_lt_i16_e32 0x7f, v113
	s_xor_b32 s26, exec_lo, s26
	s_cbranch_execnz .LBB2_1096
; %bb.1011:                             ;   in Loop: Header=BB2_926 Depth=2
	s_or_saveexec_b32 s26, s26
	v_mov_b32_e32 v100, s25
	s_xor_b32 exec_lo, exec_lo, s26
	s_cbranch_execnz .LBB2_1099
.LBB2_1012:                             ;   in Loop: Header=BB2_926 Depth=2
	s_or_b32 exec_lo, exec_lo, s26
	s_and_saveexec_b32 s25, s11
	s_cbranch_execz .LBB2_1014
.LBB2_1013:                             ;   in Loop: Header=BB2_926 Depth=2
	v_lshrrev_b16 v115, 2, v99
	s_delay_alu instid0(VALU_DEP_1) | instskip(NEXT) | instid1(VALU_DEP_1)
	v_and_b32_e32 v115, 31, v115
	v_cmp_eq_u32_e32 vcc_lo, 0, v115
	v_and_b32_e32 v100, 3, v99
	s_delay_alu instid0(VALU_DEP_1) | instskip(NEXT) | instid1(VALU_DEP_1)
	v_clz_i32_u32_e32 v113, v100
	v_min_u32_e32 v113, 32, v113
	s_delay_alu instid0(VALU_DEP_1) | instskip(SKIP_1) | instid1(VALU_DEP_1)
	v_subrev_nc_u32_e32 v114, 29, v113
	v_sub_nc_u32_e32 v113, 30, v113
	v_dual_cndmask_b32 v113, v115, v113 :: v_dual_lshlrev_b32 v114, v114, v99
	v_lshlrev_b32_e32 v99, 24, v99
	s_delay_alu instid0(VALU_DEP_2) | instskip(NEXT) | instid1(VALU_DEP_3)
	v_and_b32_e32 v114, 3, v114
	v_lshl_add_u32 v113, v113, 23, 0x37800000
	s_delay_alu instid0(VALU_DEP_2) | instskip(NEXT) | instid1(VALU_DEP_1)
	v_dual_cndmask_b32 v100, v100, v114 :: v_dual_and_b32 v99, 0x80000000, v99
	v_lshlrev_b32_e32 v100, 21, v100
	s_delay_alu instid0(VALU_DEP_1)
	v_or3_b32 v100, v99, v113, v100
.LBB2_1014:                             ;   in Loop: Header=BB2_926 Depth=2
	s_or_b32 exec_lo, exec_lo, s25
	s_delay_alu instid0(VALU_DEP_1) | instskip(NEXT) | instid1(VALU_DEP_1)
	v_mul_f32_e32 v100, v103, v100
	v_and_b32_e32 v99, 0x7f800000, v100
	s_delay_alu instid0(VALU_DEP_1)
	v_cmp_ne_u32_e32 vcc_lo, 0x7f800000, v99
	v_mov_b32_e32 v99, 0x80
	s_and_saveexec_b32 s25, vcc_lo
	s_cbranch_execz .LBB2_1022
; %bb.1015:                             ;   in Loop: Header=BB2_926 Depth=2
	v_mov_b32_e32 v99, 0
	s_mov_b32 s26, exec_lo
	v_cmpx_ne_u32_e32 0, v100
	s_cbranch_execz .LBB2_1021
; %bb.1016:                             ;   in Loop: Header=BB2_926 Depth=2
	v_bfe_u32 v99, v100, 23, 8
	v_and_b32_e32 v103, 0x7fffff, v100
	s_delay_alu instid0(VALU_DEP_2) | instskip(SKIP_1) | instid1(VALU_DEP_3)
	v_sub_nc_u32_e32 v113, 0x70, v99
	v_cmp_gt_u32_e32 vcc_lo, 0x71, v99
	v_or_b32_e32 v114, 0x800000, v103
	s_delay_alu instid0(VALU_DEP_3) | instskip(SKIP_2) | instid1(VALU_DEP_3)
	v_cndmask_b32_e32 v113, 0, v113, vcc_lo
	v_cmp_eq_u32_e32 vcc_lo, 0, v99
	v_add_nc_u32_e32 v99, 0xffffff91, v99
	v_cndmask_b32_e64 v113, v113, 0x6f, vcc_lo
	v_cndmask_b32_e32 v103, v114, v103, vcc_lo
	s_delay_alu instid0(VALU_DEP_3) | instskip(NEXT) | instid1(VALU_DEP_3)
	v_cndmask_b32_e64 v99, v99, 0xffffff92, vcc_lo
	v_lshl_add_u32 v114, 0x200000, v113, -1
	s_delay_alu instid0(VALU_DEP_3) | instskip(SKIP_1) | instid1(VALU_DEP_4)
	v_lshrrev_b32_e32 v115, v113, v103
	v_lshlrev_b32_e64 v117, v113, 0x100000
	v_add_nc_u32_e32 v113, v113, v99
	s_delay_alu instid0(VALU_DEP_4) | instskip(NEXT) | instid1(VALU_DEP_4)
	v_and_b32_e32 v103, v114, v103
	v_bfe_u32 v116, v115, 21, 1
	s_delay_alu instid0(VALU_DEP_2) | instskip(NEXT) | instid1(VALU_DEP_2)
	v_cmp_eq_u32_e64 s11, v103, v117
	v_add_nc_u32_e32 v114, -1, v116
	s_delay_alu instid0(VALU_DEP_1) | instskip(SKIP_2) | instid1(VALU_DEP_2)
	v_cndmask_b32_e64 v103, 0, v114, s11
	v_lshrrev_b32_e32 v114, 23, v115
	s_mov_b32 s11, exec_lo
	v_add_nc_u32_e32 v103, v103, v115
	s_delay_alu instid0(VALU_DEP_2) | instskip(NEXT) | instid1(VALU_DEP_2)
	v_xor_b32_e32 v114, 1, v114
	v_and_b32_e32 v99, 0x1fffff, v103
	s_delay_alu instid0(VALU_DEP_1) | instskip(NEXT) | instid1(VALU_DEP_3)
	v_add_nc_u32_e32 v103, v99, v115
                                        ; implicit-def: $vgpr99
	v_cmpx_ne_u32_e64 v113, v114
	s_xor_b32 s11, exec_lo, s11
; %bb.1017:                             ;   in Loop: Header=BB2_926 Depth=2
	s_delay_alu instid0(VALU_DEP_2) | instskip(SKIP_2) | instid1(VALU_DEP_2)
	v_cmp_lt_u32_e32 vcc_lo, 0xffffff, v103
	v_sub_nc_u32_e32 v99, v113, v114
	v_cndmask_b32_e64 v113, 0, 1, vcc_lo
	v_add_co_ci_u32_e32 v99, vcc_lo, 0, v99, vcc_lo
	s_delay_alu instid0(VALU_DEP_2)
	v_lshrrev_b32_e32 v103, v113, v103
; %bb.1018:                             ;   in Loop: Header=BB2_926 Depth=2
	s_and_not1_saveexec_b32 s11, s11
; %bb.1019:                             ;   in Loop: Header=BB2_926 Depth=2
	s_delay_alu instid0(VALU_DEP_1)
	v_bfe_u32 v99, v103, 23, 1
; %bb.1020:                             ;   in Loop: Header=BB2_926 Depth=2
	s_or_b32 exec_lo, exec_lo, s11
	v_lshrrev_b32_e32 v103, 21, v103
	s_delay_alu instid0(VALU_DEP_2) | instskip(SKIP_2) | instid1(VALU_DEP_2)
	v_cmp_gt_i32_e32 vcc_lo, 32, v99
	v_lshrrev_b32_e32 v100, 24, v100
	v_min_i32_e32 v113, 31, v99
	v_dual_cndmask_b32 v103, 3, v103 :: v_dual_and_b32 v100, 0x80, v100
	s_delay_alu instid0(VALU_DEP_2) | instskip(NEXT) | instid1(VALU_DEP_2)
	v_lshlrev_b32_e32 v113, 2, v113
	v_or_b32_e32 v99, v99, v103
	s_delay_alu instid0(VALU_DEP_1) | instskip(SKIP_1) | instid1(VALU_DEP_1)
	v_cmp_ne_u32_e32 vcc_lo, 0, v99
	v_and_b32_e32 v114, 3, v103
	v_or3_b32 v100, v113, v100, v114
	s_delay_alu instid0(VALU_DEP_1)
	v_cndmask_b32_e32 v99, 0, v100, vcc_lo
.LBB2_1021:                             ;   in Loop: Header=BB2_926 Depth=2
	s_or_b32 exec_lo, exec_lo, s26
.LBB2_1022:                             ;   in Loop: Header=BB2_926 Depth=2
	s_delay_alu instid0(SALU_CYCLE_1) | instskip(SKIP_3) | instid1(VALU_DEP_1)
	s_or_b32 exec_lo, exec_lo, s25
	v_and_b32_e32 v103, 0xff, v55
	s_mov_b32 s11, 0
	s_mov_b32 s26, exec_lo
                                        ; implicit-def: $sgpr25
	v_cmpx_lt_i16_e32 0x7f, v103
	s_xor_b32 s26, exec_lo, s26
	s_cbranch_execnz .LBB2_1100
; %bb.1023:                             ;   in Loop: Header=BB2_926 Depth=2
	s_or_saveexec_b32 s26, s26
	v_mov_b32_e32 v100, s25
	s_xor_b32 exec_lo, exec_lo, s26
	s_cbranch_execnz .LBB2_1103
.LBB2_1024:                             ;   in Loop: Header=BB2_926 Depth=2
	s_or_b32 exec_lo, exec_lo, s26
	s_and_saveexec_b32 s25, s11
	s_cbranch_execz .LBB2_1026
.LBB2_1025:                             ;   in Loop: Header=BB2_926 Depth=2
	v_and_b32_e32 v100, 3, v55
	v_lshrrev_b16 v114, 2, v55
	s_delay_alu instid0(VALU_DEP_2) | instskip(NEXT) | instid1(VALU_DEP_2)
	v_clz_i32_u32_e32 v103, v100
	v_and_b32_e32 v114, 31, v114
	s_delay_alu instid0(VALU_DEP_2) | instskip(NEXT) | instid1(VALU_DEP_2)
	v_min_u32_e32 v103, 32, v103
	v_cmp_eq_u32_e32 vcc_lo, 0, v114
	s_delay_alu instid0(VALU_DEP_2) | instskip(SKIP_1) | instid1(VALU_DEP_2)
	v_subrev_nc_u32_e32 v113, 29, v103
	v_sub_nc_u32_e32 v103, 30, v103
	v_lshlrev_b32_e32 v113, v113, v55
	s_delay_alu instid0(VALU_DEP_1) | instskip(NEXT) | instid1(VALU_DEP_1)
	v_and_b32_e32 v113, 3, v113
	v_dual_cndmask_b32 v100, v100, v113 :: v_dual_lshlrev_b32 v55, 24, v55
	s_delay_alu instid0(VALU_DEP_4) | instskip(NEXT) | instid1(VALU_DEP_2)
	v_cndmask_b32_e32 v103, v114, v103, vcc_lo
	v_and_b32_e32 v55, 0x80000000, v55
	s_delay_alu instid0(VALU_DEP_3) | instskip(NEXT) | instid1(VALU_DEP_3)
	v_lshlrev_b32_e32 v100, 21, v100
	v_lshl_add_u32 v103, v103, 23, 0x37800000
	s_delay_alu instid0(VALU_DEP_1)
	v_or3_b32 v100, v55, v103, v100
.LBB2_1026:                             ;   in Loop: Header=BB2_926 Depth=2
	s_or_b32 exec_lo, exec_lo, s25
	s_waitcnt vmcnt(1) lgkmcnt(1)
	v_and_b32_e32 v103, 0xff, v54
	s_mov_b32 s11, 0
	s_mov_b32 s26, exec_lo
                                        ; implicit-def: $sgpr25
	s_delay_alu instid0(VALU_DEP_1)
	v_cmpx_lt_i16_e32 0x7f, v103
	s_xor_b32 s26, exec_lo, s26
	s_cbranch_execnz .LBB2_1104
; %bb.1027:                             ;   in Loop: Header=BB2_926 Depth=2
	s_or_saveexec_b32 s26, s26
	v_mov_b32_e32 v55, s25
	s_xor_b32 exec_lo, exec_lo, s26
	s_cbranch_execnz .LBB2_1107
.LBB2_1028:                             ;   in Loop: Header=BB2_926 Depth=2
	s_or_b32 exec_lo, exec_lo, s26
	s_and_saveexec_b32 s25, s11
	s_cbranch_execz .LBB2_1030
.LBB2_1029:                             ;   in Loop: Header=BB2_926 Depth=2
	v_and_b32_e32 v55, 3, v54
	v_lshrrev_b16 v114, 2, v54
	s_delay_alu instid0(VALU_DEP_2) | instskip(NEXT) | instid1(VALU_DEP_1)
	v_clz_i32_u32_e32 v103, v55
	v_min_u32_e32 v103, 32, v103
	s_delay_alu instid0(VALU_DEP_1) | instskip(SKIP_1) | instid1(VALU_DEP_2)
	v_subrev_nc_u32_e32 v113, 29, v103
	v_sub_nc_u32_e32 v103, 30, v103
	v_lshlrev_b32_e32 v113, v113, v54
	s_delay_alu instid0(VALU_DEP_1) | instskip(SKIP_1) | instid1(VALU_DEP_1)
	v_and_b32_e32 v113, 3, v113
	v_and_b32_e32 v114, 31, v114
	v_cmp_eq_u32_e32 vcc_lo, 0, v114
	s_delay_alu instid0(VALU_DEP_3) | instskip(SKIP_1) | instid1(VALU_DEP_2)
	v_dual_cndmask_b32 v55, v55, v113 :: v_dual_lshlrev_b32 v54, 24, v54
	v_cndmask_b32_e32 v103, v114, v103, vcc_lo
	v_lshlrev_b32_e32 v55, 21, v55
	s_delay_alu instid0(VALU_DEP_3) | instskip(NEXT) | instid1(VALU_DEP_3)
	v_and_b32_e32 v54, 0x80000000, v54
	v_lshl_add_u32 v103, v103, 23, 0x37800000
	s_delay_alu instid0(VALU_DEP_1)
	v_or3_b32 v55, v54, v103, v55
.LBB2_1030:                             ;   in Loop: Header=BB2_926 Depth=2
	s_or_b32 exec_lo, exec_lo, s25
	s_delay_alu instid0(VALU_DEP_1) | instskip(NEXT) | instid1(VALU_DEP_1)
	v_mul_f32_e32 v55, v100, v55
	v_and_b32_e32 v54, 0x7f800000, v55
	s_delay_alu instid0(VALU_DEP_1)
	v_cmp_ne_u32_e32 vcc_lo, 0x7f800000, v54
	v_mov_b32_e32 v54, 0x80
	s_and_saveexec_b32 s25, vcc_lo
	s_cbranch_execz .LBB2_1038
; %bb.1031:                             ;   in Loop: Header=BB2_926 Depth=2
	v_mov_b32_e32 v54, 0
	s_mov_b32 s26, exec_lo
	v_cmpx_ne_u32_e32 0, v55
	s_cbranch_execz .LBB2_1037
; %bb.1032:                             ;   in Loop: Header=BB2_926 Depth=2
	v_bfe_u32 v54, v55, 23, 8
	v_and_b32_e32 v100, 0x7fffff, v55
	s_delay_alu instid0(VALU_DEP_2) | instskip(SKIP_1) | instid1(VALU_DEP_3)
	v_sub_nc_u32_e32 v103, 0x70, v54
	v_cmp_gt_u32_e32 vcc_lo, 0x71, v54
	v_or_b32_e32 v113, 0x800000, v100
	s_delay_alu instid0(VALU_DEP_3) | instskip(SKIP_2) | instid1(VALU_DEP_4)
	v_cndmask_b32_e32 v103, 0, v103, vcc_lo
	v_cmp_eq_u32_e32 vcc_lo, 0, v54
	v_add_nc_u32_e32 v54, 0xffffff91, v54
	v_cndmask_b32_e32 v100, v113, v100, vcc_lo
	s_delay_alu instid0(VALU_DEP_4) | instskip(NEXT) | instid1(VALU_DEP_3)
	v_cndmask_b32_e64 v103, v103, 0x6f, vcc_lo
	v_cndmask_b32_e64 v54, v54, 0xffffff92, vcc_lo
	s_delay_alu instid0(VALU_DEP_2) | instskip(SKIP_2) | instid1(VALU_DEP_4)
	v_lshrrev_b32_e32 v114, v103, v100
	v_lshl_add_u32 v113, 0x200000, v103, -1
	v_lshlrev_b32_e64 v116, v103, 0x100000
	v_add_nc_u32_e32 v103, v103, v54
	s_delay_alu instid0(VALU_DEP_4) | instskip(NEXT) | instid1(VALU_DEP_4)
	v_bfe_u32 v115, v114, 21, 1
	v_and_b32_e32 v100, v113, v100
	s_delay_alu instid0(VALU_DEP_2) | instskip(NEXT) | instid1(VALU_DEP_2)
	v_add_nc_u32_e32 v113, -1, v115
	v_cmp_eq_u32_e64 s11, v100, v116
	s_delay_alu instid0(VALU_DEP_1) | instskip(SKIP_2) | instid1(VALU_DEP_2)
	v_cndmask_b32_e64 v100, 0, v113, s11
	v_lshrrev_b32_e32 v113, 23, v114
	s_mov_b32 s11, exec_lo
	v_add_nc_u32_e32 v100, v100, v114
	s_delay_alu instid0(VALU_DEP_2) | instskip(NEXT) | instid1(VALU_DEP_2)
	v_xor_b32_e32 v113, 1, v113
	v_and_b32_e32 v54, 0x1fffff, v100
	s_delay_alu instid0(VALU_DEP_1) | instskip(NEXT) | instid1(VALU_DEP_3)
	v_add_nc_u32_e32 v100, v54, v114
                                        ; implicit-def: $vgpr54
	v_cmpx_ne_u32_e64 v103, v113
	s_xor_b32 s11, exec_lo, s11
; %bb.1033:                             ;   in Loop: Header=BB2_926 Depth=2
	s_delay_alu instid0(VALU_DEP_2) | instskip(SKIP_2) | instid1(VALU_DEP_2)
	v_cmp_lt_u32_e32 vcc_lo, 0xffffff, v100
	v_sub_nc_u32_e32 v54, v103, v113
	v_cndmask_b32_e64 v103, 0, 1, vcc_lo
	v_add_co_ci_u32_e32 v54, vcc_lo, 0, v54, vcc_lo
	s_delay_alu instid0(VALU_DEP_2)
	v_lshrrev_b32_e32 v100, v103, v100
; %bb.1034:                             ;   in Loop: Header=BB2_926 Depth=2
	s_and_not1_saveexec_b32 s11, s11
; %bb.1035:                             ;   in Loop: Header=BB2_926 Depth=2
	s_delay_alu instid0(VALU_DEP_1)
	v_bfe_u32 v54, v100, 23, 1
; %bb.1036:                             ;   in Loop: Header=BB2_926 Depth=2
	s_or_b32 exec_lo, exec_lo, s11
	v_lshrrev_b32_e32 v100, 21, v100
	s_delay_alu instid0(VALU_DEP_2) | instskip(SKIP_2) | instid1(VALU_DEP_2)
	v_cmp_gt_i32_e32 vcc_lo, 32, v54
	v_lshrrev_b32_e32 v55, 24, v55
	v_min_i32_e32 v103, 31, v54
	v_dual_cndmask_b32 v100, 3, v100 :: v_dual_and_b32 v55, 0x80, v55
	s_delay_alu instid0(VALU_DEP_2) | instskip(NEXT) | instid1(VALU_DEP_2)
	v_lshlrev_b32_e32 v103, 2, v103
	v_or_b32_e32 v54, v54, v100
	s_delay_alu instid0(VALU_DEP_1) | instskip(SKIP_1) | instid1(VALU_DEP_1)
	v_cmp_ne_u32_e32 vcc_lo, 0, v54
	v_and_b32_e32 v113, 3, v100
	v_or3_b32 v55, v103, v55, v113
	s_delay_alu instid0(VALU_DEP_1)
	v_cndmask_b32_e32 v54, 0, v55, vcc_lo
.LBB2_1037:                             ;   in Loop: Header=BB2_926 Depth=2
	s_or_b32 exec_lo, exec_lo, s26
.LBB2_1038:                             ;   in Loop: Header=BB2_926 Depth=2
	s_delay_alu instid0(SALU_CYCLE_1) | instskip(SKIP_3) | instid1(VALU_DEP_1)
	s_or_b32 exec_lo, exec_lo, s25
	v_and_b32_e32 v100, 0xff, v52
	s_mov_b32 s11, 0
	s_mov_b32 s26, exec_lo
                                        ; implicit-def: $sgpr25
	v_cmpx_lt_i16_e32 0x7f, v100
	s_xor_b32 s26, exec_lo, s26
	s_cbranch_execnz .LBB2_1108
; %bb.1039:                             ;   in Loop: Header=BB2_926 Depth=2
	s_or_saveexec_b32 s26, s26
	v_mov_b32_e32 v55, s25
	s_xor_b32 exec_lo, exec_lo, s26
	s_cbranch_execnz .LBB2_1111
.LBB2_1040:                             ;   in Loop: Header=BB2_926 Depth=2
	s_or_b32 exec_lo, exec_lo, s26
	s_and_saveexec_b32 s25, s11
	s_cbranch_execz .LBB2_1042
.LBB2_1041:                             ;   in Loop: Header=BB2_926 Depth=2
	v_and_b32_e32 v55, 3, v52
	v_lshrrev_b16 v113, 2, v52
	s_delay_alu instid0(VALU_DEP_2) | instskip(NEXT) | instid1(VALU_DEP_2)
	v_clz_i32_u32_e32 v100, v55
	v_and_b32_e32 v113, 31, v113
	s_delay_alu instid0(VALU_DEP_2) | instskip(NEXT) | instid1(VALU_DEP_2)
	v_min_u32_e32 v100, 32, v100
	v_cmp_eq_u32_e32 vcc_lo, 0, v113
	s_delay_alu instid0(VALU_DEP_2) | instskip(SKIP_1) | instid1(VALU_DEP_2)
	v_subrev_nc_u32_e32 v103, 29, v100
	v_sub_nc_u32_e32 v100, 30, v100
	v_lshlrev_b32_e32 v103, v103, v52
	s_delay_alu instid0(VALU_DEP_1) | instskip(SKIP_1) | instid1(VALU_DEP_2)
	v_dual_cndmask_b32 v100, v113, v100 :: v_dual_and_b32 v103, 3, v103
	v_lshlrev_b32_e32 v52, 24, v52
	v_lshl_add_u32 v100, v100, 23, 0x37800000
	s_delay_alu instid0(VALU_DEP_2) | instskip(NEXT) | instid1(VALU_DEP_1)
	v_dual_cndmask_b32 v55, v55, v103 :: v_dual_and_b32 v52, 0x80000000, v52
	v_lshlrev_b32_e32 v55, 21, v55
	s_delay_alu instid0(VALU_DEP_1)
	v_or3_b32 v55, v52, v100, v55
.LBB2_1042:                             ;   in Loop: Header=BB2_926 Depth=2
	s_or_b32 exec_lo, exec_lo, s25
	s_waitcnt vmcnt(0) lgkmcnt(0)
	v_and_b32_e32 v100, 0xff, v51
	s_mov_b32 s11, 0
	s_mov_b32 s26, exec_lo
                                        ; implicit-def: $sgpr25
	s_delay_alu instid0(VALU_DEP_1)
	v_cmpx_lt_i16_e32 0x7f, v100
	s_xor_b32 s26, exec_lo, s26
	s_cbranch_execnz .LBB2_1112
; %bb.1043:                             ;   in Loop: Header=BB2_926 Depth=2
	s_or_saveexec_b32 s26, s26
	v_mov_b32_e32 v52, s25
	s_xor_b32 exec_lo, exec_lo, s26
	s_cbranch_execnz .LBB2_1115
.LBB2_1044:                             ;   in Loop: Header=BB2_926 Depth=2
	s_or_b32 exec_lo, exec_lo, s26
	s_and_saveexec_b32 s25, s11
	s_cbranch_execz .LBB2_1046
.LBB2_1045:                             ;   in Loop: Header=BB2_926 Depth=2
	v_and_b32_e32 v52, 3, v51
	v_lshrrev_b16 v113, 2, v51
	s_delay_alu instid0(VALU_DEP_2) | instskip(NEXT) | instid1(VALU_DEP_2)
	v_clz_i32_u32_e32 v100, v52
	v_and_b32_e32 v113, 31, v113
	s_delay_alu instid0(VALU_DEP_2) | instskip(NEXT) | instid1(VALU_DEP_2)
	v_min_u32_e32 v100, 32, v100
	v_cmp_eq_u32_e32 vcc_lo, 0, v113
	s_delay_alu instid0(VALU_DEP_2) | instskip(SKIP_1) | instid1(VALU_DEP_1)
	v_subrev_nc_u32_e32 v103, 29, v100
	v_sub_nc_u32_e32 v100, 30, v100
	v_dual_cndmask_b32 v100, v113, v100 :: v_dual_lshlrev_b32 v103, v103, v51
	v_lshlrev_b32_e32 v51, 24, v51
	s_delay_alu instid0(VALU_DEP_2) | instskip(NEXT) | instid1(VALU_DEP_3)
	v_and_b32_e32 v103, 3, v103
	v_lshl_add_u32 v100, v100, 23, 0x37800000
	s_delay_alu instid0(VALU_DEP_3) | instskip(NEXT) | instid1(VALU_DEP_3)
	v_and_b32_e32 v51, 0x80000000, v51
	v_cndmask_b32_e32 v52, v52, v103, vcc_lo
	s_delay_alu instid0(VALU_DEP_1) | instskip(NEXT) | instid1(VALU_DEP_1)
	v_lshlrev_b32_e32 v52, 21, v52
	v_or3_b32 v52, v51, v100, v52
.LBB2_1046:                             ;   in Loop: Header=BB2_926 Depth=2
	s_or_b32 exec_lo, exec_lo, s25
	s_delay_alu instid0(VALU_DEP_1) | instskip(NEXT) | instid1(VALU_DEP_1)
	v_mul_f32_e32 v51, v55, v52
	v_and_b32_e32 v52, 0x7f800000, v51
	s_delay_alu instid0(VALU_DEP_1)
	v_cmp_ne_u32_e32 vcc_lo, 0x7f800000, v52
	v_mov_b32_e32 v52, 0x80
	s_and_saveexec_b32 s25, vcc_lo
	s_cbranch_execz .LBB2_925
; %bb.1047:                             ;   in Loop: Header=BB2_926 Depth=2
	v_mov_b32_e32 v52, 0
	s_mov_b32 s26, exec_lo
	v_cmpx_ne_u32_e32 0, v51
	s_cbranch_execz .LBB2_924
; %bb.1048:                             ;   in Loop: Header=BB2_926 Depth=2
	v_bfe_u32 v52, v51, 23, 8
	s_delay_alu instid0(VALU_DEP_1) | instskip(SKIP_1) | instid1(VALU_DEP_2)
	v_sub_nc_u32_e32 v100, 0x70, v52
	v_cmp_gt_u32_e32 vcc_lo, 0x71, v52
	v_dual_cndmask_b32 v100, 0, v100 :: v_dual_and_b32 v55, 0x7fffff, v51
	s_delay_alu instid0(VALU_DEP_1) | instskip(SKIP_2) | instid1(VALU_DEP_4)
	v_or_b32_e32 v103, 0x800000, v55
	v_cmp_eq_u32_e32 vcc_lo, 0, v52
	v_add_nc_u32_e32 v52, 0xffffff91, v52
	v_cndmask_b32_e64 v100, v100, 0x6f, vcc_lo
	s_delay_alu instid0(VALU_DEP_4) | instskip(NEXT) | instid1(VALU_DEP_3)
	v_cndmask_b32_e32 v55, v103, v55, vcc_lo
	v_cndmask_b32_e64 v52, v52, 0xffffff92, vcc_lo
	s_delay_alu instid0(VALU_DEP_3) | instskip(NEXT) | instid1(VALU_DEP_3)
	v_lshl_add_u32 v103, 0x200000, v100, -1
	v_lshrrev_b32_e32 v113, v100, v55
	v_lshlrev_b32_e64 v115, v100, 0x100000
	s_delay_alu instid0(VALU_DEP_4) | instskip(NEXT) | instid1(VALU_DEP_4)
	v_add_nc_u32_e32 v100, v100, v52
	v_and_b32_e32 v55, v103, v55
	s_delay_alu instid0(VALU_DEP_4) | instskip(NEXT) | instid1(VALU_DEP_2)
	v_bfe_u32 v114, v113, 21, 1
	v_cmp_eq_u32_e64 s11, v55, v115
	s_delay_alu instid0(VALU_DEP_2) | instskip(NEXT) | instid1(VALU_DEP_1)
	v_add_nc_u32_e32 v103, -1, v114
	v_cndmask_b32_e64 v55, 0, v103, s11
	v_lshrrev_b32_e32 v103, 23, v113
	s_mov_b32 s11, exec_lo
	s_delay_alu instid0(VALU_DEP_2) | instskip(NEXT) | instid1(VALU_DEP_2)
	v_add_nc_u32_e32 v55, v55, v113
	v_xor_b32_e32 v103, 1, v103
	s_delay_alu instid0(VALU_DEP_2) | instskip(NEXT) | instid1(VALU_DEP_1)
	v_and_b32_e32 v52, 0x1fffff, v55
	v_add_nc_u32_e32 v55, v52, v113
                                        ; implicit-def: $vgpr52
	s_delay_alu instid0(VALU_DEP_3)
	v_cmpx_ne_u32_e64 v100, v103
	s_xor_b32 s11, exec_lo, s11
; %bb.1049:                             ;   in Loop: Header=BB2_926 Depth=2
	s_delay_alu instid0(VALU_DEP_2) | instskip(SKIP_2) | instid1(VALU_DEP_2)
	v_cmp_lt_u32_e32 vcc_lo, 0xffffff, v55
	v_sub_nc_u32_e32 v52, v100, v103
	v_cndmask_b32_e64 v100, 0, 1, vcc_lo
	v_add_co_ci_u32_e32 v52, vcc_lo, 0, v52, vcc_lo
	s_delay_alu instid0(VALU_DEP_2)
	v_lshrrev_b32_e32 v55, v100, v55
; %bb.1050:                             ;   in Loop: Header=BB2_926 Depth=2
	s_and_not1_saveexec_b32 s11, s11
	s_cbranch_execz .LBB2_923
; %bb.1051:                             ;   in Loop: Header=BB2_926 Depth=2
	s_delay_alu instid0(VALU_DEP_1)
	v_bfe_u32 v52, v55, 23, 1
	s_branch .LBB2_923
.LBB2_1052:                             ;   in Loop: Header=BB2_926 Depth=2
	s_mov_b32 s11, -1
	s_mov_b32 s27, exec_lo
                                        ; implicit-def: $sgpr25
	v_cmpx_eq_u16_e32 0x80, v117
; %bb.1053:                             ;   in Loop: Header=BB2_926 Depth=2
	s_mov_b32 s25, 0x7f800001
	s_xor_b32 s11, exec_lo, -1
; %bb.1054:                             ;   in Loop: Header=BB2_926 Depth=2
	s_or_b32 exec_lo, exec_lo, s27
	s_delay_alu instid0(SALU_CYCLE_1)
	s_and_b32 s11, s11, exec_lo
	s_or_saveexec_b32 s26, s26
	v_mov_b32_e32 v116, s25
	s_xor_b32 exec_lo, exec_lo, s26
	s_cbranch_execz .LBB2_928
.LBB2_1055:                             ;   in Loop: Header=BB2_926 Depth=2
	v_cmp_ne_u16_e32 vcc_lo, 0, v117
	v_mov_b32_e32 v116, 0
	s_and_not1_b32 s11, s11, exec_lo
	s_and_b32 s25, vcc_lo, exec_lo
	s_delay_alu instid0(SALU_CYCLE_1)
	s_or_b32 s11, s11, s25
	s_or_b32 exec_lo, exec_lo, s26
	s_and_saveexec_b32 s25, s11
	s_cbranch_execnz .LBB2_929
	s_branch .LBB2_930
.LBB2_1056:                             ;   in Loop: Header=BB2_926 Depth=2
	s_mov_b32 s11, -1
	s_mov_b32 s27, exec_lo
                                        ; implicit-def: $sgpr25
	v_cmpx_eq_u16_e32 0x80, v118
; %bb.1057:                             ;   in Loop: Header=BB2_926 Depth=2
	s_mov_b32 s25, 0x7f800001
	s_xor_b32 s11, exec_lo, -1
; %bb.1058:                             ;   in Loop: Header=BB2_926 Depth=2
	s_or_b32 exec_lo, exec_lo, s27
	s_delay_alu instid0(SALU_CYCLE_1)
	s_and_b32 s11, s11, exec_lo
                                        ; implicit-def: $vgpr118
	s_or_saveexec_b32 s26, s26
	v_mov_b32_e32 v117, s25
	s_xor_b32 exec_lo, exec_lo, s26
	s_cbranch_execz .LBB2_932
.LBB2_1059:                             ;   in Loop: Header=BB2_926 Depth=2
	v_cmp_ne_u16_e32 vcc_lo, 0, v118
	v_mov_b32_e32 v117, 0
	s_and_not1_b32 s11, s11, exec_lo
	s_and_b32 s25, vcc_lo, exec_lo
	s_delay_alu instid0(SALU_CYCLE_1)
	s_or_b32 s11, s11, s25
	s_or_b32 exec_lo, exec_lo, s26
	s_and_saveexec_b32 s25, s11
	s_cbranch_execnz .LBB2_933
	s_branch .LBB2_934
.LBB2_1060:                             ;   in Loop: Header=BB2_926 Depth=2
	s_mov_b32 s11, -1
	s_mov_b32 s27, exec_lo
                                        ; implicit-def: $sgpr25
	v_cmpx_eq_u16_e32 0x80, v117
; %bb.1061:                             ;   in Loop: Header=BB2_926 Depth=2
	s_mov_b32 s25, 0x7f800001
	s_xor_b32 s11, exec_lo, -1
; %bb.1062:                             ;   in Loop: Header=BB2_926 Depth=2
	s_or_b32 exec_lo, exec_lo, s27
	s_delay_alu instid0(SALU_CYCLE_1)
	s_and_b32 s11, s11, exec_lo
                                        ; implicit-def: $vgpr117
	s_or_saveexec_b32 s26, s26
	v_mov_b32_e32 v116, s25
	s_xor_b32 exec_lo, exec_lo, s26
	s_cbranch_execz .LBB2_944
.LBB2_1063:                             ;   in Loop: Header=BB2_926 Depth=2
	v_cmp_ne_u16_e32 vcc_lo, 0, v117
	v_mov_b32_e32 v116, 0
	s_and_not1_b32 s11, s11, exec_lo
	s_and_b32 s25, vcc_lo, exec_lo
	s_delay_alu instid0(SALU_CYCLE_1)
	s_or_b32 s11, s11, s25
	s_or_b32 exec_lo, exec_lo, s26
	s_and_saveexec_b32 s25, s11
	s_cbranch_execnz .LBB2_945
	s_branch .LBB2_946
.LBB2_1064:                             ;   in Loop: Header=BB2_926 Depth=2
	s_mov_b32 s11, -1
	s_mov_b32 s27, exec_lo
                                        ; implicit-def: $sgpr25
	v_cmpx_eq_u16_e32 0x80, v117
; %bb.1065:                             ;   in Loop: Header=BB2_926 Depth=2
	s_mov_b32 s25, 0x7f800001
	s_xor_b32 s11, exec_lo, -1
; %bb.1066:                             ;   in Loop: Header=BB2_926 Depth=2
	s_or_b32 exec_lo, exec_lo, s27
	s_delay_alu instid0(SALU_CYCLE_1)
	s_and_b32 s11, s11, exec_lo
                                        ; implicit-def: $vgpr117
	s_or_saveexec_b32 s26, s26
	v_mov_b32_e32 v115, s25
	s_xor_b32 exec_lo, exec_lo, s26
	s_cbranch_execz .LBB2_948
.LBB2_1067:                             ;   in Loop: Header=BB2_926 Depth=2
	v_cmp_ne_u16_e32 vcc_lo, 0, v117
	v_mov_b32_e32 v115, 0
	s_and_not1_b32 s11, s11, exec_lo
	s_and_b32 s25, vcc_lo, exec_lo
	s_delay_alu instid0(SALU_CYCLE_1)
	s_or_b32 s11, s11, s25
	s_or_b32 exec_lo, exec_lo, s26
	s_and_saveexec_b32 s25, s11
	s_cbranch_execnz .LBB2_949
	s_branch .LBB2_950
.LBB2_1068:                             ;   in Loop: Header=BB2_926 Depth=2
	s_mov_b32 s11, -1
	s_mov_b32 s27, exec_lo
                                        ; implicit-def: $sgpr25
	v_cmpx_eq_u16_e32 0x80, v116
; %bb.1069:                             ;   in Loop: Header=BB2_926 Depth=2
	s_mov_b32 s25, 0x7f800001
	s_xor_b32 s11, exec_lo, -1
; %bb.1070:                             ;   in Loop: Header=BB2_926 Depth=2
	s_or_b32 exec_lo, exec_lo, s27
	s_delay_alu instid0(SALU_CYCLE_1)
	s_and_b32 s11, s11, exec_lo
                                        ; implicit-def: $vgpr116
	s_or_saveexec_b32 s26, s26
	v_mov_b32_e32 v115, s25
	s_xor_b32 exec_lo, exec_lo, s26
	s_cbranch_execz .LBB2_960
.LBB2_1071:                             ;   in Loop: Header=BB2_926 Depth=2
	v_cmp_ne_u16_e32 vcc_lo, 0, v116
	v_mov_b32_e32 v115, 0
	s_and_not1_b32 s11, s11, exec_lo
	s_and_b32 s25, vcc_lo, exec_lo
	s_delay_alu instid0(SALU_CYCLE_1)
	s_or_b32 s11, s11, s25
	s_or_b32 exec_lo, exec_lo, s26
	s_and_saveexec_b32 s25, s11
	s_cbranch_execnz .LBB2_961
	s_branch .LBB2_962
.LBB2_1072:                             ;   in Loop: Header=BB2_926 Depth=2
	s_mov_b32 s11, -1
	s_mov_b32 s27, exec_lo
                                        ; implicit-def: $sgpr25
	v_cmpx_eq_u16_e32 0x80, v116
; %bb.1073:                             ;   in Loop: Header=BB2_926 Depth=2
	s_mov_b32 s25, 0x7f800001
	s_xor_b32 s11, exec_lo, -1
; %bb.1074:                             ;   in Loop: Header=BB2_926 Depth=2
	s_or_b32 exec_lo, exec_lo, s27
	s_delay_alu instid0(SALU_CYCLE_1)
	s_and_b32 s11, s11, exec_lo
                                        ; implicit-def: $vgpr116
	s_or_saveexec_b32 s26, s26
	v_mov_b32_e32 v114, s25
	s_xor_b32 exec_lo, exec_lo, s26
	s_cbranch_execz .LBB2_964
.LBB2_1075:                             ;   in Loop: Header=BB2_926 Depth=2
	v_cmp_ne_u16_e32 vcc_lo, 0, v116
	v_mov_b32_e32 v114, 0
	s_and_not1_b32 s11, s11, exec_lo
	s_and_b32 s25, vcc_lo, exec_lo
	s_delay_alu instid0(SALU_CYCLE_1)
	s_or_b32 s11, s11, s25
	s_or_b32 exec_lo, exec_lo, s26
	s_and_saveexec_b32 s25, s11
	s_cbranch_execnz .LBB2_965
	s_branch .LBB2_966
.LBB2_1076:                             ;   in Loop: Header=BB2_926 Depth=2
	s_mov_b32 s11, -1
	s_mov_b32 s27, exec_lo
                                        ; implicit-def: $sgpr25
	v_cmpx_eq_u16_e32 0x80, v115
; %bb.1077:                             ;   in Loop: Header=BB2_926 Depth=2
	s_mov_b32 s25, 0x7f800001
	s_xor_b32 s11, exec_lo, -1
; %bb.1078:                             ;   in Loop: Header=BB2_926 Depth=2
	s_or_b32 exec_lo, exec_lo, s27
	s_delay_alu instid0(SALU_CYCLE_1)
	s_and_b32 s11, s11, exec_lo
                                        ; implicit-def: $vgpr115
	s_or_saveexec_b32 s26, s26
	v_mov_b32_e32 v114, s25
	s_xor_b32 exec_lo, exec_lo, s26
	s_cbranch_execz .LBB2_976
.LBB2_1079:                             ;   in Loop: Header=BB2_926 Depth=2
	v_cmp_ne_u16_e32 vcc_lo, 0, v115
	v_mov_b32_e32 v114, 0
	s_and_not1_b32 s11, s11, exec_lo
	s_and_b32 s25, vcc_lo, exec_lo
	s_delay_alu instid0(SALU_CYCLE_1)
	s_or_b32 s11, s11, s25
	s_or_b32 exec_lo, exec_lo, s26
	s_and_saveexec_b32 s25, s11
	s_cbranch_execnz .LBB2_977
	s_branch .LBB2_978
.LBB2_1080:                             ;   in Loop: Header=BB2_926 Depth=2
	s_mov_b32 s11, -1
	s_mov_b32 s27, exec_lo
                                        ; implicit-def: $sgpr25
	v_cmpx_eq_u16_e32 0x80, v115
; %bb.1081:                             ;   in Loop: Header=BB2_926 Depth=2
	s_mov_b32 s25, 0x7f800001
	s_xor_b32 s11, exec_lo, -1
; %bb.1082:                             ;   in Loop: Header=BB2_926 Depth=2
	s_or_b32 exec_lo, exec_lo, s27
	s_delay_alu instid0(SALU_CYCLE_1)
	s_and_b32 s11, s11, exec_lo
                                        ; implicit-def: $vgpr115
	s_or_saveexec_b32 s26, s26
	v_mov_b32_e32 v113, s25
	s_xor_b32 exec_lo, exec_lo, s26
	s_cbranch_execz .LBB2_980
.LBB2_1083:                             ;   in Loop: Header=BB2_926 Depth=2
	v_cmp_ne_u16_e32 vcc_lo, 0, v115
	v_mov_b32_e32 v113, 0
	s_and_not1_b32 s11, s11, exec_lo
	s_and_b32 s25, vcc_lo, exec_lo
	s_delay_alu instid0(SALU_CYCLE_1)
	s_or_b32 s11, s11, s25
	s_or_b32 exec_lo, exec_lo, s26
	s_and_saveexec_b32 s25, s11
	s_cbranch_execnz .LBB2_981
	s_branch .LBB2_982
.LBB2_1084:                             ;   in Loop: Header=BB2_926 Depth=2
	s_mov_b32 s11, -1
	s_mov_b32 s27, exec_lo
                                        ; implicit-def: $sgpr25
	v_cmpx_eq_u16_e32 0x80, v114
; %bb.1085:                             ;   in Loop: Header=BB2_926 Depth=2
	s_mov_b32 s25, 0x7f800001
	s_xor_b32 s11, exec_lo, -1
; %bb.1086:                             ;   in Loop: Header=BB2_926 Depth=2
	s_or_b32 exec_lo, exec_lo, s27
	s_delay_alu instid0(SALU_CYCLE_1)
	s_and_b32 s11, s11, exec_lo
                                        ; implicit-def: $vgpr114
	s_or_saveexec_b32 s26, s26
	v_mov_b32_e32 v113, s25
	s_xor_b32 exec_lo, exec_lo, s26
	s_cbranch_execz .LBB2_992
.LBB2_1087:                             ;   in Loop: Header=BB2_926 Depth=2
	v_cmp_ne_u16_e32 vcc_lo, 0, v114
	v_mov_b32_e32 v113, 0
	s_and_not1_b32 s11, s11, exec_lo
	s_and_b32 s25, vcc_lo, exec_lo
	s_delay_alu instid0(SALU_CYCLE_1)
	s_or_b32 s11, s11, s25
	s_or_b32 exec_lo, exec_lo, s26
	s_and_saveexec_b32 s25, s11
	s_cbranch_execnz .LBB2_993
	s_branch .LBB2_994
.LBB2_1088:                             ;   in Loop: Header=BB2_926 Depth=2
	s_mov_b32 s11, -1
	s_mov_b32 s27, exec_lo
                                        ; implicit-def: $sgpr25
	v_cmpx_eq_u16_e32 0x80, v114
; %bb.1089:                             ;   in Loop: Header=BB2_926 Depth=2
	s_mov_b32 s25, 0x7f800001
	s_xor_b32 s11, exec_lo, -1
; %bb.1090:                             ;   in Loop: Header=BB2_926 Depth=2
	s_or_b32 exec_lo, exec_lo, s27
	s_delay_alu instid0(SALU_CYCLE_1)
	s_and_b32 s11, s11, exec_lo
                                        ; implicit-def: $vgpr114
	s_or_saveexec_b32 s26, s26
	v_mov_b32_e32 v103, s25
	s_xor_b32 exec_lo, exec_lo, s26
	s_cbranch_execz .LBB2_996
.LBB2_1091:                             ;   in Loop: Header=BB2_926 Depth=2
	v_cmp_ne_u16_e32 vcc_lo, 0, v114
	v_mov_b32_e32 v103, 0
	s_and_not1_b32 s11, s11, exec_lo
	s_and_b32 s25, vcc_lo, exec_lo
	s_delay_alu instid0(SALU_CYCLE_1)
	s_or_b32 s11, s11, s25
	s_or_b32 exec_lo, exec_lo, s26
	s_and_saveexec_b32 s25, s11
	s_cbranch_execnz .LBB2_997
	s_branch .LBB2_998
.LBB2_1092:                             ;   in Loop: Header=BB2_926 Depth=2
	s_mov_b32 s11, -1
	s_mov_b32 s27, exec_lo
                                        ; implicit-def: $sgpr25
	v_cmpx_eq_u16_e32 0x80, v113
; %bb.1093:                             ;   in Loop: Header=BB2_926 Depth=2
	s_mov_b32 s25, 0x7f800001
	s_xor_b32 s11, exec_lo, -1
; %bb.1094:                             ;   in Loop: Header=BB2_926 Depth=2
	s_or_b32 exec_lo, exec_lo, s27
	s_delay_alu instid0(SALU_CYCLE_1)
	s_and_b32 s11, s11, exec_lo
                                        ; implicit-def: $vgpr113
	s_or_saveexec_b32 s26, s26
	v_mov_b32_e32 v103, s25
	s_xor_b32 exec_lo, exec_lo, s26
	s_cbranch_execz .LBB2_1008
.LBB2_1095:                             ;   in Loop: Header=BB2_926 Depth=2
	v_cmp_ne_u16_e32 vcc_lo, 0, v113
	v_mov_b32_e32 v103, 0
	s_and_not1_b32 s11, s11, exec_lo
	s_and_b32 s25, vcc_lo, exec_lo
	s_delay_alu instid0(SALU_CYCLE_1)
	s_or_b32 s11, s11, s25
	s_or_b32 exec_lo, exec_lo, s26
	s_and_saveexec_b32 s25, s11
	s_cbranch_execnz .LBB2_1009
	s_branch .LBB2_1010
.LBB2_1096:                             ;   in Loop: Header=BB2_926 Depth=2
	s_mov_b32 s11, -1
	s_mov_b32 s27, exec_lo
                                        ; implicit-def: $sgpr25
	v_cmpx_eq_u16_e32 0x80, v113
; %bb.1097:                             ;   in Loop: Header=BB2_926 Depth=2
	s_mov_b32 s25, 0x7f800001
	s_xor_b32 s11, exec_lo, -1
; %bb.1098:                             ;   in Loop: Header=BB2_926 Depth=2
	s_or_b32 exec_lo, exec_lo, s27
	s_delay_alu instid0(SALU_CYCLE_1)
	s_and_b32 s11, s11, exec_lo
                                        ; implicit-def: $vgpr113
	s_or_saveexec_b32 s26, s26
	v_mov_b32_e32 v100, s25
	s_xor_b32 exec_lo, exec_lo, s26
	s_cbranch_execz .LBB2_1012
.LBB2_1099:                             ;   in Loop: Header=BB2_926 Depth=2
	v_cmp_ne_u16_e32 vcc_lo, 0, v113
	v_mov_b32_e32 v100, 0
	s_and_not1_b32 s11, s11, exec_lo
	s_and_b32 s25, vcc_lo, exec_lo
	s_delay_alu instid0(SALU_CYCLE_1)
	s_or_b32 s11, s11, s25
	s_or_b32 exec_lo, exec_lo, s26
	s_and_saveexec_b32 s25, s11
	s_cbranch_execnz .LBB2_1013
	s_branch .LBB2_1014
.LBB2_1100:                             ;   in Loop: Header=BB2_926 Depth=2
	s_mov_b32 s11, -1
	s_mov_b32 s27, exec_lo
                                        ; implicit-def: $sgpr25
	v_cmpx_eq_u16_e32 0x80, v103
; %bb.1101:                             ;   in Loop: Header=BB2_926 Depth=2
	s_mov_b32 s25, 0x7f800001
	s_xor_b32 s11, exec_lo, -1
; %bb.1102:                             ;   in Loop: Header=BB2_926 Depth=2
	s_or_b32 exec_lo, exec_lo, s27
	s_delay_alu instid0(SALU_CYCLE_1)
	s_and_b32 s11, s11, exec_lo
                                        ; implicit-def: $vgpr103
	s_or_saveexec_b32 s26, s26
	v_mov_b32_e32 v100, s25
	s_xor_b32 exec_lo, exec_lo, s26
	s_cbranch_execz .LBB2_1024
.LBB2_1103:                             ;   in Loop: Header=BB2_926 Depth=2
	v_cmp_ne_u16_e32 vcc_lo, 0, v103
	v_mov_b32_e32 v100, 0
	s_and_not1_b32 s11, s11, exec_lo
	s_and_b32 s25, vcc_lo, exec_lo
	s_delay_alu instid0(SALU_CYCLE_1)
	s_or_b32 s11, s11, s25
	s_or_b32 exec_lo, exec_lo, s26
	s_and_saveexec_b32 s25, s11
	s_cbranch_execnz .LBB2_1025
	s_branch .LBB2_1026
.LBB2_1104:                             ;   in Loop: Header=BB2_926 Depth=2
	s_mov_b32 s11, -1
	s_mov_b32 s27, exec_lo
                                        ; implicit-def: $sgpr25
	v_cmpx_eq_u16_e32 0x80, v103
; %bb.1105:                             ;   in Loop: Header=BB2_926 Depth=2
	s_mov_b32 s25, 0x7f800001
	s_xor_b32 s11, exec_lo, -1
; %bb.1106:                             ;   in Loop: Header=BB2_926 Depth=2
	s_or_b32 exec_lo, exec_lo, s27
	s_delay_alu instid0(SALU_CYCLE_1)
	s_and_b32 s11, s11, exec_lo
                                        ; implicit-def: $vgpr103
	s_or_saveexec_b32 s26, s26
	v_mov_b32_e32 v55, s25
	s_xor_b32 exec_lo, exec_lo, s26
	s_cbranch_execz .LBB2_1028
.LBB2_1107:                             ;   in Loop: Header=BB2_926 Depth=2
	v_cmp_ne_u16_e32 vcc_lo, 0, v103
	v_mov_b32_e32 v55, 0
	s_and_not1_b32 s11, s11, exec_lo
	s_and_b32 s25, vcc_lo, exec_lo
	s_delay_alu instid0(SALU_CYCLE_1)
	s_or_b32 s11, s11, s25
	s_or_b32 exec_lo, exec_lo, s26
	s_and_saveexec_b32 s25, s11
	s_cbranch_execnz .LBB2_1029
	s_branch .LBB2_1030
.LBB2_1108:                             ;   in Loop: Header=BB2_926 Depth=2
	s_mov_b32 s11, -1
	s_mov_b32 s27, exec_lo
                                        ; implicit-def: $sgpr25
	v_cmpx_eq_u16_e32 0x80, v100
; %bb.1109:                             ;   in Loop: Header=BB2_926 Depth=2
	s_mov_b32 s25, 0x7f800001
	s_xor_b32 s11, exec_lo, -1
; %bb.1110:                             ;   in Loop: Header=BB2_926 Depth=2
	s_or_b32 exec_lo, exec_lo, s27
	s_delay_alu instid0(SALU_CYCLE_1)
	s_and_b32 s11, s11, exec_lo
                                        ; implicit-def: $vgpr100
	s_or_saveexec_b32 s26, s26
	v_mov_b32_e32 v55, s25
	s_xor_b32 exec_lo, exec_lo, s26
	s_cbranch_execz .LBB2_1040
.LBB2_1111:                             ;   in Loop: Header=BB2_926 Depth=2
	v_cmp_ne_u16_e32 vcc_lo, 0, v100
	v_mov_b32_e32 v55, 0
	s_and_not1_b32 s11, s11, exec_lo
	s_and_b32 s25, vcc_lo, exec_lo
	s_delay_alu instid0(SALU_CYCLE_1)
	s_or_b32 s11, s11, s25
	s_or_b32 exec_lo, exec_lo, s26
	s_and_saveexec_b32 s25, s11
	s_cbranch_execnz .LBB2_1041
	s_branch .LBB2_1042
.LBB2_1112:                             ;   in Loop: Header=BB2_926 Depth=2
	s_mov_b32 s11, -1
	s_mov_b32 s27, exec_lo
                                        ; implicit-def: $sgpr25
	v_cmpx_eq_u16_e32 0x80, v100
; %bb.1113:                             ;   in Loop: Header=BB2_926 Depth=2
	s_mov_b32 s25, 0x7f800001
	s_xor_b32 s11, exec_lo, -1
; %bb.1114:                             ;   in Loop: Header=BB2_926 Depth=2
	s_or_b32 exec_lo, exec_lo, s27
	s_delay_alu instid0(SALU_CYCLE_1)
	s_and_b32 s11, s11, exec_lo
                                        ; implicit-def: $vgpr100
	s_or_saveexec_b32 s26, s26
	v_mov_b32_e32 v52, s25
	s_xor_b32 exec_lo, exec_lo, s26
	s_cbranch_execz .LBB2_1044
.LBB2_1115:                             ;   in Loop: Header=BB2_926 Depth=2
	v_cmp_ne_u16_e32 vcc_lo, 0, v100
	v_mov_b32_e32 v52, 0
	s_and_not1_b32 s11, s11, exec_lo
	s_and_b32 s25, vcc_lo, exec_lo
	s_delay_alu instid0(SALU_CYCLE_1)
	s_or_b32 s11, s11, s25
	s_or_b32 exec_lo, exec_lo, s26
	s_and_saveexec_b32 s25, s11
	s_cbranch_execnz .LBB2_1045
	s_branch .LBB2_1046
.LBB2_1116:                             ;   in Loop: Header=BB2_53 Depth=1
	s_or_b32 exec_lo, exec_lo, s24
.LBB2_1117:                             ;   in Loop: Header=BB2_53 Depth=1
	s_delay_alu instid0(SALU_CYCLE_1) | instskip(SKIP_1) | instid1(VALU_DEP_1)
	s_or_b32 exec_lo, exec_lo, s23
	v_and_b32_e32 v10, 0xffffff00, v97
	v_cmp_ne_u32_e32 vcc_lo, v97, v10
	s_and_b32 exec_lo, exec_lo, vcc_lo
	s_cbranch_execz .LBB2_1146
; %bb.1118:                             ;   in Loop: Header=BB2_53 Depth=1
	v_lshlrev_b32_e32 v11, 5, v17
	v_lshlrev_b32_e32 v12, 5, v50
	s_delay_alu instid0(VALU_DEP_2) | instskip(NEXT) | instid1(VALU_DEP_1)
	v_sub_nc_u32_e32 v11, v16, v11
	v_sub_nc_u32_e32 v11, v11, v12
	v_and_b32_e32 v12, 0xff, v97
	s_delay_alu instid0(VALU_DEP_1) | instskip(NEXT) | instid1(VALU_DEP_1)
	v_sub_nc_u32_e32 v16, v12, v11
	v_cmp_lt_i32_e32 vcc_lo, 0, v16
	s_and_b32 exec_lo, exec_lo, vcc_lo
	s_cbranch_execz .LBB2_1146
; %bb.1119:                             ;   in Loop: Header=BB2_53 Depth=1
	s_cbranch_execnz .LBB2_2863
; %bb.1120:                             ;   in Loop: Header=BB2_53 Depth=1
	ds_load_b128 v[12:15], v0
	ds_load_b64 v[50:51], v0
	v_add3_u32 v17, v10, v96, v11
	s_mov_b32 s23, 0
	s_delay_alu instid0(VALU_DEP_1) | instskip(SKIP_2) | instid1(VALU_DEP_2)
	v_ashrrev_i32_e32 v52, 31, v17
	s_waitcnt lgkmcnt(1)
	v_add_co_u32 v10, vcc_lo, v12, v17
	v_add_co_ci_u32_e32 v11, vcc_lo, v13, v52, vcc_lo
	v_add_co_u32 v12, vcc_lo, v14, v17
	v_add_co_ci_u32_e32 v13, vcc_lo, v15, v52, vcc_lo
	s_waitcnt lgkmcnt(0)
	v_add_co_u32 v14, vcc_lo, v50, v17
	v_add_co_ci_u32_e32 v15, vcc_lo, v51, v52, vcc_lo
	s_branch .LBB2_1124
.LBB2_1121:                             ;   in Loop: Header=BB2_1124 Depth=2
	s_or_b32 exec_lo, exec_lo, s11
	s_delay_alu instid0(VALU_DEP_1) | instskip(NEXT) | instid1(VALU_DEP_2)
	v_lshrrev_b32_e32 v51, 21, v51
	v_cmp_gt_i32_e32 vcc_lo, 32, v50
	v_min_i32_e32 v52, 31, v50
	v_lshrrev_b32_e32 v17, 24, v17
	s_delay_alu instid0(VALU_DEP_2) | instskip(NEXT) | instid1(VALU_DEP_2)
	v_dual_cndmask_b32 v51, 3, v51 :: v_dual_lshlrev_b32 v52, 2, v52
	v_and_b32_e32 v17, 0x80, v17
	s_delay_alu instid0(VALU_DEP_2) | instskip(NEXT) | instid1(VALU_DEP_1)
	v_or_b32_e32 v50, v50, v51
	v_cmp_ne_u32_e32 vcc_lo, 0, v50
	v_and_b32_e32 v53, 3, v51
	s_delay_alu instid0(VALU_DEP_1) | instskip(NEXT) | instid1(VALU_DEP_1)
	v_or3_b32 v17, v52, v17, v53
	v_cndmask_b32_e32 v50, 0, v17, vcc_lo
.LBB2_1122:                             ;   in Loop: Header=BB2_1124 Depth=2
	s_or_b32 exec_lo, exec_lo, s25
.LBB2_1123:                             ;   in Loop: Header=BB2_1124 Depth=2
	s_delay_alu instid0(SALU_CYCLE_1)
	s_or_b32 exec_lo, exec_lo, s24
	v_add_co_u32 v10, vcc_lo, v10, v83
	v_sub_nc_u32_e32 v16, v16, v83
	v_add_co_ci_u32_e32 v11, vcc_lo, v11, v86, vcc_lo
	v_add_co_u32 v12, vcc_lo, v12, v83
	v_add_co_ci_u32_e32 v13, vcc_lo, v13, v86, vcc_lo
	flat_store_b8 v[14:15], v50 glc slc dlc
	v_cmp_gt_i32_e32 vcc_lo, 1, v16
	v_add_co_u32 v14, s11, v14, v83
	s_delay_alu instid0(VALU_DEP_1) | instskip(SKIP_1) | instid1(SALU_CYCLE_1)
	v_add_co_ci_u32_e64 v15, s11, v15, v86, s11
	s_or_b32 s23, vcc_lo, s23
	s_and_not1_b32 exec_lo, exec_lo, s23
	s_cbranch_execz .LBB2_1146
.LBB2_1124:                             ;   Parent Loop BB2_53 Depth=1
                                        ; =>  This Inner Loop Header: Depth=2
	flat_load_u8 v51, v[10:11] slc dlc
	flat_load_u8 v17, v[12:13] slc dlc
	s_mov_b32 s11, 0
	s_mov_b32 s25, exec_lo
                                        ; implicit-def: $sgpr24
	s_waitcnt vmcnt(1) lgkmcnt(1)
	v_cmpx_lt_i16_e32 0x7f, v51
	s_xor_b32 s25, exec_lo, s25
	s_cbranch_execnz .LBB2_1138
; %bb.1125:                             ;   in Loop: Header=BB2_1124 Depth=2
	s_or_saveexec_b32 s25, s25
	v_mov_b32_e32 v50, s24
	s_xor_b32 exec_lo, exec_lo, s25
	s_cbranch_execnz .LBB2_1141
.LBB2_1126:                             ;   in Loop: Header=BB2_1124 Depth=2
	s_or_b32 exec_lo, exec_lo, s25
	s_and_saveexec_b32 s24, s11
	s_cbranch_execz .LBB2_1128
.LBB2_1127:                             ;   in Loop: Header=BB2_1124 Depth=2
	v_and_b32_e32 v50, 0xffff, v51
	s_delay_alu instid0(VALU_DEP_1) | instskip(NEXT) | instid1(VALU_DEP_1)
	v_and_b32_e32 v52, 3, v50
	v_clz_i32_u32_e32 v53, v52
	s_delay_alu instid0(VALU_DEP_1) | instskip(NEXT) | instid1(VALU_DEP_1)
	v_min_u32_e32 v53, 32, v53
	v_subrev_nc_u32_e32 v54, 29, v53
	v_sub_nc_u32_e32 v53, 30, v53
	s_delay_alu instid0(VALU_DEP_2) | instskip(SKIP_1) | instid1(VALU_DEP_2)
	v_lshlrev_b32_e32 v54, v54, v50
	v_bfe_u32 v50, v50, 2, 5
	v_and_b32_e32 v54, 3, v54
	s_delay_alu instid0(VALU_DEP_2) | instskip(SKIP_1) | instid1(VALU_DEP_1)
	v_cmp_eq_u32_e32 vcc_lo, 0, v50
	v_dual_cndmask_b32 v50, v50, v53 :: v_dual_lshlrev_b32 v51, 24, v51
	v_dual_cndmask_b32 v52, v52, v54 :: v_dual_and_b32 v51, 0x80000000, v51
	s_delay_alu instid0(VALU_DEP_2) | instskip(NEXT) | instid1(VALU_DEP_2)
	v_lshl_add_u32 v50, v50, 23, 0x37800000
	v_lshlrev_b32_e32 v52, 21, v52
	s_delay_alu instid0(VALU_DEP_1)
	v_or3_b32 v50, v51, v50, v52
.LBB2_1128:                             ;   in Loop: Header=BB2_1124 Depth=2
	s_or_b32 exec_lo, exec_lo, s24
	s_waitcnt vmcnt(0) lgkmcnt(0)
	v_and_b32_e32 v52, 0xff, v17
	s_mov_b32 s11, 0
	s_mov_b32 s25, exec_lo
                                        ; implicit-def: $sgpr24
	s_delay_alu instid0(VALU_DEP_1)
	v_cmpx_lt_i16_e32 0x7f, v52
	s_xor_b32 s25, exec_lo, s25
	s_cbranch_execnz .LBB2_1142
; %bb.1129:                             ;   in Loop: Header=BB2_1124 Depth=2
	s_or_saveexec_b32 s25, s25
	v_mov_b32_e32 v51, s24
	s_xor_b32 exec_lo, exec_lo, s25
	s_cbranch_execnz .LBB2_1145
.LBB2_1130:                             ;   in Loop: Header=BB2_1124 Depth=2
	s_or_b32 exec_lo, exec_lo, s25
	s_and_saveexec_b32 s24, s11
	s_cbranch_execz .LBB2_1132
.LBB2_1131:                             ;   in Loop: Header=BB2_1124 Depth=2
	v_lshrrev_b16 v54, 2, v17
	s_delay_alu instid0(VALU_DEP_1) | instskip(NEXT) | instid1(VALU_DEP_1)
	v_and_b32_e32 v54, 31, v54
	v_cmp_eq_u32_e32 vcc_lo, 0, v54
	v_and_b32_e32 v51, 3, v17
	s_delay_alu instid0(VALU_DEP_1) | instskip(NEXT) | instid1(VALU_DEP_1)
	v_clz_i32_u32_e32 v52, v51
	v_min_u32_e32 v52, 32, v52
	s_delay_alu instid0(VALU_DEP_1) | instskip(SKIP_1) | instid1(VALU_DEP_1)
	v_subrev_nc_u32_e32 v53, 29, v52
	v_sub_nc_u32_e32 v52, 30, v52
	v_dual_cndmask_b32 v52, v54, v52 :: v_dual_lshlrev_b32 v53, v53, v17
	v_lshlrev_b32_e32 v17, 24, v17
	s_delay_alu instid0(VALU_DEP_2) | instskip(NEXT) | instid1(VALU_DEP_3)
	v_and_b32_e32 v53, 3, v53
	v_lshl_add_u32 v52, v52, 23, 0x37800000
	s_delay_alu instid0(VALU_DEP_3) | instskip(NEXT) | instid1(VALU_DEP_3)
	v_and_b32_e32 v17, 0x80000000, v17
	v_cndmask_b32_e32 v51, v51, v53, vcc_lo
	s_delay_alu instid0(VALU_DEP_1) | instskip(NEXT) | instid1(VALU_DEP_1)
	v_lshlrev_b32_e32 v51, 21, v51
	v_or3_b32 v51, v17, v52, v51
.LBB2_1132:                             ;   in Loop: Header=BB2_1124 Depth=2
	s_or_b32 exec_lo, exec_lo, s24
	s_delay_alu instid0(VALU_DEP_1) | instskip(NEXT) | instid1(VALU_DEP_1)
	v_mul_f32_e32 v17, v50, v51
	v_and_b32_e32 v50, 0x7f800000, v17
	s_delay_alu instid0(VALU_DEP_1)
	v_cmp_ne_u32_e32 vcc_lo, 0x7f800000, v50
	v_mov_b32_e32 v50, 0x80
	s_and_saveexec_b32 s24, vcc_lo
	s_cbranch_execz .LBB2_1123
; %bb.1133:                             ;   in Loop: Header=BB2_1124 Depth=2
	v_mov_b32_e32 v50, 0
	s_mov_b32 s25, exec_lo
	v_cmpx_ne_u32_e32 0, v17
	s_cbranch_execz .LBB2_1122
; %bb.1134:                             ;   in Loop: Header=BB2_1124 Depth=2
	v_bfe_u32 v50, v17, 23, 8
	s_delay_alu instid0(VALU_DEP_1) | instskip(SKIP_1) | instid1(VALU_DEP_2)
	v_sub_nc_u32_e32 v52, 0x70, v50
	v_cmp_gt_u32_e32 vcc_lo, 0x71, v50
	v_dual_cndmask_b32 v52, 0, v52 :: v_dual_and_b32 v51, 0x7fffff, v17
	s_delay_alu instid0(VALU_DEP_1) | instskip(SKIP_2) | instid1(VALU_DEP_4)
	v_or_b32_e32 v53, 0x800000, v51
	v_cmp_eq_u32_e32 vcc_lo, 0, v50
	v_add_nc_u32_e32 v50, 0xffffff91, v50
	v_cndmask_b32_e64 v52, v52, 0x6f, vcc_lo
	s_delay_alu instid0(VALU_DEP_4) | instskip(NEXT) | instid1(VALU_DEP_3)
	v_cndmask_b32_e32 v51, v53, v51, vcc_lo
	v_cndmask_b32_e64 v50, v50, 0xffffff92, vcc_lo
	s_delay_alu instid0(VALU_DEP_3) | instskip(NEXT) | instid1(VALU_DEP_3)
	v_lshl_add_u32 v53, 0x200000, v52, -1
	v_lshrrev_b32_e32 v54, v52, v51
	v_lshlrev_b32_e64 v96, v52, 0x100000
	s_delay_alu instid0(VALU_DEP_4) | instskip(NEXT) | instid1(VALU_DEP_4)
	v_add_nc_u32_e32 v52, v52, v50
	v_and_b32_e32 v51, v53, v51
	s_delay_alu instid0(VALU_DEP_4) | instskip(NEXT) | instid1(VALU_DEP_2)
	v_bfe_u32 v55, v54, 21, 1
	v_cmp_eq_u32_e64 s11, v51, v96
	s_delay_alu instid0(VALU_DEP_2) | instskip(NEXT) | instid1(VALU_DEP_1)
	v_add_nc_u32_e32 v53, -1, v55
	v_cndmask_b32_e64 v51, 0, v53, s11
	v_lshrrev_b32_e32 v53, 23, v54
	s_mov_b32 s11, exec_lo
	s_delay_alu instid0(VALU_DEP_2) | instskip(NEXT) | instid1(VALU_DEP_2)
	v_add_nc_u32_e32 v51, v51, v54
	v_xor_b32_e32 v53, 1, v53
	s_delay_alu instid0(VALU_DEP_2) | instskip(NEXT) | instid1(VALU_DEP_1)
	v_and_b32_e32 v50, 0x1fffff, v51
	v_add_nc_u32_e32 v51, v50, v54
                                        ; implicit-def: $vgpr50
	s_delay_alu instid0(VALU_DEP_3)
	v_cmpx_ne_u32_e64 v52, v53
	s_xor_b32 s11, exec_lo, s11
; %bb.1135:                             ;   in Loop: Header=BB2_1124 Depth=2
	s_delay_alu instid0(VALU_DEP_2) | instskip(SKIP_2) | instid1(VALU_DEP_2)
	v_cmp_lt_u32_e32 vcc_lo, 0xffffff, v51
	v_sub_nc_u32_e32 v50, v52, v53
	v_cndmask_b32_e64 v52, 0, 1, vcc_lo
	v_add_co_ci_u32_e32 v50, vcc_lo, 0, v50, vcc_lo
	s_delay_alu instid0(VALU_DEP_2)
	v_lshrrev_b32_e32 v51, v52, v51
; %bb.1136:                             ;   in Loop: Header=BB2_1124 Depth=2
	s_and_not1_saveexec_b32 s11, s11
	s_cbranch_execz .LBB2_1121
; %bb.1137:                             ;   in Loop: Header=BB2_1124 Depth=2
	s_delay_alu instid0(VALU_DEP_1)
	v_bfe_u32 v50, v51, 23, 1
	s_branch .LBB2_1121
.LBB2_1138:                             ;   in Loop: Header=BB2_1124 Depth=2
	s_mov_b32 s11, -1
	s_mov_b32 s26, exec_lo
                                        ; implicit-def: $sgpr24
	v_cmpx_eq_u16_e32 0x80, v51
; %bb.1139:                             ;   in Loop: Header=BB2_1124 Depth=2
	s_mov_b32 s24, 0x7f800001
	s_xor_b32 s11, exec_lo, -1
; %bb.1140:                             ;   in Loop: Header=BB2_1124 Depth=2
	s_or_b32 exec_lo, exec_lo, s26
	s_delay_alu instid0(SALU_CYCLE_1)
	s_and_b32 s11, s11, exec_lo
	s_or_saveexec_b32 s25, s25
	v_mov_b32_e32 v50, s24
	s_xor_b32 exec_lo, exec_lo, s25
	s_cbranch_execz .LBB2_1126
.LBB2_1141:                             ;   in Loop: Header=BB2_1124 Depth=2
	v_cmp_ne_u16_e32 vcc_lo, 0, v51
	v_mov_b32_e32 v50, 0
	s_and_not1_b32 s11, s11, exec_lo
	s_and_b32 s24, vcc_lo, exec_lo
	s_delay_alu instid0(SALU_CYCLE_1)
	s_or_b32 s11, s11, s24
	s_or_b32 exec_lo, exec_lo, s25
	s_and_saveexec_b32 s24, s11
	s_cbranch_execnz .LBB2_1127
	s_branch .LBB2_1128
.LBB2_1142:                             ;   in Loop: Header=BB2_1124 Depth=2
	s_mov_b32 s11, -1
	s_mov_b32 s26, exec_lo
                                        ; implicit-def: $sgpr24
	v_cmpx_eq_u16_e32 0x80, v52
; %bb.1143:                             ;   in Loop: Header=BB2_1124 Depth=2
	s_mov_b32 s24, 0x7f800001
	s_xor_b32 s11, exec_lo, -1
; %bb.1144:                             ;   in Loop: Header=BB2_1124 Depth=2
	s_or_b32 exec_lo, exec_lo, s26
	s_delay_alu instid0(SALU_CYCLE_1)
	s_and_b32 s11, s11, exec_lo
                                        ; implicit-def: $vgpr52
	s_or_saveexec_b32 s25, s25
	v_mov_b32_e32 v51, s24
	s_xor_b32 exec_lo, exec_lo, s25
	s_cbranch_execz .LBB2_1130
.LBB2_1145:                             ;   in Loop: Header=BB2_1124 Depth=2
	v_cmp_ne_u16_e32 vcc_lo, 0, v52
	v_mov_b32_e32 v51, 0
	s_and_not1_b32 s11, s11, exec_lo
	s_and_b32 s24, vcc_lo, exec_lo
	s_delay_alu instid0(SALU_CYCLE_1)
	s_or_b32 s11, s11, s24
	s_or_b32 exec_lo, exec_lo, s25
	s_and_saveexec_b32 s24, s11
	s_cbranch_execnz .LBB2_1131
	s_branch .LBB2_1132
.LBB2_1146:                             ;   in Loop: Header=BB2_53 Depth=1
	s_or_b32 exec_lo, exec_lo, s12
	v_cmp_ne_u32_e64 s11, 0, v36
.LBB2_1147:                             ;   in Loop: Header=BB2_53 Depth=1
	s_and_saveexec_b32 s12, s3
	s_cbranch_execz .LBB2_1169
; %bb.1148:                             ;   in Loop: Header=BB2_53 Depth=1
	s_and_saveexec_b32 s23, s4
	s_delay_alu instid0(SALU_CYCLE_1)
	s_xor_b32 s23, exec_lo, s23
	s_cbranch_execz .LBB2_1166
; %bb.1149:                             ;   in Loop: Header=BB2_53 Depth=1
	s_and_saveexec_b32 s24, s5
	s_cbranch_execz .LBB2_1165
; %bb.1150:                             ;   in Loop: Header=BB2_53 Depth=1
	s_mov_b32 s26, exec_lo
	s_mov_b32 s25, exec_lo
	v_mbcnt_lo_u32_b32 v10, s26, 0
	s_waitcnt lgkmcnt(0)
	s_waitcnt_vscnt null, 0x0
	buffer_gl1_inv
	buffer_gl0_inv
	v_cmpx_eq_u32_e32 0, v10
	s_cbranch_execz .LBB2_1152
; %bb.1151:                             ;   in Loop: Header=BB2_53 Depth=1
	s_bcnt1_i32_b32 s26, s26
	s_delay_alu instid0(SALU_CYCLE_1)
	v_mov_b32_e32 v36, s26
	ds_add_u64 v0, v[36:37]
	s_cbranch_execnz .LBB2_2853
.LBB2_1152:                             ;   in Loop: Header=BB2_53 Depth=1
	s_or_b32 exec_lo, exec_lo, s25
	s_cbranch_execnz .LBB2_2829
; %bb.1153:                             ;   in Loop: Header=BB2_53 Depth=1
	ds_load_b64 v[10:11], v0
	v_add_co_u32 v28, vcc_lo, v28, v67
	v_add_co_ci_u32_e32 v29, vcc_lo, 0, v29, vcc_lo
	s_mov_b32 s25, exec_lo
	s_waitcnt lgkmcnt(0)
	s_delay_alu instid0(VALU_DEP_1)
	v_cmpx_lt_u64_e64 v[10:11], v[28:29]
	s_cbranch_execz .LBB2_1164
; %bb.1154:                             ;   in Loop: Header=BB2_53 Depth=1
	s_mov_b32 s26, 0
	s_mov_b32 s29, 0
                                        ; implicit-def: $sgpr27
                                        ; implicit-def: $sgpr28
	s_branch .LBB2_1156
.LBB2_1155:                             ;   in Loop: Header=BB2_1156 Depth=2
	s_or_b32 exec_lo, exec_lo, s30
	s_delay_alu instid0(SALU_CYCLE_1) | instskip(NEXT) | instid1(SALU_CYCLE_1)
	s_and_b32 vcc_lo, exec_lo, vcc_lo
	s_or_b32 s26, vcc_lo, s26
	s_and_not1_b32 s27, s27, exec_lo
	s_and_b32 vcc_lo, s28, exec_lo
	s_delay_alu instid0(SALU_CYCLE_1)
	s_or_b32 s27, s27, vcc_lo
	s_and_not1_b32 exec_lo, exec_lo, s26
	s_cbranch_execz .LBB2_1162
.LBB2_1156:                             ;   Parent Loop BB2_53 Depth=1
                                        ; =>  This Inner Loop Header: Depth=2
	s_add_i32 s29, s29, 1
                                        ; implicit-def: $sgpr30
	s_delay_alu instid0(SALU_CYCLE_1) | instskip(SKIP_1) | instid1(SALU_CYCLE_1)
	s_cmpk_lg_i32 s29, 0x2710
	s_cselect_b32 vcc_hi, -1, 0
	s_and_b32 vcc_lo, exec_lo, vcc_hi
	s_cbranch_vccz .LBB2_1160
.LBB2_1157:                             ;   in Loop: Header=BB2_1156 Depth=2
	s_and_not1_b32 s28, s28, exec_lo
	s_and_b32 s30, s30, exec_lo
	s_mov_b32 vcc_lo, -1
	s_or_b32 s28, s28, s30
	s_and_saveexec_b32 s30, vcc_hi
	s_cbranch_execz .LBB2_1155
; %bb.1158:                             ;   in Loop: Header=BB2_1156 Depth=2
	s_sleep 1
	s_cbranch_execnz .LBB2_2873
; %bb.1159:                             ;   in Loop: Header=BB2_1156 Depth=2
	ds_load_b64 v[10:11], v0
	s_and_not1_b32 s28, s28, exec_lo
	s_waitcnt lgkmcnt(0)
	v_cmp_ge_u64_e32 vcc_lo, v[10:11], v[28:29]
	s_or_not1_b32 vcc_lo, vcc_lo, exec_lo
	s_branch .LBB2_1155
.LBB2_1160:                             ;   in Loop: Header=BB2_1156 Depth=2
	s_cbranch_execnz .LBB2_2879
; %bb.1161:                             ;   in Loop: Header=BB2_1156 Depth=2
	ds_load_b64 v[10:11], v0
	s_mov_b32 s29, 0
	s_mov_b32 s30, -1
	s_waitcnt lgkmcnt(0)
	flat_load_b32 v10, v[10:11] glc
	s_waitcnt vmcnt(0) lgkmcnt(0)
	buffer_gl1_inv
	buffer_gl0_inv
	v_cmp_eq_u32_e32 vcc_lo, 0, v10
	s_and_not1_b32 vcc_hi, vcc_hi, exec_lo
	s_and_b32 vcc_lo, vcc_lo, exec_lo
	s_delay_alu instid0(SALU_CYCLE_1)
	s_or_b32 vcc_hi, vcc_hi, vcc_lo
	s_branch .LBB2_1157
.LBB2_1162:                             ;   in Loop: Header=BB2_53 Depth=1
	s_or_b32 exec_lo, exec_lo, s26
	s_and_saveexec_b32 s26, s27
	s_delay_alu instid0(SALU_CYCLE_1)
	s_xor_b32 s26, exec_lo, s26
	s_cbranch_execz .LBB2_1164
; %bb.1163:                             ;   in Loop: Header=BB2_53 Depth=1
	ds_store_b32 v0, v87
	s_cbranch_execnz .LBB2_2903
.LBB2_1164:                             ;   in Loop: Header=BB2_53 Depth=1
	s_or_b32 exec_lo, exec_lo, s25
	;;#ASMSTART
	s_wakeup
	;;#ASMEND
.LBB2_1165:                             ;   in Loop: Header=BB2_53 Depth=1
	s_or_b32 exec_lo, exec_lo, s24
.LBB2_1166:                             ;   in Loop: Header=BB2_53 Depth=1
	s_and_not1_saveexec_b32 s23, s23
	s_cbranch_execz .LBB2_1168
; %bb.1167:                             ;   in Loop: Header=BB2_53 Depth=1
	s_waitcnt lgkmcnt(0)
	s_waitcnt_vscnt null, 0x0
	buffer_gl1_inv
	buffer_gl0_inv
	s_barrier
.LBB2_1168:                             ;   in Loop: Header=BB2_53 Depth=1
	s_or_b32 exec_lo, exec_lo, s23
.LBB2_1169:                             ;   in Loop: Header=BB2_53 Depth=1
	s_delay_alu instid0(SALU_CYCLE_1) | instskip(SKIP_1) | instid1(VALU_DEP_1)
	s_or_b32 exec_lo, exec_lo, s12
	v_and_b32_e32 v10, 16, v64
	v_cmp_ne_u32_e32 vcc_lo, 0, v10
	s_and_b32 s12, vcc_lo, s11
	s_delay_alu instid0(SALU_CYCLE_1)
	s_and_saveexec_b32 s11, s12
	s_cbranch_execz .LBB2_1171
; %bb.1170:                             ;   in Loop: Header=BB2_53 Depth=1
	s_waitcnt lgkmcnt(0)
	s_waitcnt_vscnt null, 0x0
	buffer_gl1_inv
	buffer_gl0_inv
.LBB2_1171:                             ;   in Loop: Header=BB2_53 Depth=1
	s_or_b32 exec_lo, exec_lo, s11
	v_cmp_ne_u32_e32 vcc_lo, 0, v10
	s_xor_b32 s11, s10, -1
	s_delay_alu instid0(SALU_CYCLE_1) | instskip(NEXT) | instid1(SALU_CYCLE_1)
	s_and_b32 s12, vcc_lo, s11
	s_and_saveexec_b32 s11, s12
	s_cbranch_execz .LBB2_1173
; %bb.1172:                             ;   in Loop: Header=BB2_53 Depth=1
	s_waitcnt lgkmcnt(0)
	s_waitcnt_vscnt null, 0x0
	flat_store_b32 v[34:35], v87
.LBB2_1173:                             ;   in Loop: Header=BB2_53 Depth=1
	s_or_b32 exec_lo, exec_lo, s11
	v_and_b32_e32 v10, 48, v64
	s_mov_b32 s11, exec_lo
	s_delay_alu instid0(VALU_DEP_1)
	v_cmpx_ne_u32_e32 0, v10
	s_cbranch_execz .LBB2_1175
; %bb.1174:                             ;   in Loop: Header=BB2_53 Depth=1
	v_add_co_u32 v8, vcc_lo, v8, 1
	v_add_co_ci_u32_e32 v9, vcc_lo, 0, v9, vcc_lo
	s_waitcnt lgkmcnt(0)
	s_waitcnt_vscnt null, 0x0
	flat_store_b64 v[22:23], v[8:9]
.LBB2_1175:                             ;   in Loop: Header=BB2_53 Depth=1
	s_or_b32 exec_lo, exec_lo, s11
	v_mov_b32_e32 v12, v49
.LBB2_1176:                             ;   in Loop: Header=BB2_53 Depth=1
	s_or_b32 exec_lo, exec_lo, s22
	s_and_saveexec_b32 s12, s21
	s_cbranch_execz .LBB2_1236
; %bb.1177:                             ;   in Loop: Header=BB2_53 Depth=1
	v_and_b32_e32 v10, 12, v64
	s_mov_b32 s21, -1
	s_mov_b32 s11, exec_lo
	s_delay_alu instid0(VALU_DEP_1)
	v_cmpx_ne_u32_e32 0, v10
	s_cbranch_execz .LBB2_1191
; %bb.1178:                             ;   in Loop: Header=BB2_53 Depth=1
	v_and_b32_e32 v13, 8, v64
	s_delay_alu instid0(VALU_DEP_1) | instskip(SKIP_3) | instid1(VALU_DEP_1)
	v_add_co_u32 v14, vcc_lo, v26, v13
	v_add_co_ci_u32_e32 v15, vcc_lo, 0, v27, vcc_lo
	v_add_co_u32 v10, vcc_lo, v8, 1
	v_add_co_ci_u32_e32 v11, vcc_lo, 0, v9, vcc_lo
	v_cmp_lt_u64_e32 vcc_lo, v[14:15], v[10:11]
	v_mov_b32_e32 v14, 1
	s_and_saveexec_b32 s21, vcc_lo
	s_cbranch_execz .LBB2_1190
; %bb.1179:                             ;   in Loop: Header=BB2_53 Depth=1
	v_mov_b32_e32 v14, 0
	s_mov_b32 s22, 0
                                        ; implicit-def: $sgpr23
	s_branch .LBB2_1183
.LBB2_1180:                             ;   in Loop: Header=BB2_1183 Depth=2
	s_or_b32 exec_lo, exec_lo, s27
	v_mov_b32_e32 v15, 0
	s_or_not1_b32 s26, s26, exec_lo
.LBB2_1181:                             ;   in Loop: Header=BB2_1183 Depth=2
	s_or_b32 exec_lo, exec_lo, s25
	s_delay_alu instid0(VALU_DEP_1) | instskip(SKIP_2) | instid1(SALU_CYCLE_1)
	v_mov_b32_e32 v14, v15
	s_and_not1_b32 s23, s23, exec_lo
	s_and_b32 s25, s26, exec_lo
	s_or_b32 s23, s23, s25
.LBB2_1182:                             ;   in Loop: Header=BB2_1183 Depth=2
	s_or_b32 exec_lo, exec_lo, s24
	s_waitcnt vmcnt(0) lgkmcnt(0)
	v_add_co_u32 v15, vcc_lo, v26, v13
	v_add_co_ci_u32_e32 v16, vcc_lo, 0, v27, vcc_lo
	s_xor_b32 s24, s23, -1
	s_delay_alu instid0(VALU_DEP_1) | instskip(SKIP_1) | instid1(SALU_CYCLE_1)
	v_cmp_ge_u64_e32 vcc_lo, v[15:16], v[10:11]
	s_or_b32 s24, s24, vcc_lo
	s_and_b32 s24, exec_lo, s24
	s_delay_alu instid0(SALU_CYCLE_1) | instskip(NEXT) | instid1(SALU_CYCLE_1)
	s_or_b32 s22, s24, s22
	s_and_not1_b32 exec_lo, exec_lo, s22
	s_cbranch_execz .LBB2_1189
.LBB2_1183:                             ;   Parent Loop BB2_53 Depth=1
                                        ; =>  This Inner Loop Header: Depth=2
	s_sleep 1
	flat_load_b64 v[26:27], v[22:23] glc
	v_and_b32_e32 v15, 64, v64
	s_and_not1_b32 s23, s23, exec_lo
	s_mov_b32 s24, exec_lo
	s_delay_alu instid0(VALU_DEP_1)
	v_cmpx_eq_u32_e32 0, v15
	s_cbranch_execz .LBB2_1182
; %bb.1184:                             ;   in Loop: Header=BB2_1183 Depth=2
	v_add_nc_u32_e32 v15, 1, v14
	s_mov_b32 s26, -1
	s_mov_b32 s25, exec_lo
	v_cmpx_lt_i32_e32 0x270e, v14
	s_cbranch_execz .LBB2_1181
; %bb.1185:                             ;   in Loop: Header=BB2_1183 Depth=2
	s_cbranch_execnz .LBB2_2727
; %bb.1186:                             ;   in Loop: Header=BB2_1183 Depth=2
	ds_load_b64 v[14:15], v0
	s_mov_b32 s27, exec_lo
	s_waitcnt vmcnt(0) lgkmcnt(0)
	s_waitcnt_vscnt null, 0x0
	flat_load_b32 v14, v[14:15] glc
	s_waitcnt vmcnt(0) lgkmcnt(0)
	buffer_gl1_inv
	buffer_gl0_inv
	v_cmpx_ne_u32_e32 0, v14
	s_cbranch_execz .LBB2_1180
; %bb.1187:                             ;   in Loop: Header=BB2_1183 Depth=2
	ds_store_b32 v0, v14
	s_cbranch_execnz .LBB2_2751
; %bb.1188:                             ;   in Loop: Header=BB2_1183 Depth=2
	v_or_b32_e32 v64, 64, v64
	s_xor_b32 s26, exec_lo, -1
	s_branch .LBB2_1180
.LBB2_1189:                             ;   in Loop: Header=BB2_53 Depth=1
	s_or_b32 exec_lo, exec_lo, s22
	v_and_b32_e32 v14, 12, v64
.LBB2_1190:                             ;   in Loop: Header=BB2_53 Depth=1
	s_or_b32 exec_lo, exec_lo, s21
	s_delay_alu instid0(VALU_DEP_1)
	v_cmp_eq_u32_e32 vcc_lo, 0, v14
	;;#ASMSTART
	s_wakeup
	;;#ASMEND
	s_or_not1_b32 s21, vcc_lo, exec_lo
.LBB2_1191:                             ;   in Loop: Header=BB2_53 Depth=1
	s_or_b32 exec_lo, exec_lo, s11
	v_sub_nc_u32_e32 v10, v48, v12
	s_xor_b32 s11, s21, -1
	s_delay_alu instid0(VALU_DEP_1)
	v_min_i32_e32 v10, v49, v10
	s_and_saveexec_b32 s21, s11
	s_cbranch_execz .LBB2_1206
; %bb.1192:                             ;   in Loop: Header=BB2_53 Depth=1
	v_and_b32_e32 v11, 0x108, v64
	s_mov_b32 s11, exec_lo
	s_delay_alu instid0(VALU_DEP_1)
	v_cmpx_ne_u32_e32 0x108, v11
	s_xor_b32 s11, exec_lo, s11
                                        ; implicit-def: $vgpr12_vgpr13
; %bb.1193:                             ;   in Loop: Header=BB2_53 Depth=1
	v_and_b32_e32 v12, 7, v8
; %bb.1194:                             ;   in Loop: Header=BB2_53 Depth=1
	s_and_not1_saveexec_b32 s11, s11
	s_cbranch_execz .LBB2_1196
; %bb.1195:                             ;   in Loop: Header=BB2_53 Depth=1
	v_and_b32_e32 v12, 7, v8
	v_ashrrev_i32_e32 v11, 31, v10
	s_delay_alu instid0(VALU_DEP_2)
	v_mad_u64_u32 v[13:14], null, v12, 24, v[6:7]
	flat_store_b64 v[13:14], v[10:11] offset:8
.LBB2_1196:                             ;   in Loop: Header=BB2_53 Depth=1
	s_or_b32 exec_lo, exec_lo, s11
	v_and_b32_e32 v11, 0x100, v64
	s_mov_b32 s11, -1
	s_mov_b32 s22, exec_lo
                                        ; implicit-def: $vgpr13_vgpr14
	s_delay_alu instid0(VALU_DEP_1)
	v_cmpx_ne_u32_e32 0, v11
	s_cbranch_execnz .LBB2_1199
; %bb.1197:                             ;   in Loop: Header=BB2_53 Depth=1
	s_or_b32 exec_lo, exec_lo, s22
	s_and_saveexec_b32 s22, s11
	s_cbranch_execnz .LBB2_1202
.LBB2_1198:                             ;   in Loop: Header=BB2_53 Depth=1
	s_or_b32 exec_lo, exec_lo, s22
	s_cbranch_execnz .LBB2_2719
	s_branch .LBB2_1203
.LBB2_1199:                             ;   in Loop: Header=BB2_53 Depth=1
	v_mad_u64_u32 v[15:16], null, v12, 24, v[6:7]
	s_mov_b32 s23, exec_lo
	s_delay_alu instid0(VALU_DEP_1) | instskip(NEXT) | instid1(VALU_DEP_1)
	v_mov_b32_e32 v11, v16
	v_mad_u64_u32 v[13:14], null, v37, 24, v[11:12]
	s_delay_alu instid0(VALU_DEP_1)
	v_mov_b32_e32 v16, v13
                                        ; implicit-def: $vgpr13_vgpr14
	flat_load_b32 v11, v[15:16]
	s_waitcnt vmcnt(0) lgkmcnt(0)
	v_cmp_ne_u32_e32 vcc_lo, 1, v11
	v_cmpx_eq_u32_e32 1, v11
	s_cbranch_execz .LBB2_1201
; %bb.1200:                             ;   in Loop: Header=BB2_53 Depth=1
	flat_load_b32 v13, v[15:16] offset:4 glc
	s_waitcnt vmcnt(0) lgkmcnt(0)
	v_ashrrev_i32_e32 v14, 31, v13
.LBB2_1201:                             ;   in Loop: Header=BB2_53 Depth=1
	s_or_b32 exec_lo, exec_lo, s23
	s_delay_alu instid0(SALU_CYCLE_1)
	s_or_not1_b32 s11, vcc_lo, exec_lo
	s_or_b32 exec_lo, exec_lo, s22
	s_and_saveexec_b32 s22, s11
	s_cbranch_execz .LBB2_1198
.LBB2_1202:                             ;   in Loop: Header=BB2_53 Depth=1
	v_mul_lo_u32 v11, v37, v65
	v_mul_lo_u32 v15, v12, v66
	v_mad_u64_u32 v[13:14], null, v12, v65, 0
	s_delay_alu instid0(VALU_DEP_1)
	v_add3_u32 v14, v14, v15, v11
	s_or_b32 exec_lo, exec_lo, s22
	s_cbranch_execnz .LBB2_2719
.LBB2_1203:                             ;   in Loop: Header=BB2_53 Depth=1
	s_delay_alu instid0(VALU_DEP_2)
	v_add_co_u32 v11, vcc_lo, v24, v13
	v_and_b32_e32 v15, 0x2000, v64
	v_add_co_ci_u32_e32 v12, vcc_lo, v25, v14, vcc_lo
	s_mov_b32 s11, exec_lo
	ds_store_b64 v0, v[11:12]
	v_cmpx_ne_u32_e32 0, v15
	s_cbranch_execz .LBB2_1205
; %bb.1204:                             ;   in Loop: Header=BB2_53 Depth=1
	ds_load_b64 v[11:12], v0 offset:584
	s_waitcnt lgkmcnt(0)
	v_add_co_u32 v11, vcc_lo, v11, 1
	v_add_co_ci_u32_e32 v12, vcc_lo, 0, v12, vcc_lo
	ds_store_b64 v0, v[11:12] offset:584
.LBB2_1205:                             ;   in Loop: Header=BB2_53 Depth=1
	s_or_b32 exec_lo, exec_lo, s11
	v_add_co_u32 v8, vcc_lo, v8, 1
	v_add_co_ci_u32_e32 v9, vcc_lo, 0, v9, vcc_lo
.LBB2_1206:                             ;   in Loop: Header=BB2_53 Depth=1
	s_or_b32 exec_lo, exec_lo, s21
	s_and_saveexec_b32 s11, s3
	s_cbranch_execz .LBB2_1228
; %bb.1207:                             ;   in Loop: Header=BB2_53 Depth=1
	s_and_saveexec_b32 s21, s4
	s_delay_alu instid0(SALU_CYCLE_1)
	s_xor_b32 s21, exec_lo, s21
	s_cbranch_execz .LBB2_1225
; %bb.1208:                             ;   in Loop: Header=BB2_53 Depth=1
	s_and_saveexec_b32 s22, s5
	s_cbranch_execz .LBB2_1224
; %bb.1209:                             ;   in Loop: Header=BB2_53 Depth=1
	s_mov_b32 s24, exec_lo
	s_mov_b32 s23, exec_lo
	v_mbcnt_lo_u32_b32 v11, s24, 0
	s_waitcnt lgkmcnt(0)
	s_waitcnt_vscnt null, 0x0
	buffer_gl1_inv
	buffer_gl0_inv
	v_cmpx_eq_u32_e32 0, v11
	s_cbranch_execz .LBB2_1211
; %bb.1210:                             ;   in Loop: Header=BB2_53 Depth=1
	s_bcnt1_i32_b32 s24, s24
	s_delay_alu instid0(SALU_CYCLE_1)
	v_mov_b32_e32 v36, s24
	ds_add_u64 v0, v[36:37]
	s_cbranch_execnz .LBB2_2779
.LBB2_1211:                             ;   in Loop: Header=BB2_53 Depth=1
	s_or_b32 exec_lo, exec_lo, s23
	s_cbranch_execnz .LBB2_2765
; %bb.1212:                             ;   in Loop: Header=BB2_53 Depth=1
	ds_load_b64 v[11:12], v0
	v_add_co_u32 v28, vcc_lo, v28, v67
	v_add_co_ci_u32_e32 v29, vcc_lo, 0, v29, vcc_lo
	s_mov_b32 s23, exec_lo
	s_waitcnt lgkmcnt(0)
	s_delay_alu instid0(VALU_DEP_1)
	v_cmpx_lt_u64_e64 v[11:12], v[28:29]
	s_cbranch_execz .LBB2_1223
; %bb.1213:                             ;   in Loop: Header=BB2_53 Depth=1
	s_mov_b32 s24, 0
	s_mov_b32 s27, 0
                                        ; implicit-def: $sgpr25
                                        ; implicit-def: $sgpr26
	s_branch .LBB2_1215
.LBB2_1214:                             ;   in Loop: Header=BB2_1215 Depth=2
	s_or_b32 exec_lo, exec_lo, vcc_hi
	s_delay_alu instid0(SALU_CYCLE_1) | instskip(NEXT) | instid1(SALU_CYCLE_1)
	s_and_b32 s28, exec_lo, s29
	s_or_b32 s24, s28, s24
	s_and_not1_b32 s25, s25, exec_lo
	s_and_b32 s28, s26, exec_lo
	s_delay_alu instid0(SALU_CYCLE_1)
	s_or_b32 s25, s25, s28
	s_and_not1_b32 exec_lo, exec_lo, s24
	s_cbranch_execz .LBB2_1221
.LBB2_1215:                             ;   Parent Loop BB2_53 Depth=1
                                        ; =>  This Inner Loop Header: Depth=2
	s_add_i32 s27, s27, 1
                                        ; implicit-def: $sgpr29
	s_delay_alu instid0(SALU_CYCLE_1) | instskip(SKIP_1) | instid1(SALU_CYCLE_1)
	s_cmpk_lg_i32 s27, 0x2710
	s_cselect_b32 s28, -1, 0
	s_and_b32 vcc_lo, exec_lo, s28
	s_cbranch_vccz .LBB2_1219
.LBB2_1216:                             ;   in Loop: Header=BB2_1215 Depth=2
	s_and_not1_b32 s26, s26, exec_lo
	s_and_b32 vcc_lo, s29, exec_lo
	s_mov_b32 s29, -1
	s_or_b32 s26, s26, vcc_lo
	s_and_saveexec_b32 vcc_hi, s28
	s_cbranch_execz .LBB2_1214
; %bb.1217:                             ;   in Loop: Header=BB2_1215 Depth=2
	s_sleep 1
	s_cbranch_execnz .LBB2_2825
; %bb.1218:                             ;   in Loop: Header=BB2_1215 Depth=2
	ds_load_b64 v[11:12], v0
	s_and_not1_b32 s26, s26, exec_lo
	s_waitcnt lgkmcnt(0)
	v_cmp_ge_u64_e32 vcc_lo, v[11:12], v[28:29]
	s_or_not1_b32 s29, vcc_lo, exec_lo
	s_branch .LBB2_1214
.LBB2_1219:                             ;   in Loop: Header=BB2_1215 Depth=2
	s_cbranch_execnz .LBB2_2845
; %bb.1220:                             ;   in Loop: Header=BB2_1215 Depth=2
	ds_load_b64 v[11:12], v0
	s_and_not1_b32 s28, s28, exec_lo
	s_mov_b32 s27, 0
	s_mov_b32 s29, -1
	s_waitcnt lgkmcnt(0)
	flat_load_b32 v11, v[11:12] glc
	s_waitcnt vmcnt(0) lgkmcnt(0)
	buffer_gl1_inv
	buffer_gl0_inv
	v_cmp_eq_u32_e32 vcc_lo, 0, v11
	s_and_b32 vcc_lo, vcc_lo, exec_lo
	s_delay_alu instid0(SALU_CYCLE_1)
	s_or_b32 s28, s28, vcc_lo
	s_branch .LBB2_1216
.LBB2_1221:                             ;   in Loop: Header=BB2_53 Depth=1
	s_or_b32 exec_lo, exec_lo, s24
	s_and_saveexec_b32 s24, s25
	s_delay_alu instid0(SALU_CYCLE_1)
	s_xor_b32 s24, exec_lo, s24
	s_cbranch_execz .LBB2_1223
; %bb.1222:                             ;   in Loop: Header=BB2_53 Depth=1
	ds_store_b32 v0, v87
	s_cbranch_execnz .LBB2_2893
.LBB2_1223:                             ;   in Loop: Header=BB2_53 Depth=1
	s_or_b32 exec_lo, exec_lo, s23
	;;#ASMSTART
	s_wakeup
	;;#ASMEND
.LBB2_1224:                             ;   in Loop: Header=BB2_53 Depth=1
	s_or_b32 exec_lo, exec_lo, s22
.LBB2_1225:                             ;   in Loop: Header=BB2_53 Depth=1
	s_and_not1_saveexec_b32 s21, s21
	s_cbranch_execz .LBB2_1227
; %bb.1226:                             ;   in Loop: Header=BB2_53 Depth=1
	s_waitcnt lgkmcnt(0)
	s_waitcnt_vscnt null, 0x0
	buffer_gl1_inv
	buffer_gl0_inv
	s_barrier
.LBB2_1227:                             ;   in Loop: Header=BB2_53 Depth=1
	s_or_b32 exec_lo, exec_lo, s21
.LBB2_1228:                             ;   in Loop: Header=BB2_53 Depth=1
	s_delay_alu instid0(SALU_CYCLE_1)
	s_or_b32 exec_lo, exec_lo, s11
	s_cbranch_execnz .LBB2_2706
; %bb.1229:                             ;   in Loop: Header=BB2_53 Depth=1
	ds_load_b32 v11, v0
	v_cmp_lt_i32_e32 vcc_lo, 0, v10
	s_waitcnt lgkmcnt(0)
	v_readfirstlane_b32 s11, v11
	v_and_b32_e32 v11, 16, v64
	s_delay_alu instid0(VALU_DEP_2) | instskip(NEXT) | instid1(VALU_DEP_1)
	s_cmp_eq_u32 s11, 0
	v_cmp_ne_u32_e64 s11, 0, v11
	s_cselect_b32 s21, -1, 0
	s_delay_alu instid0(SALU_CYCLE_1)
	s_and_b32 s21, vcc_lo, s21
	s_delay_alu instid0(VALU_DEP_1) | instid1(SALU_CYCLE_1)
	s_and_b32 s21, s11, s21
	s_delay_alu instid0(SALU_CYCLE_1)
	s_and_saveexec_b32 s11, s21
	s_cbranch_execz .LBB2_1231
; %bb.1230:                             ;   in Loop: Header=BB2_53 Depth=1
	s_waitcnt_vscnt null, 0x0
	buffer_gl1_inv
	buffer_gl0_inv
.LBB2_1231:                             ;   in Loop: Header=BB2_53 Depth=1
	s_or_b32 exec_lo, exec_lo, s11
	v_cmp_ne_u32_e32 vcc_lo, 0, v11
	s_xor_b32 s11, s10, -1
	s_delay_alu instid0(SALU_CYCLE_1) | instskip(NEXT) | instid1(SALU_CYCLE_1)
	s_and_b32 s21, vcc_lo, s11
	s_and_saveexec_b32 s11, s21
	s_cbranch_execz .LBB2_1233
; %bb.1232:                             ;   in Loop: Header=BB2_53 Depth=1
	s_waitcnt_vscnt null, 0x0
	flat_store_b32 v[34:35], v87
.LBB2_1233:                             ;   in Loop: Header=BB2_53 Depth=1
	s_or_b32 exec_lo, exec_lo, s11
	v_and_b32_e32 v10, 48, v64
	s_mov_b32 s11, exec_lo
	s_delay_alu instid0(VALU_DEP_1)
	v_cmpx_ne_u32_e32 0, v10
	s_cbranch_execz .LBB2_1235
; %bb.1234:                             ;   in Loop: Header=BB2_53 Depth=1
	v_add_co_u32 v8, vcc_lo, v8, 1
	v_add_co_ci_u32_e32 v9, vcc_lo, 0, v9, vcc_lo
	s_waitcnt lgkmcnt(0)
	s_waitcnt_vscnt null, 0x0
	flat_store_b64 v[22:23], v[8:9]
.LBB2_1235:                             ;   in Loop: Header=BB2_53 Depth=1
	s_or_b32 exec_lo, exec_lo, s11
.LBB2_1236:                             ;   in Loop: Header=BB2_53 Depth=1
	s_delay_alu instid0(SALU_CYCLE_1) | instskip(SKIP_2) | instid1(VALU_DEP_1)
	s_or_b32 exec_lo, exec_lo, s12
	v_add_co_u32 v38, vcc_lo, v38, v32
	v_add_co_ci_u32_e32 v39, vcc_lo, 0, v39, vcc_lo
	v_cmp_ge_u64_e32 vcc_lo, v[38:39], v[4:5]
	s_or_b32 s18, vcc_lo, s18
	s_delay_alu instid0(SALU_CYCLE_1)
	s_and_not1_b32 exec_lo, exec_lo, s18
	s_cbranch_execnz .LBB2_53
; %bb.1237:
	s_or_b32 exec_lo, exec_lo, s18
.LBB2_1238:
	s_delay_alu instid0(SALU_CYCLE_1)
	s_or_b32 exec_lo, exec_lo, s17
                                        ; implicit-def: $vgpr18_vgpr19
                                        ; implicit-def: $vgpr4_vgpr5
                                        ; implicit-def: $vgpr65
                                        ; implicit-def: $vgpr26_vgpr27
                                        ; implicit-def: $vgpr24_vgpr25
                                        ; implicit-def: $vgpr22_vgpr23
                                        ; implicit-def: $vgpr0
                                        ; implicit-def: $vgpr17
                                        ; implicit-def: $vgpr32_vgpr33
.LBB2_1239:
	s_and_not1_saveexec_b32 s11, s16
	s_cbranch_execz .LBB2_2415
; %bb.1240:
	v_mov_b32_e32 v28, 0
	v_mov_b32_e32 v29, 0
	s_and_saveexec_b32 s12, s1
	s_cbranch_execz .LBB2_2414
; %bb.1241:
	v_cmp_ge_i32_e64 s1, v0, v1
	s_cbranch_execnz .LBB2_2664
; %bb.1242:
	v_ashrrev_i32_e32 v10, 31, v0
	v_lshrrev_b32_e32 v54, 5, v1
	v_dual_mov_b32 v36, 0 :: v_dual_and_b32 v11, 31, v31
	s_ashr_i32 s4, s14, 31
	s_delay_alu instid0(VALU_DEP_3) | instskip(NEXT) | instid1(VALU_DEP_3)
	v_lshrrev_b32_e32 v10, 27, v10
	v_dual_mov_b32 v37, 0 :: v_dual_lshlrev_b32 v66, 9, v54
	s_lshr_b32 s4, s4, 24
	v_dual_mov_b32 v84, 1 :: v_dual_lshlrev_b32 v55, 4, v0
	s_delay_alu instid0(VALU_DEP_3) | instskip(SKIP_3) | instid1(VALU_DEP_3)
	v_dual_mov_b32 v35, 0 :: v_dual_add_nc_u32 v10, v0, v10
	s_add_i32 s10, s14, s4
	v_cmp_eq_u32_e64 s4, 0, v11
	v_dual_mov_b32 v28, v36 :: v_dual_add_nc_u32 v11, 0xfffffe00, v66
	v_dual_mov_b32 v29, v37 :: v_dual_and_b32 v12, 0xffffffe0, v10
	v_ashrrev_i32_e32 v10, 5, v10
	s_delay_alu instid0(VALU_DEP_3) | instskip(SKIP_1) | instid1(VALU_DEP_4)
	v_ashrrev_i32_e32 v13, 31, v11
	v_add_co_u32 v70, s7, 0x200, v11
	v_sub_nc_u32_e32 v67, v0, v12
	v_lshl_add_u32 v12, v54, 8, 0xffffff00
	v_sub_nc_u32_e32 v69, 0, v10
	v_and_b32_e32 v80, 0xffffffe0, v1
	v_add_co_ci_u32_e64 v71, s7, 0, v13, s7
	s_delay_alu instid0(VALU_DEP_4)
	v_ashrrev_i32_e32 v10, 31, v12
	v_cmp_eq_u32_e32 vcc_lo, 32, v1
	v_add_co_u32 v81, s7, 0x100, v12
	v_cmp_ne_u32_e64 s2, 32, v1
	v_cmp_ne_u32_e64 s3, v30, v1
	v_ashrrev_i32_e32 v68, 31, v55
	v_cmp_le_i32_e64 s5, v67, v17
	v_cmp_gt_i32_e64 s6, 1, v67
	v_add_co_ci_u32_e64 v82, s7, 0, v10, s7
	v_ashrrev_i32_e32 v83, 31, v80
	s_ashr_i32 s17, s10, 8
	s_mov_b32 s16, 0
	s_xor_b32 s18, vcc_lo, -1
.LBB2_1243:                             ; =>This Loop Header: Depth=1
                                        ;     Child Loop BB2_1253 Depth 2
                                        ;     Child Loop BB2_1280 Depth 2
	;; [unrolled: 1-line block ×10, first 2 shown]
	v_sub_co_u32 v10, vcc_lo, v4, v36
	v_sub_co_ci_u32_e32 v11, vcc_lo, v5, v37, vcc_lo
	v_mov_b32_e32 v14, 0
	s_delay_alu instid0(VALU_DEP_2) | instskip(SKIP_2) | instid1(VALU_DEP_2)
	v_cmp_lt_u64_e32 vcc_lo, v[32:33], v[10:11]
	v_cndmask_b32_e32 v38, v10, v32, vcc_lo
	v_cndmask_b32_e64 v39, v11, 0, vcc_lo
	v_add_nc_u32_e32 v10, 15, v38
	s_delay_alu instid0(VALU_DEP_2) | instskip(NEXT) | instid1(VALU_DEP_2)
	v_cmp_eq_u64_e32 vcc_lo, 0, v[38:39]
	v_and_b32_e32 v10, 0x7ffffff0, v10
	s_or_b32 s19, s1, vcc_lo
	s_delay_alu instid0(SALU_CYCLE_1) | instskip(NEXT) | instid1(VALU_DEP_1)
	s_xor_b32 s7, s19, -1
	v_max_i32_e32 v39, s17, v10
	s_and_saveexec_b32 s20, s7
	s_cbranch_execz .LBB2_2359
; %bb.1244:                             ;   in Loop: Header=BB2_1243 Depth=1
	s_and_saveexec_b32 s10, s0
	s_cbranch_execz .LBB2_1247
; %bb.1245:                             ;   in Loop: Header=BB2_1243 Depth=1
	s_cbranch_execnz .LBB2_2696
; %bb.1246:                             ;   in Loop: Header=BB2_1243 Depth=1
	ds_load_2addr_b64 v[10:13], v0 offset1:1
	ds_load_b64 v[14:15], v0
	v_add_co_u32 v16, vcc_lo, v36, v18
	v_add_co_ci_u32_e32 v17, vcc_lo, v37, v19, vcc_lo
	s_waitcnt lgkmcnt(1)
	s_delay_alu instid0(VALU_DEP_2) | instskip(NEXT) | instid1(VALU_DEP_2)
	v_add_co_u32 v10, vcc_lo, v10, v16
	v_add_co_ci_u32_e32 v11, vcc_lo, v11, v17, vcc_lo
	s_waitcnt lgkmcnt(0)
	v_add_co_u32 v34, vcc_lo, v14, v16
	v_add_co_ci_u32_e32 v48, vcc_lo, v15, v17, vcc_lo
	v_cmp_ne_u64_e32 vcc_lo, 0, v[14:15]
	v_add_co_u32 v12, s7, v12, v16
	s_delay_alu instid0(VALU_DEP_1) | instskip(NEXT) | instid1(VALU_DEP_4)
	v_add_co_ci_u32_e64 v13, s7, v13, v17, s7
	v_dual_cndmask_b32 v15, 0, v48 :: v_dual_cndmask_b32 v14, 0, v34
	ds_store_b64 v0, v[10:11]
	ds_store_b64 v0, v[12:13]
	;; [unrolled: 1-line block ×3, first 2 shown]
.LBB2_1247:                             ;   in Loop: Header=BB2_1243 Depth=1
	s_or_b32 exec_lo, exec_lo, s10
	v_and_b32_e32 v10, 4, v64
	s_mov_b32 s10, -1
	s_mov_b32 s7, exec_lo
	s_delay_alu instid0(VALU_DEP_1)
	v_cmpx_ne_u32_e32 0, v10
	s_cbranch_execz .LBB2_1261
; %bb.1248:                             ;   in Loop: Header=BB2_1243 Depth=1
	v_add_co_u32 v10, vcc_lo, v8, 1
	v_add_co_ci_u32_e32 v11, vcc_lo, 0, v9, vcc_lo
	v_mov_b32_e32 v12, 1
	s_mov_b32 s10, exec_lo
	s_delay_alu instid0(VALU_DEP_2)
	v_cmpx_lt_u64_e64 v[26:27], v[10:11]
	s_cbranch_execz .LBB2_1260
; %bb.1249:                             ;   in Loop: Header=BB2_1243 Depth=1
	v_mov_b32_e32 v12, 0
	s_mov_b32 s21, 0
                                        ; implicit-def: $sgpr22
	s_branch .LBB2_1253
.LBB2_1250:                             ;   in Loop: Header=BB2_1253 Depth=2
	s_or_b32 exec_lo, exec_lo, s26
	v_mov_b32_e32 v13, 0
	s_or_not1_b32 s25, s25, exec_lo
.LBB2_1251:                             ;   in Loop: Header=BB2_1253 Depth=2
	s_or_b32 exec_lo, exec_lo, s24
	s_delay_alu instid0(VALU_DEP_1) | instskip(SKIP_2) | instid1(SALU_CYCLE_1)
	v_mov_b32_e32 v12, v13
	s_and_not1_b32 s22, s22, exec_lo
	s_and_b32 s24, s25, exec_lo
	s_or_b32 s22, s22, s24
.LBB2_1252:                             ;   in Loop: Header=BB2_1253 Depth=2
	s_or_b32 exec_lo, exec_lo, s23
	s_waitcnt vmcnt(0) lgkmcnt(0)
	v_cmp_ge_u64_e32 vcc_lo, v[26:27], v[10:11]
	s_xor_b32 s23, s22, -1
	s_delay_alu instid0(SALU_CYCLE_1) | instskip(NEXT) | instid1(SALU_CYCLE_1)
	s_or_b32 s23, s23, vcc_lo
	s_and_b32 s23, exec_lo, s23
	s_delay_alu instid0(SALU_CYCLE_1) | instskip(NEXT) | instid1(SALU_CYCLE_1)
	s_or_b32 s21, s23, s21
	s_and_not1_b32 exec_lo, exec_lo, s21
	s_cbranch_execz .LBB2_1259
.LBB2_1253:                             ;   Parent Loop BB2_1243 Depth=1
                                        ; =>  This Inner Loop Header: Depth=2
	s_sleep 1
	flat_load_b64 v[26:27], v[22:23] glc
	v_and_b32_e32 v13, 64, v64
	s_and_not1_b32 s22, s22, exec_lo
	s_mov_b32 s23, exec_lo
	s_delay_alu instid0(VALU_DEP_1)
	v_cmpx_eq_u32_e32 0, v13
	s_cbranch_execz .LBB2_1252
; %bb.1254:                             ;   in Loop: Header=BB2_1253 Depth=2
	v_add_nc_u32_e32 v13, 1, v12
	s_mov_b32 s25, -1
	s_mov_b32 s24, exec_lo
	v_cmpx_lt_i32_e32 0x270e, v12
	s_cbranch_execz .LBB2_1251
; %bb.1255:                             ;   in Loop: Header=BB2_1253 Depth=2
	s_cbranch_execnz .LBB2_2721
; %bb.1256:                             ;   in Loop: Header=BB2_1253 Depth=2
	ds_load_b64 v[12:13], v0
	s_mov_b32 s26, exec_lo
	s_waitcnt vmcnt(0) lgkmcnt(0)
	s_waitcnt_vscnt null, 0x0
	flat_load_b32 v12, v[12:13] glc
	s_waitcnt vmcnt(0) lgkmcnt(0)
	buffer_gl1_inv
	buffer_gl0_inv
	v_cmpx_ne_u32_e32 0, v12
	s_cbranch_execz .LBB2_1250
; %bb.1257:                             ;   in Loop: Header=BB2_1253 Depth=2
	ds_store_b32 v0, v12
	s_cbranch_execnz .LBB2_2749
; %bb.1258:                             ;   in Loop: Header=BB2_1253 Depth=2
	v_or_b32_e32 v64, 64, v64
	s_xor_b32 s25, exec_lo, -1
	s_branch .LBB2_1250
.LBB2_1259:                             ;   in Loop: Header=BB2_1243 Depth=1
	s_or_b32 exec_lo, exec_lo, s21
	v_and_b32_e32 v12, 4, v64
.LBB2_1260:                             ;   in Loop: Header=BB2_1243 Depth=1
	s_or_b32 exec_lo, exec_lo, s10
	s_delay_alu instid0(VALU_DEP_1)
	v_cmp_eq_u32_e32 vcc_lo, 0, v12
	;;#ASMSTART
	s_wakeup
	;;#ASMEND
	s_or_not1_b32 s10, vcc_lo, exec_lo
.LBB2_1261:                             ;   in Loop: Header=BB2_1243 Depth=1
	s_or_b32 exec_lo, exec_lo, s7
	s_xor_b32 s7, s10, -1
	s_delay_alu instid0(SALU_CYCLE_1)
	s_and_saveexec_b32 s10, s7
	s_cbranch_execz .LBB2_1271
; %bb.1262:                             ;   in Loop: Header=BB2_1243 Depth=1
	v_and_b32_e32 v10, 0x100, v64
	v_and_b32_e32 v14, 7, v8
	s_mov_b32 s7, -1
	s_delay_alu instid0(VALU_DEP_2)
	v_cmp_ne_u32_e32 vcc_lo, 0, v10
                                        ; implicit-def: $vgpr10_vgpr11
	s_and_saveexec_b32 s21, vcc_lo
	s_cbranch_execz .LBB2_1266
; %bb.1263:                             ;   in Loop: Header=BB2_1243 Depth=1
	v_mad_u64_u32 v[12:13], null, v14, 24, v[6:7]
	flat_load_b32 v10, v[12:13]
	s_waitcnt vmcnt(0) lgkmcnt(0)
	v_cmp_ne_u32_e32 vcc_lo, 1, v10
	v_cmp_eq_u32_e64 s7, 1, v10
                                        ; implicit-def: $vgpr10_vgpr11
	s_delay_alu instid0(VALU_DEP_1)
	s_and_saveexec_b32 s22, s7
	s_cbranch_execz .LBB2_1265
; %bb.1264:                             ;   in Loop: Header=BB2_1243 Depth=1
	flat_load_b32 v10, v[12:13] offset:4 glc
	s_waitcnt vmcnt(0) lgkmcnt(0)
	v_ashrrev_i32_e32 v11, 31, v10
.LBB2_1265:                             ;   in Loop: Header=BB2_1243 Depth=1
	s_or_b32 exec_lo, exec_lo, s22
	s_delay_alu instid0(SALU_CYCLE_1)
	s_or_not1_b32 s7, vcc_lo, exec_lo
.LBB2_1266:                             ;   in Loop: Header=BB2_1243 Depth=1
	s_or_b32 exec_lo, exec_lo, s21
	s_and_saveexec_b32 s21, s7
; %bb.1267:                             ;   in Loop: Header=BB2_1243 Depth=1
	v_mad_i64_i32 v[10:11], null, v14, v65, 0
; %bb.1268:                             ;   in Loop: Header=BB2_1243 Depth=1
	s_or_b32 exec_lo, exec_lo, s21
	s_delay_alu instid0(VALU_DEP_1) | instskip(SKIP_1) | instid1(VALU_DEP_3)
	v_add_co_u32 v10, vcc_lo, v24, v10
	v_and_b32_e32 v12, 0x2000, v64
	v_add_co_ci_u32_e32 v11, vcc_lo, v25, v11, vcc_lo
	s_mov_b32 s7, exec_lo
	ds_store_b64 v0, v[10:11] offset:728
	v_cmpx_ne_u32_e32 0, v12
	s_cbranch_execz .LBB2_1270
; %bb.1269:                             ;   in Loop: Header=BB2_1243 Depth=1
	ds_load_b64 v[10:11], v0 offset:584
	s_waitcnt lgkmcnt(0)
	v_add_co_u32 v10, vcc_lo, v10, 1
	v_add_co_ci_u32_e32 v11, vcc_lo, 0, v11, vcc_lo
	ds_store_b64 v0, v[10:11] offset:584
.LBB2_1270:                             ;   in Loop: Header=BB2_1243 Depth=1
	s_or_b32 exec_lo, exec_lo, s7
	v_add_co_u32 v8, vcc_lo, v8, 1
	v_add_co_ci_u32_e32 v9, vcc_lo, 0, v9, vcc_lo
.LBB2_1271:                             ;   in Loop: Header=BB2_1243 Depth=1
	s_or_b32 exec_lo, exec_lo, s10
	s_and_saveexec_b32 s7, s2
	s_cbranch_execz .LBB2_1293
; %bb.1272:                             ;   in Loop: Header=BB2_1243 Depth=1
	s_and_saveexec_b32 s10, s3
	s_delay_alu instid0(SALU_CYCLE_1)
	s_xor_b32 s10, exec_lo, s10
	s_cbranch_execz .LBB2_1290
; %bb.1273:                             ;   in Loop: Header=BB2_1243 Depth=1
	s_and_saveexec_b32 s21, s4
	s_cbranch_execz .LBB2_1289
; %bb.1274:                             ;   in Loop: Header=BB2_1243 Depth=1
	s_mov_b32 s23, exec_lo
	s_mov_b32 s22, exec_lo
	v_mbcnt_lo_u32_b32 v10, s23, 0
	s_waitcnt lgkmcnt(0)
	s_waitcnt_vscnt null, 0x0
	buffer_gl1_inv
	buffer_gl0_inv
	v_cmpx_eq_u32_e32 0, v10
	s_cbranch_execz .LBB2_1276
; %bb.1275:                             ;   in Loop: Header=BB2_1243 Depth=1
	s_bcnt1_i32_b32 s23, s23
	s_delay_alu instid0(SALU_CYCLE_1)
	v_mov_b32_e32 v34, s23
	ds_add_u64 v0, v[34:35]
	s_cbranch_execnz .LBB2_2767
.LBB2_1276:                             ;   in Loop: Header=BB2_1243 Depth=1
	s_or_b32 exec_lo, exec_lo, s22
	s_cbranch_execnz .LBB2_2755
; %bb.1277:                             ;   in Loop: Header=BB2_1243 Depth=1
	ds_load_b64 v[10:11], v0
	v_add_co_u32 v28, vcc_lo, v28, v54
	v_add_co_ci_u32_e32 v29, vcc_lo, 0, v29, vcc_lo
	s_mov_b32 s22, exec_lo
	s_waitcnt lgkmcnt(0)
	s_delay_alu instid0(VALU_DEP_1)
	v_cmpx_lt_u64_e64 v[10:11], v[28:29]
	s_cbranch_execz .LBB2_1288
; %bb.1278:                             ;   in Loop: Header=BB2_1243 Depth=1
	s_mov_b32 s23, 0
	s_mov_b32 s26, 0
                                        ; implicit-def: $sgpr24
                                        ; implicit-def: $sgpr25
	s_branch .LBB2_1280
.LBB2_1279:                             ;   in Loop: Header=BB2_1280 Depth=2
	s_or_b32 exec_lo, exec_lo, s29
	s_delay_alu instid0(SALU_CYCLE_1) | instskip(NEXT) | instid1(SALU_CYCLE_1)
	s_and_b32 s27, exec_lo, s28
	s_or_b32 s23, s27, s23
	s_and_not1_b32 s24, s24, exec_lo
	s_and_b32 s27, s25, exec_lo
	s_delay_alu instid0(SALU_CYCLE_1)
	s_or_b32 s24, s24, s27
	s_and_not1_b32 exec_lo, exec_lo, s23
	s_cbranch_execz .LBB2_1286
.LBB2_1280:                             ;   Parent Loop BB2_1243 Depth=1
                                        ; =>  This Inner Loop Header: Depth=2
	s_add_i32 s26, s26, 1
                                        ; implicit-def: $sgpr28
	s_delay_alu instid0(SALU_CYCLE_1) | instskip(SKIP_1) | instid1(SALU_CYCLE_1)
	s_cmpk_lg_i32 s26, 0x2710
	s_cselect_b32 s27, -1, 0
	s_and_b32 vcc_lo, exec_lo, s27
	s_cbranch_vccz .LBB2_1284
.LBB2_1281:                             ;   in Loop: Header=BB2_1280 Depth=2
	s_and_not1_b32 s25, s25, exec_lo
	s_and_b32 s29, s28, exec_lo
	s_mov_b32 s28, -1
	s_or_b32 s25, s25, s29
	s_and_saveexec_b32 s29, s27
	s_cbranch_execz .LBB2_1279
; %bb.1282:                             ;   in Loop: Header=BB2_1280 Depth=2
	s_sleep 1
	s_cbranch_execnz .LBB2_2799
; %bb.1283:                             ;   in Loop: Header=BB2_1280 Depth=2
	ds_load_b64 v[10:11], v0
	s_and_not1_b32 s25, s25, exec_lo
	s_waitcnt lgkmcnt(0)
	v_cmp_ge_u64_e32 vcc_lo, v[10:11], v[28:29]
	s_or_not1_b32 s28, vcc_lo, exec_lo
	s_branch .LBB2_1279
.LBB2_1284:                             ;   in Loop: Header=BB2_1280 Depth=2
	s_cbranch_execnz .LBB2_2811
; %bb.1285:                             ;   in Loop: Header=BB2_1280 Depth=2
	ds_load_b64 v[10:11], v0
	s_and_not1_b32 s27, s27, exec_lo
	s_mov_b32 s26, 0
	s_mov_b32 s28, -1
	s_waitcnt lgkmcnt(0)
	flat_load_b32 v10, v[10:11] glc
	s_waitcnt vmcnt(0) lgkmcnt(0)
	buffer_gl1_inv
	buffer_gl0_inv
	v_cmp_eq_u32_e32 vcc_lo, 0, v10
	s_and_b32 s29, vcc_lo, exec_lo
	s_delay_alu instid0(SALU_CYCLE_1)
	s_or_b32 s27, s27, s29
	s_branch .LBB2_1281
.LBB2_1286:                             ;   in Loop: Header=BB2_1243 Depth=1
	s_or_b32 exec_lo, exec_lo, s23
	s_and_saveexec_b32 s23, s24
	s_delay_alu instid0(SALU_CYCLE_1)
	s_xor_b32 s23, exec_lo, s23
	s_cbranch_execz .LBB2_1288
; %bb.1287:                             ;   in Loop: Header=BB2_1243 Depth=1
	ds_store_b32 v0, v84
	s_cbranch_execnz .LBB2_2885
.LBB2_1288:                             ;   in Loop: Header=BB2_1243 Depth=1
	s_or_b32 exec_lo, exec_lo, s22
	;;#ASMSTART
	s_wakeup
	;;#ASMEND
.LBB2_1289:                             ;   in Loop: Header=BB2_1243 Depth=1
	s_or_b32 exec_lo, exec_lo, s21
.LBB2_1290:                             ;   in Loop: Header=BB2_1243 Depth=1
	s_and_not1_saveexec_b32 s10, s10
	s_cbranch_execz .LBB2_1292
; %bb.1291:                             ;   in Loop: Header=BB2_1243 Depth=1
	s_waitcnt lgkmcnt(0)
	s_waitcnt_vscnt null, 0x0
	buffer_gl1_inv
	buffer_gl0_inv
	s_barrier
.LBB2_1292:                             ;   in Loop: Header=BB2_1243 Depth=1
	s_or_b32 exec_lo, exec_lo, s10
.LBB2_1293:                             ;   in Loop: Header=BB2_1243 Depth=1
	s_delay_alu instid0(SALU_CYCLE_1)
	s_or_b32 exec_lo, exec_lo, s7
	s_cbranch_execnz .LBB2_2692
; %bb.1294:                             ;   in Loop: Header=BB2_1243 Depth=1
	ds_load_b32 v10, v0
	v_and_b32_e32 v11, 0x4000, v64
	s_delay_alu instid0(VALU_DEP_1) | instskip(SKIP_1) | instid1(SALU_CYCLE_1)
	v_cmp_ne_u32_e32 vcc_lo, 0, v11
	s_and_b32 s10, s18, vcc_lo
	s_and_saveexec_b32 s7, s10
	s_cbranch_execz .LBB2_1316
; %bb.1295:                             ;   in Loop: Header=BB2_1243 Depth=1
	s_and_saveexec_b32 s10, s3
	s_delay_alu instid0(SALU_CYCLE_1)
	s_xor_b32 s10, exec_lo, s10
	s_cbranch_execz .LBB2_1313
; %bb.1296:                             ;   in Loop: Header=BB2_1243 Depth=1
	s_and_saveexec_b32 s21, s4
	s_cbranch_execz .LBB2_1312
; %bb.1297:                             ;   in Loop: Header=BB2_1243 Depth=1
	s_mov_b32 s23, exec_lo
	s_mov_b32 s22, exec_lo
	v_mbcnt_lo_u32_b32 v11, s23, 0
	s_waitcnt lgkmcnt(0)
	s_waitcnt_vscnt null, 0x0
	buffer_gl1_inv
	buffer_gl0_inv
	v_cmpx_eq_u32_e32 0, v11
	s_cbranch_execz .LBB2_1299
; %bb.1298:                             ;   in Loop: Header=BB2_1243 Depth=1
	s_bcnt1_i32_b32 s23, s23
	s_delay_alu instid0(SALU_CYCLE_1)
	v_mov_b32_e32 v34, s23
	ds_add_u64 v0, v[34:35]
	s_cbranch_execnz .LBB2_2795
.LBB2_1299:                             ;   in Loop: Header=BB2_1243 Depth=1
	s_or_b32 exec_lo, exec_lo, s22
	s_cbranch_execnz .LBB2_2781
; %bb.1300:                             ;   in Loop: Header=BB2_1243 Depth=1
	ds_load_b64 v[11:12], v0
	v_add_co_u32 v28, vcc_lo, v28, v54
	v_add_co_ci_u32_e32 v29, vcc_lo, 0, v29, vcc_lo
	s_mov_b32 s22, exec_lo
	s_waitcnt lgkmcnt(0)
	s_delay_alu instid0(VALU_DEP_1)
	v_cmpx_lt_u64_e64 v[11:12], v[28:29]
	s_cbranch_execz .LBB2_1311
; %bb.1301:                             ;   in Loop: Header=BB2_1243 Depth=1
	s_mov_b32 s23, 0
	s_mov_b32 s26, 0
                                        ; implicit-def: $sgpr24
                                        ; implicit-def: $sgpr25
	s_branch .LBB2_1303
.LBB2_1302:                             ;   in Loop: Header=BB2_1303 Depth=2
	s_or_b32 exec_lo, exec_lo, s29
	s_delay_alu instid0(SALU_CYCLE_1) | instskip(NEXT) | instid1(SALU_CYCLE_1)
	s_and_b32 s27, exec_lo, s28
	s_or_b32 s23, s27, s23
	s_and_not1_b32 s24, s24, exec_lo
	s_and_b32 s27, s25, exec_lo
	s_delay_alu instid0(SALU_CYCLE_1)
	s_or_b32 s24, s24, s27
	s_and_not1_b32 exec_lo, exec_lo, s23
	s_cbranch_execz .LBB2_1309
.LBB2_1303:                             ;   Parent Loop BB2_1243 Depth=1
                                        ; =>  This Inner Loop Header: Depth=2
	s_add_i32 s26, s26, 1
                                        ; implicit-def: $sgpr28
	s_delay_alu instid0(SALU_CYCLE_1) | instskip(SKIP_1) | instid1(SALU_CYCLE_1)
	s_cmpk_lg_i32 s26, 0x2710
	s_cselect_b32 s27, -1, 0
	s_and_b32 vcc_lo, exec_lo, s27
	s_cbranch_vccz .LBB2_1307
.LBB2_1304:                             ;   in Loop: Header=BB2_1303 Depth=2
	s_and_not1_b32 s25, s25, exec_lo
	s_and_b32 s29, s28, exec_lo
	s_mov_b32 s28, -1
	s_or_b32 s25, s25, s29
	s_and_saveexec_b32 s29, s27
	s_cbranch_execz .LBB2_1302
; %bb.1305:                             ;   in Loop: Header=BB2_1303 Depth=2
	s_sleep 1
	s_cbranch_execnz .LBB2_2847
; %bb.1306:                             ;   in Loop: Header=BB2_1303 Depth=2
	ds_load_b64 v[11:12], v0
	s_and_not1_b32 s25, s25, exec_lo
	s_waitcnt lgkmcnt(0)
	v_cmp_ge_u64_e32 vcc_lo, v[11:12], v[28:29]
	s_or_not1_b32 s28, vcc_lo, exec_lo
	s_branch .LBB2_1302
.LBB2_1307:                             ;   in Loop: Header=BB2_1303 Depth=2
	s_cbranch_execnz .LBB2_2857
; %bb.1308:                             ;   in Loop: Header=BB2_1303 Depth=2
	ds_load_b64 v[11:12], v0
	s_and_not1_b32 s27, s27, exec_lo
	s_mov_b32 s26, 0
	s_mov_b32 s28, -1
	s_waitcnt lgkmcnt(0)
	flat_load_b32 v11, v[11:12] glc
	s_waitcnt vmcnt(0) lgkmcnt(0)
	buffer_gl1_inv
	buffer_gl0_inv
	v_cmp_eq_u32_e32 vcc_lo, 0, v11
	s_and_b32 s29, vcc_lo, exec_lo
	s_delay_alu instid0(SALU_CYCLE_1)
	s_or_b32 s27, s27, s29
	s_branch .LBB2_1304
.LBB2_1309:                             ;   in Loop: Header=BB2_1243 Depth=1
	s_or_b32 exec_lo, exec_lo, s23
	s_and_saveexec_b32 s23, s24
	s_delay_alu instid0(SALU_CYCLE_1)
	s_xor_b32 s23, exec_lo, s23
	s_cbranch_execz .LBB2_1311
; %bb.1310:                             ;   in Loop: Header=BB2_1243 Depth=1
	ds_store_b32 v0, v84
	s_cbranch_execnz .LBB2_2895
.LBB2_1311:                             ;   in Loop: Header=BB2_1243 Depth=1
	s_or_b32 exec_lo, exec_lo, s22
	;;#ASMSTART
	s_wakeup
	;;#ASMEND
.LBB2_1312:                             ;   in Loop: Header=BB2_1243 Depth=1
	s_or_b32 exec_lo, exec_lo, s21
.LBB2_1313:                             ;   in Loop: Header=BB2_1243 Depth=1
	s_and_not1_saveexec_b32 s10, s10
	s_cbranch_execz .LBB2_1315
; %bb.1314:                             ;   in Loop: Header=BB2_1243 Depth=1
	s_waitcnt lgkmcnt(0)
	s_waitcnt_vscnt null, 0x0
	buffer_gl1_inv
	buffer_gl0_inv
	s_barrier
.LBB2_1315:                             ;   in Loop: Header=BB2_1243 Depth=1
	s_or_b32 exec_lo, exec_lo, s10
.LBB2_1316:                             ;   in Loop: Header=BB2_1243 Depth=1
	s_delay_alu instid0(SALU_CYCLE_1)
	s_or_b32 exec_lo, exec_lo, s7
	s_cbranch_execnz .LBB2_2725
; %bb.1317:                             ;   in Loop: Header=BB2_1243 Depth=1
	ds_load_b64 v[11:12], v0
	v_min_u32_e32 v39, v39, v38
	s_waitcnt lgkmcnt(0)
	v_cmp_eq_u64_e32 vcc_lo, 0, v[11:12]
	s_or_b32 s7, vcc_lo, vcc_lo
	s_delay_alu instid0(SALU_CYCLE_1)
	s_and_b32 vcc_lo, exec_lo, s7
	s_mov_b32 s7, 0
	s_cbranch_vccnz .LBB2_2332
; %bb.1318:                             ;   in Loop: Header=BB2_1243 Depth=1
	s_mov_b32 s7, -1
	s_and_saveexec_b32 s10, s5
	s_cbranch_execz .LBB2_1320
; %bb.1319:                             ;   in Loop: Header=BB2_1243 Depth=1
	ds_load_b32 v11, v0 offset:720
	s_waitcnt lgkmcnt(0)
	v_and_b32_e32 v11, 15, v11
	s_delay_alu instid0(VALU_DEP_1)
	v_cmp_eq_u32_e32 vcc_lo, 0, v11
	s_or_not1_b32 s7, vcc_lo, exec_lo
.LBB2_1320:                             ;   in Loop: Header=BB2_1243 Depth=1
	s_or_b32 exec_lo, exec_lo, s10
	s_and_saveexec_b32 s10, s6
	s_cbranch_execz .LBB2_1322
; %bb.1321:                             ;   in Loop: Header=BB2_1243 Depth=1
	ds_load_b32 v11, v0 offset:784
	s_waitcnt lgkmcnt(0)
	v_and_b32_e32 v11, 15, v11
	s_delay_alu instid0(VALU_DEP_1) | instskip(SKIP_3) | instid1(SALU_CYCLE_1)
	v_cmp_eq_u32_e32 vcc_lo, 0, v11
	s_and_b32 s21, s7, vcc_lo
	s_and_not1_b32 s7, s7, exec_lo
	s_and_b32 s21, s21, exec_lo
	s_or_b32 s7, s7, s21
.LBB2_1322:                             ;   in Loop: Header=BB2_1243 Depth=1
	s_or_b32 exec_lo, exec_lo, s10
	v_cmp_eq_u32_e32 vcc_lo, 0, v10
	s_xor_b32 s7, s7, -1
	v_mov_b32_e32 v16, v0
	v_cndmask_b32_e64 v11, 0, 1, s7
	;;#ASMSTART
	;;#ASMEND
	v_dual_cndmask_b32 v34, 0, v39 :: v_dual_mov_b32 v85, 0
	s_delay_alu instid0(VALU_DEP_2) | instskip(SKIP_1) | instid1(VALU_DEP_2)
	v_cmp_ne_u32_e32 vcc_lo, 0, v11
	s_mov_b32 s21, -1
	v_mov_b32_e32 v86, v34
	s_cbranch_vccnz .LBB2_2104
; %bb.1323:                             ;   in Loop: Header=BB2_1243 Depth=1
	v_and_b32_e32 v87, 0x1ff, v34
	v_lshrrev_b32_e32 v10, 9, v34
	v_sub_nc_u32_e32 v85, v34, v55
	s_mov_b32 s21, exec_lo
	s_delay_alu instid0(VALU_DEP_3) | instskip(NEXT) | instid1(VALU_DEP_3)
	v_cmp_lt_u32_e32 vcc_lo, 15, v87
	v_add_co_ci_u32_e64 v96, s7, v10, v69, vcc_lo
	s_delay_alu instid0(VALU_DEP_3)
	v_cmpx_lt_i32_e32 15, v85
	s_cbranch_execz .LBB2_1712
; %bb.1324:                             ;   in Loop: Header=BB2_1243 Depth=1
	s_cbranch_execnz .LBB2_2813
; %bb.1325:                             ;   in Loop: Header=BB2_1243 Depth=1
	ds_load_b128 v[10:13], v0
	ds_load_b64 v[14:15], v0
	s_mov_b32 s22, 0
	s_waitcnt lgkmcnt(1)
	v_add_co_u32 v48, s7, v10, v55
	s_delay_alu instid0(VALU_DEP_1) | instskip(SKIP_1) | instid1(VALU_DEP_1)
	v_add_co_ci_u32_e64 v49, s7, v11, v68, s7
	v_add_co_u32 v50, s7, v12, v55
	v_add_co_ci_u32_e64 v51, s7, v13, v68, s7
	s_waitcnt lgkmcnt(0)
	v_add_co_u32 v52, s7, v14, v55
	s_delay_alu instid0(VALU_DEP_1)
	v_add_co_ci_u32_e64 v53, s7, v15, v68, s7
	s_branch .LBB2_1329
.LBB2_1326:                             ;   in Loop: Header=BB2_1329 Depth=2
	s_or_b32 exec_lo, exec_lo, s7
	s_delay_alu instid0(VALU_DEP_1) | instskip(NEXT) | instid1(VALU_DEP_2)
	v_lshrrev_b32_e32 v113, 21, v113
	v_min_i32_e32 v114, 31, v17
	v_cmp_gt_i32_e64 s7, 32, v17
	v_lshrrev_b32_e32 v13, 24, v13
	s_delay_alu instid0(VALU_DEP_3) | instskip(NEXT) | instid1(VALU_DEP_3)
	v_lshlrev_b32_e32 v114, 2, v114
	v_cndmask_b32_e64 v113, 3, v113, s7
	s_delay_alu instid0(VALU_DEP_3) | instskip(NEXT) | instid1(VALU_DEP_3)
	v_and_b32_e32 v13, 0x80, v13
	v_and_b32_e32 v114, 0xfc, v114
	s_delay_alu instid0(VALU_DEP_3) | instskip(SKIP_1) | instid1(VALU_DEP_2)
	v_and_b32_e32 v115, 3, v113
	v_or_b32_e32 v17, v17, v113
	v_or3_b32 v13, v13, v114, v115
	s_delay_alu instid0(VALU_DEP_2) | instskip(NEXT) | instid1(VALU_DEP_2)
	v_cmp_ne_u32_e64 s7, 0, v17
	v_lshlrev_b32_e32 v13, 8, v13
	s_delay_alu instid0(VALU_DEP_1)
	v_cndmask_b32_e64 v17, 0, v13, s7
.LBB2_1327:                             ;   in Loop: Header=BB2_1329 Depth=2
	s_or_b32 exec_lo, exec_lo, s24
.LBB2_1328:                             ;   in Loop: Header=BB2_1329 Depth=2
	s_delay_alu instid0(SALU_CYCLE_1)
	s_or_b32 exec_lo, exec_lo, s23
	v_or_b32_e32 v11, v11, v100
	v_and_b32_e32 v13, 0xff, v98
	v_lshlrev_b32_e32 v97, 8, v97
	v_and_b32_e32 v98, 0xff, v102
	v_lshlrev_b32_e32 v100, 8, v101
	v_or_b32_e32 v17, v17, v112
	v_and_b32_e32 v14, 0xff, v14
	v_lshlrev_b32_e32 v10, 24, v10
	v_lshlrev_b32_e32 v11, 16, v11
	;; [unrolled: 1-line block ×3, first 2 shown]
	v_perm_b32 v86, v97, v86, 0xc0c0500
	v_lshlrev_b32_e32 v12, 24, v12
	v_lshlrev_b32_e32 v97, 16, v98
	v_perm_b32 v15, v100, v15, 0xc0c0500
	v_and_b32_e32 v16, 0xff, v16
	v_lshlrev_b32_e32 v17, 16, v17
	v_add_co_u32 v48, s7, v48, v70
	v_or3_b32 v11, v99, v14, v11
	v_or3_b32 v10, v10, v13, v86
	;; [unrolled: 1-line block ×4, first 2 shown]
	v_sub_nc_u32_e32 v85, v85, v66
	v_add_co_ci_u32_e64 v49, s7, v49, v71, s7
	v_add_co_u32 v50, s7, v50, v70
	s_delay_alu instid0(VALU_DEP_1) | instskip(SKIP_3) | instid1(VALU_DEP_1)
	v_add_co_ci_u32_e64 v51, s7, v51, v71, s7
	global_store_b128 v[52:53], v[10:13], off glc slc dlc
	v_cmp_gt_i32_e64 s7, 16, v85
	v_add_co_u32 v52, s10, v52, v70
	v_add_co_ci_u32_e64 v53, s10, v53, v71, s10
	v_sub_nc_u32_e32 v96, v96, v54
	s_delay_alu instid0(VALU_DEP_4) | instskip(NEXT) | instid1(SALU_CYCLE_1)
	s_or_b32 s22, s7, s22
	s_and_not1_b32 exec_lo, exec_lo, s22
	s_cbranch_execz .LBB2_1711
.LBB2_1329:                             ;   Parent Loop BB2_1243 Depth=1
                                        ; =>  This Inner Loop Header: Depth=2
	global_load_b128 v[14:17], v[48:49], off slc dlc
	global_load_b128 v[10:13], v[50:51], off slc dlc
	s_mov_b32 s10, 0
	s_mov_b32 s24, exec_lo
                                        ; implicit-def: $sgpr23
	s_waitcnt vmcnt(1)
	v_and_b32_e32 v97, 0xff, v14
	s_delay_alu instid0(VALU_DEP_1)
	v_cmpx_lt_i16_e32 0x7f, v97
	s_xor_b32 s24, exec_lo, s24
	s_cbranch_execnz .LBB2_1583
; %bb.1330:                             ;   in Loop: Header=BB2_1329 Depth=2
	s_or_saveexec_b32 s24, s24
	v_mov_b32_e32 v86, s23
	s_xor_b32 exec_lo, exec_lo, s24
	s_cbranch_execnz .LBB2_1586
.LBB2_1331:                             ;   in Loop: Header=BB2_1329 Depth=2
	s_or_b32 exec_lo, exec_lo, s24
	s_and_saveexec_b32 s23, s10
	s_cbranch_execz .LBB2_1333
.LBB2_1332:                             ;   in Loop: Header=BB2_1329 Depth=2
	v_and_b32_e32 v86, 3, v14
	v_bfe_u32 v99, v14, 2, 5
	v_lshlrev_b32_e32 v100, 24, v14
	s_delay_alu instid0(VALU_DEP_3) | instskip(NEXT) | instid1(VALU_DEP_3)
	v_clz_i32_u32_e32 v97, v86
	v_cmp_eq_u32_e64 s7, 0, v99
	s_delay_alu instid0(VALU_DEP_2) | instskip(NEXT) | instid1(VALU_DEP_1)
	v_min_u32_e32 v97, 32, v97
	v_subrev_nc_u32_e32 v98, 29, v97
	v_sub_nc_u32_e32 v97, 30, v97
	s_delay_alu instid0(VALU_DEP_2) | instskip(NEXT) | instid1(VALU_DEP_2)
	v_lshlrev_b32_e32 v98, v98, v14
	v_cndmask_b32_e64 v97, v99, v97, s7
	s_delay_alu instid0(VALU_DEP_2) | instskip(NEXT) | instid1(VALU_DEP_2)
	v_and_b32_e32 v98, 3, v98
	v_lshl_add_u32 v97, v97, 23, 0x37800000
	s_delay_alu instid0(VALU_DEP_2) | instskip(SKIP_1) | instid1(VALU_DEP_2)
	v_cndmask_b32_e64 v86, v86, v98, s7
	v_and_b32_e32 v98, 0x80000000, v100
	v_lshlrev_b32_e32 v86, 21, v86
	s_delay_alu instid0(VALU_DEP_1)
	v_or3_b32 v86, v98, v97, v86
.LBB2_1333:                             ;   in Loop: Header=BB2_1329 Depth=2
	s_or_b32 exec_lo, exec_lo, s23
	s_waitcnt vmcnt(0)
	v_and_b32_e32 v98, 0xff, v10
	s_mov_b32 s10, 0
	s_mov_b32 s24, exec_lo
                                        ; implicit-def: $sgpr23
	s_delay_alu instid0(VALU_DEP_1)
	v_cmpx_lt_i16_e32 0x7f, v98
	s_xor_b32 s24, exec_lo, s24
	s_cbranch_execnz .LBB2_1587
; %bb.1334:                             ;   in Loop: Header=BB2_1329 Depth=2
	s_or_saveexec_b32 s24, s24
	v_mov_b32_e32 v97, s23
	s_xor_b32 exec_lo, exec_lo, s24
	s_cbranch_execnz .LBB2_1590
.LBB2_1335:                             ;   in Loop: Header=BB2_1329 Depth=2
	s_or_b32 exec_lo, exec_lo, s24
	s_and_saveexec_b32 s23, s10
	s_cbranch_execz .LBB2_1337
.LBB2_1336:                             ;   in Loop: Header=BB2_1329 Depth=2
	v_and_b32_e32 v97, 3, v10
	v_bfe_u32 v100, v10, 2, 5
	v_lshlrev_b32_e32 v101, 24, v10
	s_delay_alu instid0(VALU_DEP_3) | instskip(NEXT) | instid1(VALU_DEP_3)
	v_clz_i32_u32_e32 v98, v97
	v_cmp_eq_u32_e64 s7, 0, v100
	s_delay_alu instid0(VALU_DEP_2) | instskip(NEXT) | instid1(VALU_DEP_1)
	v_min_u32_e32 v98, 32, v98
	v_subrev_nc_u32_e32 v99, 29, v98
	v_sub_nc_u32_e32 v98, 30, v98
	s_delay_alu instid0(VALU_DEP_2) | instskip(NEXT) | instid1(VALU_DEP_2)
	v_lshlrev_b32_e32 v99, v99, v10
	v_cndmask_b32_e64 v98, v100, v98, s7
	s_delay_alu instid0(VALU_DEP_2) | instskip(NEXT) | instid1(VALU_DEP_2)
	v_and_b32_e32 v99, 3, v99
	v_lshl_add_u32 v98, v98, 23, 0x37800000
	s_delay_alu instid0(VALU_DEP_2) | instskip(SKIP_1) | instid1(VALU_DEP_2)
	v_cndmask_b32_e64 v97, v97, v99, s7
	v_and_b32_e32 v99, 0x80000000, v101
	v_lshlrev_b32_e32 v97, 21, v97
	s_delay_alu instid0(VALU_DEP_1)
	v_or3_b32 v97, v99, v98, v97
.LBB2_1337:                             ;   in Loop: Header=BB2_1329 Depth=2
	s_or_b32 exec_lo, exec_lo, s23
	s_delay_alu instid0(VALU_DEP_1) | instskip(NEXT) | instid1(VALU_DEP_1)
	v_mul_f32_e32 v97, v86, v97
	v_and_b32_e32 v86, 0x7f800000, v97
	s_delay_alu instid0(VALU_DEP_1) | instskip(SKIP_1) | instid1(VALU_DEP_2)
	v_cmp_ne_u32_e64 s7, 0x7f800000, v86
	v_mov_b32_e32 v86, 0x80
	s_and_saveexec_b32 s23, s7
	s_cbranch_execz .LBB2_1345
; %bb.1338:                             ;   in Loop: Header=BB2_1329 Depth=2
	v_mov_b32_e32 v86, 0
	s_mov_b32 s24, exec_lo
	v_cmpx_ne_u32_e32 0, v97
	s_cbranch_execz .LBB2_1344
; %bb.1339:                             ;   in Loop: Header=BB2_1329 Depth=2
	v_bfe_u32 v86, v97, 23, 8
	v_and_b32_e32 v98, 0x7fffff, v97
	s_delay_alu instid0(VALU_DEP_2) | instskip(SKIP_1) | instid1(VALU_DEP_3)
	v_sub_nc_u32_e32 v99, 0x70, v86
	v_cmp_gt_u32_e64 s7, 0x71, v86
	v_or_b32_e32 v100, 0x800000, v98
	s_delay_alu instid0(VALU_DEP_2) | instskip(SKIP_2) | instid1(VALU_DEP_2)
	v_cndmask_b32_e64 v99, 0, v99, s7
	v_cmp_eq_u32_e64 s7, 0, v86
	v_add_nc_u32_e32 v86, 0xffffff91, v86
	v_cndmask_b32_e64 v99, v99, 0x6f, s7
	v_cndmask_b32_e64 v98, v100, v98, s7
	s_delay_alu instid0(VALU_DEP_3) | instskip(NEXT) | instid1(VALU_DEP_3)
	v_cndmask_b32_e64 v86, v86, 0xffffff92, s7
	v_lshl_add_u32 v100, 0x200000, v99, -1
	s_delay_alu instid0(VALU_DEP_3) | instskip(SKIP_1) | instid1(VALU_DEP_4)
	v_lshrrev_b32_e32 v101, v99, v98
	v_lshlrev_b32_e64 v103, v99, 0x100000
	v_add_nc_u32_e32 v99, v99, v86
	s_delay_alu instid0(VALU_DEP_4) | instskip(NEXT) | instid1(VALU_DEP_4)
	v_and_b32_e32 v98, v100, v98
	v_bfe_u32 v102, v101, 21, 1
	s_delay_alu instid0(VALU_DEP_2) | instskip(NEXT) | instid1(VALU_DEP_2)
	v_cmp_eq_u32_e64 s10, v98, v103
	v_add_nc_u32_e32 v100, -1, v102
	s_delay_alu instid0(VALU_DEP_1) | instskip(SKIP_2) | instid1(VALU_DEP_2)
	v_cndmask_b32_e64 v98, 0, v100, s10
	v_lshrrev_b32_e32 v100, 23, v101
	s_mov_b32 s10, exec_lo
	v_add_nc_u32_e32 v98, v98, v101
	s_delay_alu instid0(VALU_DEP_2) | instskip(NEXT) | instid1(VALU_DEP_2)
	v_xor_b32_e32 v100, 1, v100
	v_and_b32_e32 v86, 0x1fffff, v98
	s_delay_alu instid0(VALU_DEP_1) | instskip(NEXT) | instid1(VALU_DEP_3)
	v_add_nc_u32_e32 v98, v86, v101
                                        ; implicit-def: $vgpr86
	v_cmpx_ne_u32_e64 v99, v100
	s_xor_b32 s10, exec_lo, s10
; %bb.1340:                             ;   in Loop: Header=BB2_1329 Depth=2
	s_delay_alu instid0(VALU_DEP_2) | instskip(SKIP_1) | instid1(VALU_DEP_2)
	v_cmp_lt_u32_e64 s7, 0xffffff, v98
	v_sub_nc_u32_e32 v86, v99, v100
	v_cndmask_b32_e64 v99, 0, 1, s7
	s_delay_alu instid0(VALU_DEP_2) | instskip(NEXT) | instid1(VALU_DEP_2)
	v_add_co_ci_u32_e64 v86, s7, 0, v86, s7
	v_lshrrev_b32_e32 v98, v99, v98
; %bb.1341:                             ;   in Loop: Header=BB2_1329 Depth=2
	s_and_not1_saveexec_b32 s7, s10
; %bb.1342:                             ;   in Loop: Header=BB2_1329 Depth=2
	s_delay_alu instid0(VALU_DEP_1)
	v_bfe_u32 v86, v98, 23, 1
; %bb.1343:                             ;   in Loop: Header=BB2_1329 Depth=2
	s_or_b32 exec_lo, exec_lo, s7
	v_lshrrev_b32_e32 v98, 21, v98
	s_delay_alu instid0(VALU_DEP_2) | instskip(SKIP_2) | instid1(VALU_DEP_3)
	v_cmp_gt_i32_e64 s7, 32, v86
	v_lshrrev_b32_e32 v97, 24, v97
	v_min_i32_e32 v99, 31, v86
	v_cndmask_b32_e64 v98, 3, v98, s7
	s_delay_alu instid0(VALU_DEP_3) | instskip(NEXT) | instid1(VALU_DEP_3)
	v_and_b32_e32 v97, 0x80, v97
	v_lshlrev_b32_e32 v99, 2, v99
	s_delay_alu instid0(VALU_DEP_3) | instskip(SKIP_1) | instid1(VALU_DEP_2)
	v_and_b32_e32 v100, 3, v98
	v_or_b32_e32 v86, v86, v98
	v_or3_b32 v97, v99, v97, v100
	s_delay_alu instid0(VALU_DEP_2) | instskip(NEXT) | instid1(VALU_DEP_1)
	v_cmp_ne_u32_e64 s7, 0, v86
	v_cndmask_b32_e64 v86, 0, v97, s7
.LBB2_1344:                             ;   in Loop: Header=BB2_1329 Depth=2
	s_or_b32 exec_lo, exec_lo, s24
.LBB2_1345:                             ;   in Loop: Header=BB2_1329 Depth=2
	s_delay_alu instid0(SALU_CYCLE_1) | instskip(SKIP_3) | instid1(VALU_DEP_1)
	s_or_b32 exec_lo, exec_lo, s23
	v_lshrrev_b16 v98, 8, v14
	s_mov_b32 s10, 0
	s_mov_b32 s24, exec_lo
                                        ; implicit-def: $sgpr23
	v_cmpx_lt_i16_e32 0x7f, v98
	s_xor_b32 s24, exec_lo, s24
	s_cbranch_execnz .LBB2_1591
; %bb.1346:                             ;   in Loop: Header=BB2_1329 Depth=2
	s_or_saveexec_b32 s24, s24
	v_mov_b32_e32 v97, s23
	s_xor_b32 exec_lo, exec_lo, s24
	s_cbranch_execnz .LBB2_1594
.LBB2_1347:                             ;   in Loop: Header=BB2_1329 Depth=2
	s_or_b32 exec_lo, exec_lo, s24
	s_and_saveexec_b32 s23, s10
	s_cbranch_execz .LBB2_1349
.LBB2_1348:                             ;   in Loop: Header=BB2_1329 Depth=2
	v_and_b32_e32 v97, 0xffff, v98
	v_lshlrev_b32_e32 v98, 24, v98
	s_delay_alu instid0(VALU_DEP_2) | instskip(NEXT) | instid1(VALU_DEP_2)
	v_and_b32_e32 v99, 3, v97
	v_and_b32_e32 v98, 0x80000000, v98
	s_delay_alu instid0(VALU_DEP_2) | instskip(NEXT) | instid1(VALU_DEP_1)
	v_clz_i32_u32_e32 v100, v99
	v_min_u32_e32 v100, 32, v100
	s_delay_alu instid0(VALU_DEP_1) | instskip(SKIP_1) | instid1(VALU_DEP_2)
	v_subrev_nc_u32_e32 v101, 29, v100
	v_sub_nc_u32_e32 v100, 30, v100
	v_lshlrev_b32_e32 v101, v101, v97
	v_bfe_u32 v97, v97, 2, 5
	s_delay_alu instid0(VALU_DEP_2) | instskip(NEXT) | instid1(VALU_DEP_2)
	v_and_b32_e32 v101, 3, v101
	v_cmp_eq_u32_e64 s7, 0, v97
	s_delay_alu instid0(VALU_DEP_1) | instskip(NEXT) | instid1(VALU_DEP_3)
	v_cndmask_b32_e64 v97, v97, v100, s7
	v_cndmask_b32_e64 v99, v99, v101, s7
	s_delay_alu instid0(VALU_DEP_2) | instskip(NEXT) | instid1(VALU_DEP_2)
	v_lshl_add_u32 v97, v97, 23, 0x37800000
	v_lshlrev_b32_e32 v99, 21, v99
	s_delay_alu instid0(VALU_DEP_1)
	v_or3_b32 v97, v98, v97, v99
.LBB2_1349:                             ;   in Loop: Header=BB2_1329 Depth=2
	s_or_b32 exec_lo, exec_lo, s23
	v_lshrrev_b16 v98, 8, v10
	s_mov_b32 s10, 0
	s_mov_b32 s24, exec_lo
                                        ; implicit-def: $sgpr23
	s_delay_alu instid0(VALU_DEP_1)
	v_cmpx_lt_i16_e32 0x7f, v98
	s_xor_b32 s24, exec_lo, s24
	s_cbranch_execnz .LBB2_1595
; %bb.1350:                             ;   in Loop: Header=BB2_1329 Depth=2
	s_or_saveexec_b32 s24, s24
	v_mov_b32_e32 v99, s23
	s_xor_b32 exec_lo, exec_lo, s24
	s_cbranch_execnz .LBB2_1598
.LBB2_1351:                             ;   in Loop: Header=BB2_1329 Depth=2
	s_or_b32 exec_lo, exec_lo, s24
	s_and_saveexec_b32 s23, s10
	s_cbranch_execz .LBB2_1353
.LBB2_1352:                             ;   in Loop: Header=BB2_1329 Depth=2
	v_and_b32_e32 v99, 0xffff, v98
	v_lshlrev_b32_e32 v98, 24, v98
	s_delay_alu instid0(VALU_DEP_2) | instskip(NEXT) | instid1(VALU_DEP_2)
	v_and_b32_e32 v100, 3, v99
	v_and_b32_e32 v98, 0x80000000, v98
	s_delay_alu instid0(VALU_DEP_2) | instskip(NEXT) | instid1(VALU_DEP_1)
	v_clz_i32_u32_e32 v101, v100
	v_min_u32_e32 v101, 32, v101
	s_delay_alu instid0(VALU_DEP_1) | instskip(SKIP_1) | instid1(VALU_DEP_2)
	v_subrev_nc_u32_e32 v102, 29, v101
	v_sub_nc_u32_e32 v101, 30, v101
	v_lshlrev_b32_e32 v102, v102, v99
	v_bfe_u32 v99, v99, 2, 5
	s_delay_alu instid0(VALU_DEP_2) | instskip(NEXT) | instid1(VALU_DEP_2)
	v_and_b32_e32 v102, 3, v102
	v_cmp_eq_u32_e64 s7, 0, v99
	s_delay_alu instid0(VALU_DEP_1) | instskip(NEXT) | instid1(VALU_DEP_3)
	v_cndmask_b32_e64 v99, v99, v101, s7
	v_cndmask_b32_e64 v100, v100, v102, s7
	s_delay_alu instid0(VALU_DEP_2) | instskip(NEXT) | instid1(VALU_DEP_2)
	v_lshl_add_u32 v99, v99, 23, 0x37800000
	v_lshlrev_b32_e32 v100, 21, v100
	s_delay_alu instid0(VALU_DEP_1)
	v_or3_b32 v99, v98, v99, v100
.LBB2_1353:                             ;   in Loop: Header=BB2_1329 Depth=2
	s_or_b32 exec_lo, exec_lo, s23
	s_delay_alu instid0(VALU_DEP_1) | instskip(NEXT) | instid1(VALU_DEP_1)
	v_mul_f32_e32 v98, v97, v99
	v_and_b32_e32 v97, 0x7f800000, v98
	s_delay_alu instid0(VALU_DEP_1) | instskip(SKIP_1) | instid1(VALU_DEP_2)
	v_cmp_ne_u32_e64 s7, 0x7f800000, v97
	v_mov_b32_e32 v97, 0x80
	s_and_saveexec_b32 s23, s7
	s_cbranch_execz .LBB2_1361
; %bb.1354:                             ;   in Loop: Header=BB2_1329 Depth=2
	v_mov_b32_e32 v97, 0
	s_mov_b32 s24, exec_lo
	v_cmpx_ne_u32_e32 0, v98
	s_cbranch_execz .LBB2_1360
; %bb.1355:                             ;   in Loop: Header=BB2_1329 Depth=2
	v_bfe_u32 v97, v98, 23, 8
	v_and_b32_e32 v99, 0x7fffff, v98
	s_delay_alu instid0(VALU_DEP_2) | instskip(SKIP_1) | instid1(VALU_DEP_3)
	v_sub_nc_u32_e32 v100, 0x70, v97
	v_cmp_gt_u32_e64 s7, 0x71, v97
	v_or_b32_e32 v101, 0x800000, v99
	s_delay_alu instid0(VALU_DEP_2) | instskip(SKIP_2) | instid1(VALU_DEP_2)
	v_cndmask_b32_e64 v100, 0, v100, s7
	v_cmp_eq_u32_e64 s7, 0, v97
	v_add_nc_u32_e32 v97, 0xffffff91, v97
	v_cndmask_b32_e64 v100, v100, 0x6f, s7
	v_cndmask_b32_e64 v99, v101, v99, s7
	s_delay_alu instid0(VALU_DEP_3) | instskip(NEXT) | instid1(VALU_DEP_3)
	v_cndmask_b32_e64 v97, v97, 0xffffff92, s7
	v_lshl_add_u32 v101, 0x200000, v100, -1
	s_delay_alu instid0(VALU_DEP_3) | instskip(SKIP_1) | instid1(VALU_DEP_4)
	v_lshrrev_b32_e32 v102, v100, v99
	v_lshlrev_b32_e64 v112, v100, 0x100000
	v_add_nc_u32_e32 v100, v100, v97
	s_delay_alu instid0(VALU_DEP_4) | instskip(NEXT) | instid1(VALU_DEP_4)
	v_and_b32_e32 v99, v101, v99
	v_bfe_u32 v103, v102, 21, 1
	s_delay_alu instid0(VALU_DEP_2) | instskip(NEXT) | instid1(VALU_DEP_2)
	v_cmp_eq_u32_e64 s10, v99, v112
	v_add_nc_u32_e32 v101, -1, v103
	s_delay_alu instid0(VALU_DEP_1) | instskip(SKIP_2) | instid1(VALU_DEP_2)
	v_cndmask_b32_e64 v99, 0, v101, s10
	v_lshrrev_b32_e32 v101, 23, v102
	s_mov_b32 s10, exec_lo
	v_add_nc_u32_e32 v99, v99, v102
	s_delay_alu instid0(VALU_DEP_2) | instskip(NEXT) | instid1(VALU_DEP_2)
	v_xor_b32_e32 v101, 1, v101
	v_and_b32_e32 v97, 0x1fffff, v99
	s_delay_alu instid0(VALU_DEP_1) | instskip(NEXT) | instid1(VALU_DEP_3)
	v_add_nc_u32_e32 v99, v97, v102
                                        ; implicit-def: $vgpr97
	v_cmpx_ne_u32_e64 v100, v101
	s_xor_b32 s10, exec_lo, s10
; %bb.1356:                             ;   in Loop: Header=BB2_1329 Depth=2
	s_delay_alu instid0(VALU_DEP_2) | instskip(SKIP_1) | instid1(VALU_DEP_2)
	v_cmp_lt_u32_e64 s7, 0xffffff, v99
	v_sub_nc_u32_e32 v97, v100, v101
	v_cndmask_b32_e64 v100, 0, 1, s7
	s_delay_alu instid0(VALU_DEP_2) | instskip(NEXT) | instid1(VALU_DEP_2)
	v_add_co_ci_u32_e64 v97, s7, 0, v97, s7
	v_lshrrev_b32_e32 v99, v100, v99
; %bb.1357:                             ;   in Loop: Header=BB2_1329 Depth=2
	s_and_not1_saveexec_b32 s7, s10
; %bb.1358:                             ;   in Loop: Header=BB2_1329 Depth=2
	s_delay_alu instid0(VALU_DEP_1)
	v_bfe_u32 v97, v99, 23, 1
; %bb.1359:                             ;   in Loop: Header=BB2_1329 Depth=2
	s_or_b32 exec_lo, exec_lo, s7
	v_lshrrev_b32_e32 v99, 21, v99
	s_delay_alu instid0(VALU_DEP_2) | instskip(SKIP_2) | instid1(VALU_DEP_3)
	v_cmp_gt_i32_e64 s7, 32, v97
	v_lshrrev_b32_e32 v98, 24, v98
	v_min_i32_e32 v100, 31, v97
	v_cndmask_b32_e64 v99, 3, v99, s7
	s_delay_alu instid0(VALU_DEP_3) | instskip(NEXT) | instid1(VALU_DEP_3)
	v_and_b32_e32 v98, 0x80, v98
	v_lshlrev_b32_e32 v100, 2, v100
	s_delay_alu instid0(VALU_DEP_3) | instskip(SKIP_1) | instid1(VALU_DEP_2)
	v_and_b32_e32 v101, 3, v99
	v_or_b32_e32 v97, v97, v99
	v_or3_b32 v98, v100, v98, v101
	s_delay_alu instid0(VALU_DEP_2) | instskip(NEXT) | instid1(VALU_DEP_1)
	v_cmp_ne_u32_e64 s7, 0, v97
	v_cndmask_b32_e64 v97, 0, v98, s7
.LBB2_1360:                             ;   in Loop: Header=BB2_1329 Depth=2
	s_or_b32 exec_lo, exec_lo, s24
.LBB2_1361:                             ;   in Loop: Header=BB2_1329 Depth=2
	s_delay_alu instid0(SALU_CYCLE_1) | instskip(SKIP_3) | instid1(VALU_DEP_1)
	s_or_b32 exec_lo, exec_lo, s23
	v_lshrrev_b32_e32 v99, 16, v14
	s_mov_b32 s10, 0
	s_mov_b32 s24, exec_lo
                                        ; implicit-def: $sgpr23
	v_and_b32_e32 v100, 0xff, v99
	s_delay_alu instid0(VALU_DEP_1)
	v_cmpx_lt_i16_e32 0x7f, v100
	s_xor_b32 s24, exec_lo, s24
	s_cbranch_execnz .LBB2_1599
; %bb.1362:                             ;   in Loop: Header=BB2_1329 Depth=2
	s_or_saveexec_b32 s24, s24
	v_mov_b32_e32 v98, s23
	s_xor_b32 exec_lo, exec_lo, s24
	s_cbranch_execnz .LBB2_1602
.LBB2_1363:                             ;   in Loop: Header=BB2_1329 Depth=2
	s_or_b32 exec_lo, exec_lo, s24
	s_and_saveexec_b32 s23, s10
	s_cbranch_execz .LBB2_1365
.LBB2_1364:                             ;   in Loop: Header=BB2_1329 Depth=2
	v_bfe_u32 v98, v14, 16, 2
	v_lshlrev_b32_e32 v102, 8, v14
	s_delay_alu instid0(VALU_DEP_2) | instskip(NEXT) | instid1(VALU_DEP_1)
	v_clz_i32_u32_e32 v100, v98
	v_min_u32_e32 v100, 32, v100
	s_delay_alu instid0(VALU_DEP_1) | instskip(SKIP_1) | instid1(VALU_DEP_2)
	v_subrev_nc_u32_e32 v101, 29, v100
	v_sub_nc_u32_e32 v100, 30, v100
	v_lshlrev_b32_e32 v99, v101, v99
	v_bfe_u32 v101, v14, 18, 5
	s_delay_alu instid0(VALU_DEP_2) | instskip(NEXT) | instid1(VALU_DEP_2)
	v_and_b32_e32 v99, 3, v99
	v_cmp_eq_u32_e64 s7, 0, v101
	s_delay_alu instid0(VALU_DEP_1) | instskip(NEXT) | instid1(VALU_DEP_3)
	v_cndmask_b32_e64 v100, v101, v100, s7
	v_cndmask_b32_e64 v98, v98, v99, s7
	v_and_b32_e32 v99, 0x80000000, v102
	s_delay_alu instid0(VALU_DEP_3) | instskip(NEXT) | instid1(VALU_DEP_3)
	v_lshl_add_u32 v100, v100, 23, 0x37800000
	v_lshlrev_b32_e32 v98, 21, v98
	s_delay_alu instid0(VALU_DEP_1)
	v_or3_b32 v98, v99, v100, v98
.LBB2_1365:                             ;   in Loop: Header=BB2_1329 Depth=2
	s_or_b32 exec_lo, exec_lo, s23
	v_lshrrev_b32_e32 v99, 16, v10
	s_mov_b32 s10, 0
	s_mov_b32 s24, exec_lo
                                        ; implicit-def: $sgpr23
	s_delay_alu instid0(VALU_DEP_1) | instskip(NEXT) | instid1(VALU_DEP_1)
	v_and_b32_e32 v101, 0xff, v99
	v_cmpx_lt_i16_e32 0x7f, v101
	s_xor_b32 s24, exec_lo, s24
	s_cbranch_execnz .LBB2_1603
; %bb.1366:                             ;   in Loop: Header=BB2_1329 Depth=2
	s_or_saveexec_b32 s24, s24
	v_mov_b32_e32 v100, s23
	s_xor_b32 exec_lo, exec_lo, s24
	s_cbranch_execnz .LBB2_1606
.LBB2_1367:                             ;   in Loop: Header=BB2_1329 Depth=2
	s_or_b32 exec_lo, exec_lo, s24
	s_and_saveexec_b32 s23, s10
	s_cbranch_execz .LBB2_1369
.LBB2_1368:                             ;   in Loop: Header=BB2_1329 Depth=2
	v_bfe_u32 v100, v10, 16, 2
	v_lshlrev_b32_e32 v103, 8, v10
	s_delay_alu instid0(VALU_DEP_2) | instskip(NEXT) | instid1(VALU_DEP_1)
	v_clz_i32_u32_e32 v101, v100
	v_min_u32_e32 v101, 32, v101
	s_delay_alu instid0(VALU_DEP_1) | instskip(SKIP_1) | instid1(VALU_DEP_2)
	v_subrev_nc_u32_e32 v102, 29, v101
	v_sub_nc_u32_e32 v101, 30, v101
	v_lshlrev_b32_e32 v99, v102, v99
	v_bfe_u32 v102, v10, 18, 5
	s_delay_alu instid0(VALU_DEP_2) | instskip(NEXT) | instid1(VALU_DEP_2)
	v_and_b32_e32 v99, 3, v99
	v_cmp_eq_u32_e64 s7, 0, v102
	s_delay_alu instid0(VALU_DEP_1) | instskip(NEXT) | instid1(VALU_DEP_3)
	v_cndmask_b32_e64 v101, v102, v101, s7
	v_cndmask_b32_e64 v99, v100, v99, s7
	v_and_b32_e32 v100, 0x80000000, v103
	s_delay_alu instid0(VALU_DEP_3) | instskip(NEXT) | instid1(VALU_DEP_3)
	v_lshl_add_u32 v101, v101, 23, 0x37800000
	v_lshlrev_b32_e32 v99, 21, v99
	s_delay_alu instid0(VALU_DEP_1)
	v_or3_b32 v100, v100, v101, v99
.LBB2_1369:                             ;   in Loop: Header=BB2_1329 Depth=2
	s_or_b32 exec_lo, exec_lo, s23
	s_delay_alu instid0(VALU_DEP_1) | instskip(NEXT) | instid1(VALU_DEP_1)
	v_mul_f32_e32 v99, v98, v100
	v_and_b32_e32 v98, 0x7f800000, v99
	s_delay_alu instid0(VALU_DEP_1) | instskip(SKIP_1) | instid1(VALU_DEP_2)
	v_cmp_ne_u32_e64 s7, 0x7f800000, v98
	v_mov_b32_e32 v98, 0x80
	s_and_saveexec_b32 s23, s7
	s_cbranch_execz .LBB2_1377
; %bb.1370:                             ;   in Loop: Header=BB2_1329 Depth=2
	v_mov_b32_e32 v98, 0
	s_mov_b32 s24, exec_lo
	v_cmpx_ne_u32_e32 0, v99
	s_cbranch_execz .LBB2_1376
; %bb.1371:                             ;   in Loop: Header=BB2_1329 Depth=2
	v_bfe_u32 v98, v99, 23, 8
	v_and_b32_e32 v100, 0x7fffff, v99
	s_delay_alu instid0(VALU_DEP_2) | instskip(SKIP_1) | instid1(VALU_DEP_3)
	v_sub_nc_u32_e32 v101, 0x70, v98
	v_cmp_gt_u32_e64 s7, 0x71, v98
	v_or_b32_e32 v102, 0x800000, v100
	s_delay_alu instid0(VALU_DEP_2) | instskip(SKIP_2) | instid1(VALU_DEP_2)
	v_cndmask_b32_e64 v101, 0, v101, s7
	v_cmp_eq_u32_e64 s7, 0, v98
	v_add_nc_u32_e32 v98, 0xffffff91, v98
	v_cndmask_b32_e64 v101, v101, 0x6f, s7
	v_cndmask_b32_e64 v100, v102, v100, s7
	s_delay_alu instid0(VALU_DEP_3) | instskip(NEXT) | instid1(VALU_DEP_3)
	v_cndmask_b32_e64 v98, v98, 0xffffff92, s7
	v_lshl_add_u32 v102, 0x200000, v101, -1
	s_delay_alu instid0(VALU_DEP_3) | instskip(SKIP_1) | instid1(VALU_DEP_4)
	v_lshrrev_b32_e32 v103, v101, v100
	v_lshlrev_b32_e64 v113, v101, 0x100000
	v_add_nc_u32_e32 v101, v101, v98
	s_delay_alu instid0(VALU_DEP_4) | instskip(NEXT) | instid1(VALU_DEP_4)
	v_and_b32_e32 v100, v102, v100
	v_bfe_u32 v112, v103, 21, 1
	s_delay_alu instid0(VALU_DEP_2) | instskip(NEXT) | instid1(VALU_DEP_2)
	v_cmp_eq_u32_e64 s10, v100, v113
	v_add_nc_u32_e32 v102, -1, v112
	s_delay_alu instid0(VALU_DEP_1) | instskip(SKIP_2) | instid1(VALU_DEP_2)
	v_cndmask_b32_e64 v100, 0, v102, s10
	v_lshrrev_b32_e32 v102, 23, v103
	s_mov_b32 s10, exec_lo
	v_add_nc_u32_e32 v100, v100, v103
	s_delay_alu instid0(VALU_DEP_2) | instskip(NEXT) | instid1(VALU_DEP_2)
	v_xor_b32_e32 v102, 1, v102
	v_and_b32_e32 v98, 0x1fffff, v100
	s_delay_alu instid0(VALU_DEP_1) | instskip(NEXT) | instid1(VALU_DEP_3)
	v_add_nc_u32_e32 v100, v98, v103
                                        ; implicit-def: $vgpr98
	v_cmpx_ne_u32_e64 v101, v102
	s_xor_b32 s10, exec_lo, s10
; %bb.1372:                             ;   in Loop: Header=BB2_1329 Depth=2
	s_delay_alu instid0(VALU_DEP_2) | instskip(SKIP_1) | instid1(VALU_DEP_2)
	v_cmp_lt_u32_e64 s7, 0xffffff, v100
	v_sub_nc_u32_e32 v98, v101, v102
	v_cndmask_b32_e64 v101, 0, 1, s7
	s_delay_alu instid0(VALU_DEP_2) | instskip(NEXT) | instid1(VALU_DEP_2)
	v_add_co_ci_u32_e64 v98, s7, 0, v98, s7
	v_lshrrev_b32_e32 v100, v101, v100
; %bb.1373:                             ;   in Loop: Header=BB2_1329 Depth=2
	s_and_not1_saveexec_b32 s7, s10
; %bb.1374:                             ;   in Loop: Header=BB2_1329 Depth=2
	s_delay_alu instid0(VALU_DEP_1)
	v_bfe_u32 v98, v100, 23, 1
; %bb.1375:                             ;   in Loop: Header=BB2_1329 Depth=2
	s_or_b32 exec_lo, exec_lo, s7
	v_lshrrev_b32_e32 v100, 21, v100
	s_delay_alu instid0(VALU_DEP_2) | instskip(SKIP_2) | instid1(VALU_DEP_3)
	v_cmp_gt_i32_e64 s7, 32, v98
	v_lshrrev_b32_e32 v99, 24, v99
	v_min_i32_e32 v101, 31, v98
	v_cndmask_b32_e64 v100, 3, v100, s7
	s_delay_alu instid0(VALU_DEP_3) | instskip(NEXT) | instid1(VALU_DEP_3)
	v_and_b32_e32 v99, 0x80, v99
	v_lshlrev_b32_e32 v101, 2, v101
	s_delay_alu instid0(VALU_DEP_3) | instskip(SKIP_1) | instid1(VALU_DEP_2)
	v_and_b32_e32 v102, 3, v100
	v_or_b32_e32 v98, v98, v100
	v_or3_b32 v99, v101, v99, v102
	s_delay_alu instid0(VALU_DEP_2) | instskip(NEXT) | instid1(VALU_DEP_1)
	v_cmp_ne_u32_e64 s7, 0, v98
	v_cndmask_b32_e64 v98, 0, v99, s7
.LBB2_1376:                             ;   in Loop: Header=BB2_1329 Depth=2
	s_or_b32 exec_lo, exec_lo, s24
.LBB2_1377:                             ;   in Loop: Header=BB2_1329 Depth=2
	s_delay_alu instid0(SALU_CYCLE_1) | instskip(SKIP_3) | instid1(VALU_DEP_1)
	s_or_b32 exec_lo, exec_lo, s23
	v_lshrrev_b32_e32 v100, 24, v14
	s_mov_b32 s10, 0
	s_mov_b32 s24, exec_lo
                                        ; implicit-def: $sgpr23
	v_cmpx_lt_i16_e32 0x7f, v100
	s_xor_b32 s24, exec_lo, s24
	s_cbranch_execnz .LBB2_1607
; %bb.1378:                             ;   in Loop: Header=BB2_1329 Depth=2
	s_or_saveexec_b32 s24, s24
	v_mov_b32_e32 v99, s23
	s_xor_b32 exec_lo, exec_lo, s24
	s_cbranch_execnz .LBB2_1610
.LBB2_1379:                             ;   in Loop: Header=BB2_1329 Depth=2
	s_or_b32 exec_lo, exec_lo, s24
	s_and_saveexec_b32 s23, s10
	s_cbranch_execz .LBB2_1381
.LBB2_1380:                             ;   in Loop: Header=BB2_1329 Depth=2
	v_bfe_u32 v99, v14, 24, 2
	s_delay_alu instid0(VALU_DEP_1) | instskip(NEXT) | instid1(VALU_DEP_1)
	v_clz_i32_u32_e32 v101, v99
	v_min_u32_e32 v101, 32, v101
	s_delay_alu instid0(VALU_DEP_1) | instskip(SKIP_1) | instid1(VALU_DEP_2)
	v_subrev_nc_u32_e32 v102, 29, v101
	v_sub_nc_u32_e32 v101, 30, v101
	v_lshlrev_b32_e32 v100, v102, v100
	v_bfe_u32 v102, v14, 26, 5
	v_and_b32_e32 v14, 0x80000000, v14
	s_delay_alu instid0(VALU_DEP_3) | instskip(NEXT) | instid1(VALU_DEP_3)
	v_and_b32_e32 v100, 3, v100
	v_cmp_eq_u32_e64 s7, 0, v102
	s_delay_alu instid0(VALU_DEP_1) | instskip(NEXT) | instid1(VALU_DEP_3)
	v_cndmask_b32_e64 v101, v102, v101, s7
	v_cndmask_b32_e64 v99, v99, v100, s7
	s_delay_alu instid0(VALU_DEP_2) | instskip(NEXT) | instid1(VALU_DEP_2)
	v_lshl_add_u32 v100, v101, 23, 0x37800000
	v_lshlrev_b32_e32 v99, 21, v99
	s_delay_alu instid0(VALU_DEP_1)
	v_or3_b32 v99, v14, v100, v99
.LBB2_1381:                             ;   in Loop: Header=BB2_1329 Depth=2
	s_or_b32 exec_lo, exec_lo, s23
	v_lshrrev_b32_e32 v14, 24, v10
	s_mov_b32 s10, 0
	s_mov_b32 s24, exec_lo
                                        ; implicit-def: $sgpr23
	s_delay_alu instid0(VALU_DEP_1)
	v_cmpx_lt_i16_e32 0x7f, v14
	s_xor_b32 s24, exec_lo, s24
	s_cbranch_execnz .LBB2_1611
; %bb.1382:                             ;   in Loop: Header=BB2_1329 Depth=2
	s_or_saveexec_b32 s24, s24
	v_mov_b32_e32 v100, s23
	s_xor_b32 exec_lo, exec_lo, s24
	s_cbranch_execnz .LBB2_1614
.LBB2_1383:                             ;   in Loop: Header=BB2_1329 Depth=2
	s_or_b32 exec_lo, exec_lo, s24
	s_and_saveexec_b32 s23, s10
	s_cbranch_execz .LBB2_1385
.LBB2_1384:                             ;   in Loop: Header=BB2_1329 Depth=2
	v_bfe_u32 v100, v10, 24, 2
	s_delay_alu instid0(VALU_DEP_1) | instskip(NEXT) | instid1(VALU_DEP_1)
	v_clz_i32_u32_e32 v101, v100
	v_min_u32_e32 v101, 32, v101
	s_delay_alu instid0(VALU_DEP_1) | instskip(SKIP_1) | instid1(VALU_DEP_2)
	v_subrev_nc_u32_e32 v102, 29, v101
	v_sub_nc_u32_e32 v101, 30, v101
	v_lshlrev_b32_e32 v14, v102, v14
	v_bfe_u32 v102, v10, 26, 5
	v_and_b32_e32 v10, 0x80000000, v10
	s_delay_alu instid0(VALU_DEP_3) | instskip(NEXT) | instid1(VALU_DEP_3)
	v_and_b32_e32 v14, 3, v14
	v_cmp_eq_u32_e64 s7, 0, v102
	s_delay_alu instid0(VALU_DEP_1) | instskip(NEXT) | instid1(VALU_DEP_3)
	v_cndmask_b32_e64 v101, v102, v101, s7
	v_cndmask_b32_e64 v14, v100, v14, s7
	s_delay_alu instid0(VALU_DEP_2) | instskip(NEXT) | instid1(VALU_DEP_2)
	v_lshl_add_u32 v100, v101, 23, 0x37800000
	v_lshlrev_b32_e32 v14, 21, v14
	s_delay_alu instid0(VALU_DEP_1)
	v_or3_b32 v100, v10, v100, v14
.LBB2_1385:                             ;   in Loop: Header=BB2_1329 Depth=2
	s_or_b32 exec_lo, exec_lo, s23
	s_delay_alu instid0(VALU_DEP_1) | instskip(NEXT) | instid1(VALU_DEP_1)
	v_mul_f32_e32 v14, v99, v100
	v_and_b32_e32 v10, 0x7f800000, v14
	s_delay_alu instid0(VALU_DEP_1) | instskip(SKIP_1) | instid1(VALU_DEP_2)
	v_cmp_ne_u32_e64 s7, 0x7f800000, v10
	v_mov_b32_e32 v10, 0x80
	s_and_saveexec_b32 s23, s7
	s_cbranch_execz .LBB2_1393
; %bb.1386:                             ;   in Loop: Header=BB2_1329 Depth=2
	v_mov_b32_e32 v10, 0
	s_mov_b32 s24, exec_lo
	v_cmpx_ne_u32_e32 0, v14
	s_cbranch_execz .LBB2_1392
; %bb.1387:                             ;   in Loop: Header=BB2_1329 Depth=2
	v_bfe_u32 v10, v14, 23, 8
	v_and_b32_e32 v99, 0x7fffff, v14
	s_delay_alu instid0(VALU_DEP_2) | instskip(SKIP_1) | instid1(VALU_DEP_3)
	v_sub_nc_u32_e32 v100, 0x70, v10
	v_cmp_gt_u32_e64 s7, 0x71, v10
	v_or_b32_e32 v101, 0x800000, v99
	s_delay_alu instid0(VALU_DEP_2) | instskip(SKIP_2) | instid1(VALU_DEP_2)
	v_cndmask_b32_e64 v100, 0, v100, s7
	v_cmp_eq_u32_e64 s7, 0, v10
	v_add_nc_u32_e32 v10, 0xffffff91, v10
	v_cndmask_b32_e64 v100, v100, 0x6f, s7
	v_cndmask_b32_e64 v99, v101, v99, s7
	s_delay_alu instid0(VALU_DEP_3) | instskip(NEXT) | instid1(VALU_DEP_3)
	v_cndmask_b32_e64 v10, v10, 0xffffff92, s7
	v_lshl_add_u32 v101, 0x200000, v100, -1
	s_delay_alu instid0(VALU_DEP_3) | instskip(SKIP_1) | instid1(VALU_DEP_4)
	v_lshrrev_b32_e32 v102, v100, v99
	v_lshlrev_b32_e64 v112, v100, 0x100000
	v_add_nc_u32_e32 v100, v100, v10
	s_delay_alu instid0(VALU_DEP_4) | instskip(NEXT) | instid1(VALU_DEP_4)
	v_and_b32_e32 v99, v101, v99
	v_bfe_u32 v103, v102, 21, 1
	s_delay_alu instid0(VALU_DEP_2) | instskip(NEXT) | instid1(VALU_DEP_2)
	v_cmp_eq_u32_e64 s10, v99, v112
	v_add_nc_u32_e32 v101, -1, v103
	s_delay_alu instid0(VALU_DEP_1) | instskip(SKIP_2) | instid1(VALU_DEP_2)
	v_cndmask_b32_e64 v99, 0, v101, s10
	v_lshrrev_b32_e32 v101, 23, v102
	s_mov_b32 s10, exec_lo
	v_add_nc_u32_e32 v99, v99, v102
	s_delay_alu instid0(VALU_DEP_2) | instskip(NEXT) | instid1(VALU_DEP_2)
	v_xor_b32_e32 v101, 1, v101
	v_and_b32_e32 v10, 0x1fffff, v99
	s_delay_alu instid0(VALU_DEP_1) | instskip(NEXT) | instid1(VALU_DEP_3)
	v_add_nc_u32_e32 v99, v10, v102
                                        ; implicit-def: $vgpr10
	v_cmpx_ne_u32_e64 v100, v101
	s_xor_b32 s10, exec_lo, s10
; %bb.1388:                             ;   in Loop: Header=BB2_1329 Depth=2
	s_delay_alu instid0(VALU_DEP_2) | instskip(SKIP_1) | instid1(VALU_DEP_2)
	v_cmp_lt_u32_e64 s7, 0xffffff, v99
	v_sub_nc_u32_e32 v10, v100, v101
	v_cndmask_b32_e64 v100, 0, 1, s7
	s_delay_alu instid0(VALU_DEP_2) | instskip(NEXT) | instid1(VALU_DEP_2)
	v_add_co_ci_u32_e64 v10, s7, 0, v10, s7
	v_lshrrev_b32_e32 v99, v100, v99
; %bb.1389:                             ;   in Loop: Header=BB2_1329 Depth=2
	s_and_not1_saveexec_b32 s7, s10
; %bb.1390:                             ;   in Loop: Header=BB2_1329 Depth=2
	s_delay_alu instid0(VALU_DEP_1)
	v_bfe_u32 v10, v99, 23, 1
; %bb.1391:                             ;   in Loop: Header=BB2_1329 Depth=2
	s_or_b32 exec_lo, exec_lo, s7
	v_lshrrev_b32_e32 v99, 21, v99
	s_delay_alu instid0(VALU_DEP_2) | instskip(SKIP_2) | instid1(VALU_DEP_3)
	v_cmp_gt_i32_e64 s7, 32, v10
	v_lshrrev_b32_e32 v14, 24, v14
	v_min_i32_e32 v100, 31, v10
	v_cndmask_b32_e64 v99, 3, v99, s7
	s_delay_alu instid0(VALU_DEP_3) | instskip(NEXT) | instid1(VALU_DEP_3)
	v_and_b32_e32 v14, 0x80, v14
	v_lshlrev_b32_e32 v100, 2, v100
	s_delay_alu instid0(VALU_DEP_3) | instskip(SKIP_1) | instid1(VALU_DEP_2)
	v_and_b32_e32 v101, 3, v99
	v_or_b32_e32 v10, v10, v99
	v_or3_b32 v14, v100, v14, v101
	s_delay_alu instid0(VALU_DEP_2) | instskip(NEXT) | instid1(VALU_DEP_1)
	v_cmp_ne_u32_e64 s7, 0, v10
	v_cndmask_b32_e64 v10, 0, v14, s7
.LBB2_1392:                             ;   in Loop: Header=BB2_1329 Depth=2
	s_or_b32 exec_lo, exec_lo, s24
.LBB2_1393:                             ;   in Loop: Header=BB2_1329 Depth=2
	s_delay_alu instid0(SALU_CYCLE_1) | instskip(SKIP_3) | instid1(VALU_DEP_1)
	s_or_b32 exec_lo, exec_lo, s23
	v_and_b32_e32 v99, 0xff, v15
	s_mov_b32 s10, 0
	s_mov_b32 s24, exec_lo
                                        ; implicit-def: $sgpr23
	v_cmpx_lt_i16_e32 0x7f, v99
	s_xor_b32 s24, exec_lo, s24
	s_cbranch_execnz .LBB2_1615
; %bb.1394:                             ;   in Loop: Header=BB2_1329 Depth=2
	s_or_saveexec_b32 s24, s24
	v_mov_b32_e32 v14, s23
	s_xor_b32 exec_lo, exec_lo, s24
	s_cbranch_execnz .LBB2_1618
.LBB2_1395:                             ;   in Loop: Header=BB2_1329 Depth=2
	s_or_b32 exec_lo, exec_lo, s24
	s_and_saveexec_b32 s23, s10
	s_cbranch_execz .LBB2_1397
.LBB2_1396:                             ;   in Loop: Header=BB2_1329 Depth=2
	v_and_b32_e32 v14, 3, v15
	v_bfe_u32 v101, v15, 2, 5
	v_lshlrev_b32_e32 v102, 24, v15
	s_delay_alu instid0(VALU_DEP_3) | instskip(NEXT) | instid1(VALU_DEP_3)
	v_clz_i32_u32_e32 v99, v14
	v_cmp_eq_u32_e64 s7, 0, v101
	s_delay_alu instid0(VALU_DEP_2) | instskip(NEXT) | instid1(VALU_DEP_1)
	v_min_u32_e32 v99, 32, v99
	v_subrev_nc_u32_e32 v100, 29, v99
	v_sub_nc_u32_e32 v99, 30, v99
	s_delay_alu instid0(VALU_DEP_2) | instskip(NEXT) | instid1(VALU_DEP_2)
	v_lshlrev_b32_e32 v100, v100, v15
	v_cndmask_b32_e64 v99, v101, v99, s7
	s_delay_alu instid0(VALU_DEP_2) | instskip(NEXT) | instid1(VALU_DEP_2)
	v_and_b32_e32 v100, 3, v100
	v_lshl_add_u32 v99, v99, 23, 0x37800000
	s_delay_alu instid0(VALU_DEP_2) | instskip(SKIP_1) | instid1(VALU_DEP_2)
	v_cndmask_b32_e64 v14, v14, v100, s7
	v_and_b32_e32 v100, 0x80000000, v102
	v_lshlrev_b32_e32 v14, 21, v14
	s_delay_alu instid0(VALU_DEP_1)
	v_or3_b32 v14, v100, v99, v14
.LBB2_1397:                             ;   in Loop: Header=BB2_1329 Depth=2
	s_or_b32 exec_lo, exec_lo, s23
	v_and_b32_e32 v100, 0xff, v11
	s_mov_b32 s10, 0
	s_mov_b32 s24, exec_lo
                                        ; implicit-def: $sgpr23
	s_delay_alu instid0(VALU_DEP_1)
	v_cmpx_lt_i16_e32 0x7f, v100
	s_xor_b32 s24, exec_lo, s24
	s_cbranch_execnz .LBB2_1619
; %bb.1398:                             ;   in Loop: Header=BB2_1329 Depth=2
	s_or_saveexec_b32 s24, s24
	v_mov_b32_e32 v99, s23
	s_xor_b32 exec_lo, exec_lo, s24
	s_cbranch_execnz .LBB2_1622
.LBB2_1399:                             ;   in Loop: Header=BB2_1329 Depth=2
	s_or_b32 exec_lo, exec_lo, s24
	s_and_saveexec_b32 s23, s10
	s_cbranch_execz .LBB2_1401
.LBB2_1400:                             ;   in Loop: Header=BB2_1329 Depth=2
	v_and_b32_e32 v99, 3, v11
	v_bfe_u32 v102, v11, 2, 5
	v_lshlrev_b32_e32 v103, 24, v11
	s_delay_alu instid0(VALU_DEP_3) | instskip(NEXT) | instid1(VALU_DEP_3)
	v_clz_i32_u32_e32 v100, v99
	v_cmp_eq_u32_e64 s7, 0, v102
	s_delay_alu instid0(VALU_DEP_2) | instskip(NEXT) | instid1(VALU_DEP_1)
	v_min_u32_e32 v100, 32, v100
	v_subrev_nc_u32_e32 v101, 29, v100
	v_sub_nc_u32_e32 v100, 30, v100
	s_delay_alu instid0(VALU_DEP_2) | instskip(NEXT) | instid1(VALU_DEP_2)
	v_lshlrev_b32_e32 v101, v101, v11
	v_cndmask_b32_e64 v100, v102, v100, s7
	s_delay_alu instid0(VALU_DEP_2) | instskip(NEXT) | instid1(VALU_DEP_2)
	v_and_b32_e32 v101, 3, v101
	v_lshl_add_u32 v100, v100, 23, 0x37800000
	s_delay_alu instid0(VALU_DEP_2) | instskip(SKIP_1) | instid1(VALU_DEP_2)
	v_cndmask_b32_e64 v99, v99, v101, s7
	v_and_b32_e32 v101, 0x80000000, v103
	v_lshlrev_b32_e32 v99, 21, v99
	s_delay_alu instid0(VALU_DEP_1)
	v_or3_b32 v99, v101, v100, v99
.LBB2_1401:                             ;   in Loop: Header=BB2_1329 Depth=2
	s_or_b32 exec_lo, exec_lo, s23
	s_delay_alu instid0(VALU_DEP_1) | instskip(NEXT) | instid1(VALU_DEP_1)
	v_mul_f32_e32 v99, v14, v99
	v_and_b32_e32 v14, 0x7f800000, v99
	s_delay_alu instid0(VALU_DEP_1) | instskip(SKIP_1) | instid1(VALU_DEP_2)
	v_cmp_ne_u32_e64 s7, 0x7f800000, v14
	v_mov_b32_e32 v14, 0x80
	s_and_saveexec_b32 s23, s7
	s_cbranch_execz .LBB2_1409
; %bb.1402:                             ;   in Loop: Header=BB2_1329 Depth=2
	v_mov_b32_e32 v14, 0
	s_mov_b32 s24, exec_lo
	v_cmpx_ne_u32_e32 0, v99
	s_cbranch_execz .LBB2_1408
; %bb.1403:                             ;   in Loop: Header=BB2_1329 Depth=2
	v_bfe_u32 v14, v99, 23, 8
	v_and_b32_e32 v100, 0x7fffff, v99
	s_delay_alu instid0(VALU_DEP_2) | instskip(SKIP_1) | instid1(VALU_DEP_3)
	v_sub_nc_u32_e32 v101, 0x70, v14
	v_cmp_gt_u32_e64 s7, 0x71, v14
	v_or_b32_e32 v102, 0x800000, v100
	s_delay_alu instid0(VALU_DEP_2) | instskip(SKIP_2) | instid1(VALU_DEP_2)
	v_cndmask_b32_e64 v101, 0, v101, s7
	v_cmp_eq_u32_e64 s7, 0, v14
	v_add_nc_u32_e32 v14, 0xffffff91, v14
	v_cndmask_b32_e64 v101, v101, 0x6f, s7
	v_cndmask_b32_e64 v100, v102, v100, s7
	s_delay_alu instid0(VALU_DEP_3) | instskip(NEXT) | instid1(VALU_DEP_3)
	v_cndmask_b32_e64 v14, v14, 0xffffff92, s7
	v_lshl_add_u32 v102, 0x200000, v101, -1
	s_delay_alu instid0(VALU_DEP_3) | instskip(SKIP_1) | instid1(VALU_DEP_4)
	v_lshrrev_b32_e32 v103, v101, v100
	v_lshlrev_b32_e64 v113, v101, 0x100000
	v_add_nc_u32_e32 v101, v101, v14
	s_delay_alu instid0(VALU_DEP_4) | instskip(NEXT) | instid1(VALU_DEP_4)
	v_and_b32_e32 v100, v102, v100
	v_bfe_u32 v112, v103, 21, 1
	s_delay_alu instid0(VALU_DEP_2) | instskip(NEXT) | instid1(VALU_DEP_2)
	v_cmp_eq_u32_e64 s10, v100, v113
	v_add_nc_u32_e32 v102, -1, v112
	s_delay_alu instid0(VALU_DEP_1) | instskip(SKIP_2) | instid1(VALU_DEP_2)
	v_cndmask_b32_e64 v100, 0, v102, s10
	v_lshrrev_b32_e32 v102, 23, v103
	s_mov_b32 s10, exec_lo
	v_add_nc_u32_e32 v100, v100, v103
	s_delay_alu instid0(VALU_DEP_2) | instskip(NEXT) | instid1(VALU_DEP_2)
	v_xor_b32_e32 v102, 1, v102
	v_and_b32_e32 v14, 0x1fffff, v100
	s_delay_alu instid0(VALU_DEP_1) | instskip(NEXT) | instid1(VALU_DEP_3)
	v_add_nc_u32_e32 v100, v14, v103
                                        ; implicit-def: $vgpr14
	v_cmpx_ne_u32_e64 v101, v102
	s_xor_b32 s10, exec_lo, s10
; %bb.1404:                             ;   in Loop: Header=BB2_1329 Depth=2
	s_delay_alu instid0(VALU_DEP_2) | instskip(SKIP_1) | instid1(VALU_DEP_2)
	v_cmp_lt_u32_e64 s7, 0xffffff, v100
	v_sub_nc_u32_e32 v14, v101, v102
	v_cndmask_b32_e64 v101, 0, 1, s7
	s_delay_alu instid0(VALU_DEP_2) | instskip(NEXT) | instid1(VALU_DEP_2)
	v_add_co_ci_u32_e64 v14, s7, 0, v14, s7
	v_lshrrev_b32_e32 v100, v101, v100
; %bb.1405:                             ;   in Loop: Header=BB2_1329 Depth=2
	s_and_not1_saveexec_b32 s7, s10
; %bb.1406:                             ;   in Loop: Header=BB2_1329 Depth=2
	s_delay_alu instid0(VALU_DEP_1)
	v_bfe_u32 v14, v100, 23, 1
; %bb.1407:                             ;   in Loop: Header=BB2_1329 Depth=2
	s_or_b32 exec_lo, exec_lo, s7
	v_lshrrev_b32_e32 v100, 21, v100
	s_delay_alu instid0(VALU_DEP_2) | instskip(SKIP_2) | instid1(VALU_DEP_3)
	v_cmp_gt_i32_e64 s7, 32, v14
	v_lshrrev_b32_e32 v99, 24, v99
	v_min_i32_e32 v101, 31, v14
	v_cndmask_b32_e64 v100, 3, v100, s7
	s_delay_alu instid0(VALU_DEP_3) | instskip(NEXT) | instid1(VALU_DEP_3)
	v_and_b32_e32 v99, 0x80, v99
	v_lshlrev_b32_e32 v101, 2, v101
	s_delay_alu instid0(VALU_DEP_3) | instskip(SKIP_1) | instid1(VALU_DEP_2)
	v_and_b32_e32 v102, 3, v100
	v_or_b32_e32 v14, v14, v100
	v_or3_b32 v99, v101, v99, v102
	s_delay_alu instid0(VALU_DEP_2) | instskip(NEXT) | instid1(VALU_DEP_1)
	v_cmp_ne_u32_e64 s7, 0, v14
	v_cndmask_b32_e64 v14, 0, v99, s7
.LBB2_1408:                             ;   in Loop: Header=BB2_1329 Depth=2
	s_or_b32 exec_lo, exec_lo, s24
.LBB2_1409:                             ;   in Loop: Header=BB2_1329 Depth=2
	s_delay_alu instid0(SALU_CYCLE_1) | instskip(SKIP_3) | instid1(VALU_DEP_1)
	s_or_b32 exec_lo, exec_lo, s23
	v_lshrrev_b16 v100, 8, v15
	s_mov_b32 s10, 0
	s_mov_b32 s24, exec_lo
                                        ; implicit-def: $sgpr23
	v_cmpx_lt_i16_e32 0x7f, v100
	s_xor_b32 s24, exec_lo, s24
	s_cbranch_execnz .LBB2_1623
; %bb.1410:                             ;   in Loop: Header=BB2_1329 Depth=2
	s_or_saveexec_b32 s24, s24
	v_mov_b32_e32 v99, s23
	s_xor_b32 exec_lo, exec_lo, s24
	s_cbranch_execnz .LBB2_1626
.LBB2_1411:                             ;   in Loop: Header=BB2_1329 Depth=2
	s_or_b32 exec_lo, exec_lo, s24
	s_and_saveexec_b32 s23, s10
	s_cbranch_execz .LBB2_1413
.LBB2_1412:                             ;   in Loop: Header=BB2_1329 Depth=2
	v_and_b32_e32 v99, 0xffff, v100
	v_lshlrev_b32_e32 v100, 24, v100
	s_delay_alu instid0(VALU_DEP_2) | instskip(NEXT) | instid1(VALU_DEP_2)
	v_and_b32_e32 v101, 3, v99
	v_and_b32_e32 v100, 0x80000000, v100
	s_delay_alu instid0(VALU_DEP_2) | instskip(NEXT) | instid1(VALU_DEP_1)
	v_clz_i32_u32_e32 v102, v101
	v_min_u32_e32 v102, 32, v102
	s_delay_alu instid0(VALU_DEP_1) | instskip(SKIP_1) | instid1(VALU_DEP_2)
	v_subrev_nc_u32_e32 v103, 29, v102
	v_sub_nc_u32_e32 v102, 30, v102
	v_lshlrev_b32_e32 v103, v103, v99
	v_bfe_u32 v99, v99, 2, 5
	s_delay_alu instid0(VALU_DEP_2) | instskip(NEXT) | instid1(VALU_DEP_2)
	v_and_b32_e32 v103, 3, v103
	v_cmp_eq_u32_e64 s7, 0, v99
	s_delay_alu instid0(VALU_DEP_1) | instskip(NEXT) | instid1(VALU_DEP_3)
	v_cndmask_b32_e64 v99, v99, v102, s7
	v_cndmask_b32_e64 v101, v101, v103, s7
	s_delay_alu instid0(VALU_DEP_2) | instskip(NEXT) | instid1(VALU_DEP_2)
	v_lshl_add_u32 v99, v99, 23, 0x37800000
	v_lshlrev_b32_e32 v101, 21, v101
	s_delay_alu instid0(VALU_DEP_1)
	v_or3_b32 v99, v100, v99, v101
.LBB2_1413:                             ;   in Loop: Header=BB2_1329 Depth=2
	s_or_b32 exec_lo, exec_lo, s23
	v_lshrrev_b16 v100, 8, v11
	s_mov_b32 s10, 0
	s_mov_b32 s24, exec_lo
                                        ; implicit-def: $sgpr23
	s_delay_alu instid0(VALU_DEP_1)
	v_cmpx_lt_i16_e32 0x7f, v100
	s_xor_b32 s24, exec_lo, s24
	s_cbranch_execnz .LBB2_1627
; %bb.1414:                             ;   in Loop: Header=BB2_1329 Depth=2
	s_or_saveexec_b32 s24, s24
	v_mov_b32_e32 v101, s23
	s_xor_b32 exec_lo, exec_lo, s24
	s_cbranch_execnz .LBB2_1630
.LBB2_1415:                             ;   in Loop: Header=BB2_1329 Depth=2
	s_or_b32 exec_lo, exec_lo, s24
	s_and_saveexec_b32 s23, s10
	s_cbranch_execz .LBB2_1417
.LBB2_1416:                             ;   in Loop: Header=BB2_1329 Depth=2
	v_and_b32_e32 v101, 0xffff, v100
	v_lshlrev_b32_e32 v100, 24, v100
	s_delay_alu instid0(VALU_DEP_2) | instskip(NEXT) | instid1(VALU_DEP_2)
	v_and_b32_e32 v102, 3, v101
	v_and_b32_e32 v100, 0x80000000, v100
	s_delay_alu instid0(VALU_DEP_2) | instskip(NEXT) | instid1(VALU_DEP_1)
	v_clz_i32_u32_e32 v103, v102
	v_min_u32_e32 v103, 32, v103
	s_delay_alu instid0(VALU_DEP_1) | instskip(SKIP_1) | instid1(VALU_DEP_2)
	v_subrev_nc_u32_e32 v112, 29, v103
	v_sub_nc_u32_e32 v103, 30, v103
	v_lshlrev_b32_e32 v112, v112, v101
	v_bfe_u32 v101, v101, 2, 5
	s_delay_alu instid0(VALU_DEP_2) | instskip(NEXT) | instid1(VALU_DEP_2)
	v_and_b32_e32 v112, 3, v112
	v_cmp_eq_u32_e64 s7, 0, v101
	s_delay_alu instid0(VALU_DEP_1) | instskip(NEXT) | instid1(VALU_DEP_3)
	v_cndmask_b32_e64 v101, v101, v103, s7
	v_cndmask_b32_e64 v102, v102, v112, s7
	s_delay_alu instid0(VALU_DEP_2) | instskip(NEXT) | instid1(VALU_DEP_2)
	v_lshl_add_u32 v101, v101, 23, 0x37800000
	v_lshlrev_b32_e32 v102, 21, v102
	s_delay_alu instid0(VALU_DEP_1)
	v_or3_b32 v101, v100, v101, v102
.LBB2_1417:                             ;   in Loop: Header=BB2_1329 Depth=2
	s_or_b32 exec_lo, exec_lo, s23
	s_delay_alu instid0(VALU_DEP_1) | instskip(NEXT) | instid1(VALU_DEP_1)
	v_mul_f32_e32 v100, v99, v101
	v_and_b32_e32 v99, 0x7f800000, v100
	s_delay_alu instid0(VALU_DEP_1) | instskip(SKIP_1) | instid1(VALU_DEP_2)
	v_cmp_ne_u32_e64 s7, 0x7f800000, v99
	v_mov_b32_e32 v99, 0x8000
	s_and_saveexec_b32 s23, s7
	s_cbranch_execz .LBB2_1425
; %bb.1418:                             ;   in Loop: Header=BB2_1329 Depth=2
	v_mov_b32_e32 v99, 0
	s_mov_b32 s24, exec_lo
	v_cmpx_ne_u32_e32 0, v100
	s_cbranch_execz .LBB2_1424
; %bb.1419:                             ;   in Loop: Header=BB2_1329 Depth=2
	v_bfe_u32 v99, v100, 23, 8
	v_and_b32_e32 v101, 0x7fffff, v100
	s_delay_alu instid0(VALU_DEP_2) | instskip(SKIP_1) | instid1(VALU_DEP_3)
	v_sub_nc_u32_e32 v102, 0x70, v99
	v_cmp_gt_u32_e64 s7, 0x71, v99
	v_or_b32_e32 v103, 0x800000, v101
	s_delay_alu instid0(VALU_DEP_2) | instskip(SKIP_2) | instid1(VALU_DEP_2)
	v_cndmask_b32_e64 v102, 0, v102, s7
	v_cmp_eq_u32_e64 s7, 0, v99
	v_add_nc_u32_e32 v99, 0xffffff91, v99
	v_cndmask_b32_e64 v102, v102, 0x6f, s7
	v_cndmask_b32_e64 v101, v103, v101, s7
	s_delay_alu instid0(VALU_DEP_3) | instskip(NEXT) | instid1(VALU_DEP_3)
	v_cndmask_b32_e64 v99, v99, 0xffffff92, s7
	v_lshl_add_u32 v103, 0x200000, v102, -1
	s_delay_alu instid0(VALU_DEP_3) | instskip(SKIP_1) | instid1(VALU_DEP_4)
	v_lshrrev_b32_e32 v112, v102, v101
	v_lshlrev_b32_e64 v114, v102, 0x100000
	v_add_nc_u32_e32 v102, v102, v99
	s_delay_alu instid0(VALU_DEP_4) | instskip(NEXT) | instid1(VALU_DEP_4)
	v_and_b32_e32 v101, v103, v101
	v_bfe_u32 v113, v112, 21, 1
	s_delay_alu instid0(VALU_DEP_2) | instskip(NEXT) | instid1(VALU_DEP_2)
	v_cmp_eq_u32_e64 s10, v101, v114
	v_add_nc_u32_e32 v103, -1, v113
	s_delay_alu instid0(VALU_DEP_1) | instskip(SKIP_2) | instid1(VALU_DEP_2)
	v_cndmask_b32_e64 v101, 0, v103, s10
	v_lshrrev_b32_e32 v103, 23, v112
	s_mov_b32 s10, exec_lo
	v_add_nc_u32_e32 v101, v101, v112
	s_delay_alu instid0(VALU_DEP_2) | instskip(NEXT) | instid1(VALU_DEP_2)
	v_xor_b32_e32 v103, 1, v103
	v_and_b32_e32 v99, 0x1fffff, v101
	s_delay_alu instid0(VALU_DEP_1) | instskip(NEXT) | instid1(VALU_DEP_3)
	v_add_nc_u32_e32 v101, v99, v112
                                        ; implicit-def: $vgpr99
	v_cmpx_ne_u32_e64 v102, v103
	s_xor_b32 s10, exec_lo, s10
; %bb.1420:                             ;   in Loop: Header=BB2_1329 Depth=2
	s_delay_alu instid0(VALU_DEP_2) | instskip(SKIP_1) | instid1(VALU_DEP_2)
	v_cmp_lt_u32_e64 s7, 0xffffff, v101
	v_sub_nc_u32_e32 v99, v102, v103
	v_cndmask_b32_e64 v102, 0, 1, s7
	s_delay_alu instid0(VALU_DEP_2) | instskip(NEXT) | instid1(VALU_DEP_2)
	v_add_co_ci_u32_e64 v99, s7, 0, v99, s7
	v_lshrrev_b32_e32 v101, v102, v101
; %bb.1421:                             ;   in Loop: Header=BB2_1329 Depth=2
	s_and_not1_saveexec_b32 s7, s10
; %bb.1422:                             ;   in Loop: Header=BB2_1329 Depth=2
	s_delay_alu instid0(VALU_DEP_1)
	v_bfe_u32 v99, v101, 23, 1
; %bb.1423:                             ;   in Loop: Header=BB2_1329 Depth=2
	s_or_b32 exec_lo, exec_lo, s7
	v_lshrrev_b32_e32 v101, 21, v101
	s_delay_alu instid0(VALU_DEP_2) | instskip(SKIP_2) | instid1(VALU_DEP_3)
	v_min_i32_e32 v102, 31, v99
	v_cmp_gt_i32_e64 s7, 32, v99
	v_lshrrev_b32_e32 v100, 24, v100
	v_lshlrev_b32_e32 v102, 2, v102
	s_delay_alu instid0(VALU_DEP_3) | instskip(NEXT) | instid1(VALU_DEP_3)
	v_cndmask_b32_e64 v101, 3, v101, s7
	v_and_b32_e32 v100, 0x80, v100
	s_delay_alu instid0(VALU_DEP_3) | instskip(NEXT) | instid1(VALU_DEP_3)
	v_and_b32_e32 v102, 0xfc, v102
	v_and_b32_e32 v103, 3, v101
	v_or_b32_e32 v99, v99, v101
	s_delay_alu instid0(VALU_DEP_2) | instskip(NEXT) | instid1(VALU_DEP_2)
	v_or3_b32 v100, v100, v102, v103
	v_cmp_ne_u32_e64 s7, 0, v99
	s_delay_alu instid0(VALU_DEP_2) | instskip(NEXT) | instid1(VALU_DEP_1)
	v_lshlrev_b32_e32 v100, 8, v100
	v_cndmask_b32_e64 v99, 0, v100, s7
.LBB2_1424:                             ;   in Loop: Header=BB2_1329 Depth=2
	s_or_b32 exec_lo, exec_lo, s24
.LBB2_1425:                             ;   in Loop: Header=BB2_1329 Depth=2
	s_delay_alu instid0(SALU_CYCLE_1) | instskip(SKIP_3) | instid1(VALU_DEP_1)
	s_or_b32 exec_lo, exec_lo, s23
	v_lshrrev_b32_e32 v101, 16, v15
	s_mov_b32 s10, 0
	s_mov_b32 s24, exec_lo
                                        ; implicit-def: $sgpr23
	v_and_b32_e32 v102, 0xff, v101
	s_delay_alu instid0(VALU_DEP_1)
	v_cmpx_lt_i16_e32 0x7f, v102
	s_xor_b32 s24, exec_lo, s24
	s_cbranch_execnz .LBB2_1631
; %bb.1426:                             ;   in Loop: Header=BB2_1329 Depth=2
	s_or_saveexec_b32 s24, s24
	v_mov_b32_e32 v100, s23
	s_xor_b32 exec_lo, exec_lo, s24
	s_cbranch_execnz .LBB2_1634
.LBB2_1427:                             ;   in Loop: Header=BB2_1329 Depth=2
	s_or_b32 exec_lo, exec_lo, s24
	s_and_saveexec_b32 s23, s10
	s_cbranch_execz .LBB2_1429
.LBB2_1428:                             ;   in Loop: Header=BB2_1329 Depth=2
	v_bfe_u32 v100, v15, 16, 2
	v_lshlrev_b32_e32 v112, 8, v15
	s_delay_alu instid0(VALU_DEP_2) | instskip(NEXT) | instid1(VALU_DEP_1)
	v_clz_i32_u32_e32 v102, v100
	v_min_u32_e32 v102, 32, v102
	s_delay_alu instid0(VALU_DEP_1) | instskip(SKIP_1) | instid1(VALU_DEP_2)
	v_subrev_nc_u32_e32 v103, 29, v102
	v_sub_nc_u32_e32 v102, 30, v102
	v_lshlrev_b32_e32 v101, v103, v101
	v_bfe_u32 v103, v15, 18, 5
	s_delay_alu instid0(VALU_DEP_2) | instskip(NEXT) | instid1(VALU_DEP_2)
	v_and_b32_e32 v101, 3, v101
	v_cmp_eq_u32_e64 s7, 0, v103
	s_delay_alu instid0(VALU_DEP_1) | instskip(NEXT) | instid1(VALU_DEP_3)
	v_cndmask_b32_e64 v102, v103, v102, s7
	v_cndmask_b32_e64 v100, v100, v101, s7
	v_and_b32_e32 v101, 0x80000000, v112
	s_delay_alu instid0(VALU_DEP_3) | instskip(NEXT) | instid1(VALU_DEP_3)
	v_lshl_add_u32 v102, v102, 23, 0x37800000
	v_lshlrev_b32_e32 v100, 21, v100
	s_delay_alu instid0(VALU_DEP_1)
	v_or3_b32 v100, v101, v102, v100
.LBB2_1429:                             ;   in Loop: Header=BB2_1329 Depth=2
	s_or_b32 exec_lo, exec_lo, s23
	v_lshrrev_b32_e32 v101, 16, v11
	s_mov_b32 s10, 0
	s_mov_b32 s24, exec_lo
                                        ; implicit-def: $sgpr23
	s_delay_alu instid0(VALU_DEP_1) | instskip(NEXT) | instid1(VALU_DEP_1)
	v_and_b32_e32 v103, 0xff, v101
	v_cmpx_lt_i16_e32 0x7f, v103
	s_xor_b32 s24, exec_lo, s24
	s_cbranch_execnz .LBB2_1635
; %bb.1430:                             ;   in Loop: Header=BB2_1329 Depth=2
	s_or_saveexec_b32 s24, s24
	v_mov_b32_e32 v102, s23
	s_xor_b32 exec_lo, exec_lo, s24
	s_cbranch_execnz .LBB2_1638
.LBB2_1431:                             ;   in Loop: Header=BB2_1329 Depth=2
	s_or_b32 exec_lo, exec_lo, s24
	s_and_saveexec_b32 s23, s10
	s_cbranch_execz .LBB2_1433
.LBB2_1432:                             ;   in Loop: Header=BB2_1329 Depth=2
	v_bfe_u32 v102, v11, 16, 2
	v_lshlrev_b32_e32 v113, 8, v11
	s_delay_alu instid0(VALU_DEP_2) | instskip(NEXT) | instid1(VALU_DEP_1)
	v_clz_i32_u32_e32 v103, v102
	v_min_u32_e32 v103, 32, v103
	s_delay_alu instid0(VALU_DEP_1) | instskip(SKIP_1) | instid1(VALU_DEP_2)
	v_subrev_nc_u32_e32 v112, 29, v103
	v_sub_nc_u32_e32 v103, 30, v103
	v_lshlrev_b32_e32 v101, v112, v101
	v_bfe_u32 v112, v11, 18, 5
	s_delay_alu instid0(VALU_DEP_2) | instskip(NEXT) | instid1(VALU_DEP_2)
	v_and_b32_e32 v101, 3, v101
	v_cmp_eq_u32_e64 s7, 0, v112
	s_delay_alu instid0(VALU_DEP_1) | instskip(NEXT) | instid1(VALU_DEP_3)
	v_cndmask_b32_e64 v103, v112, v103, s7
	v_cndmask_b32_e64 v101, v102, v101, s7
	v_and_b32_e32 v102, 0x80000000, v113
	s_delay_alu instid0(VALU_DEP_3) | instskip(NEXT) | instid1(VALU_DEP_3)
	v_lshl_add_u32 v103, v103, 23, 0x37800000
	v_lshlrev_b32_e32 v101, 21, v101
	s_delay_alu instid0(VALU_DEP_1)
	v_or3_b32 v102, v102, v103, v101
.LBB2_1433:                             ;   in Loop: Header=BB2_1329 Depth=2
	s_or_b32 exec_lo, exec_lo, s23
	s_delay_alu instid0(VALU_DEP_1) | instskip(NEXT) | instid1(VALU_DEP_1)
	v_mul_f32_e32 v101, v100, v102
	v_and_b32_e32 v100, 0x7f800000, v101
	s_delay_alu instid0(VALU_DEP_1) | instskip(SKIP_1) | instid1(VALU_DEP_2)
	v_cmp_ne_u32_e64 s7, 0x7f800000, v100
	v_mov_b32_e32 v100, 0x80
	s_and_saveexec_b32 s23, s7
	s_cbranch_execz .LBB2_1441
; %bb.1434:                             ;   in Loop: Header=BB2_1329 Depth=2
	v_mov_b32_e32 v100, 0
	s_mov_b32 s24, exec_lo
	v_cmpx_ne_u32_e32 0, v101
	s_cbranch_execz .LBB2_1440
; %bb.1435:                             ;   in Loop: Header=BB2_1329 Depth=2
	v_bfe_u32 v100, v101, 23, 8
	v_and_b32_e32 v102, 0x7fffff, v101
	s_delay_alu instid0(VALU_DEP_2) | instskip(SKIP_1) | instid1(VALU_DEP_3)
	v_sub_nc_u32_e32 v103, 0x70, v100
	v_cmp_gt_u32_e64 s7, 0x71, v100
	v_or_b32_e32 v112, 0x800000, v102
	s_delay_alu instid0(VALU_DEP_2) | instskip(SKIP_2) | instid1(VALU_DEP_2)
	v_cndmask_b32_e64 v103, 0, v103, s7
	v_cmp_eq_u32_e64 s7, 0, v100
	v_add_nc_u32_e32 v100, 0xffffff91, v100
	v_cndmask_b32_e64 v103, v103, 0x6f, s7
	v_cndmask_b32_e64 v102, v112, v102, s7
	s_delay_alu instid0(VALU_DEP_3) | instskip(NEXT) | instid1(VALU_DEP_3)
	v_cndmask_b32_e64 v100, v100, 0xffffff92, s7
	v_lshl_add_u32 v112, 0x200000, v103, -1
	s_delay_alu instid0(VALU_DEP_3) | instskip(SKIP_1) | instid1(VALU_DEP_4)
	v_lshrrev_b32_e32 v113, v103, v102
	v_lshlrev_b32_e64 v115, v103, 0x100000
	v_add_nc_u32_e32 v103, v103, v100
	s_delay_alu instid0(VALU_DEP_4) | instskip(NEXT) | instid1(VALU_DEP_4)
	v_and_b32_e32 v102, v112, v102
	v_bfe_u32 v114, v113, 21, 1
	s_delay_alu instid0(VALU_DEP_2) | instskip(NEXT) | instid1(VALU_DEP_2)
	v_cmp_eq_u32_e64 s10, v102, v115
	v_add_nc_u32_e32 v112, -1, v114
	s_delay_alu instid0(VALU_DEP_1) | instskip(SKIP_2) | instid1(VALU_DEP_2)
	v_cndmask_b32_e64 v102, 0, v112, s10
	v_lshrrev_b32_e32 v112, 23, v113
	s_mov_b32 s10, exec_lo
	v_add_nc_u32_e32 v102, v102, v113
	s_delay_alu instid0(VALU_DEP_2) | instskip(NEXT) | instid1(VALU_DEP_2)
	v_xor_b32_e32 v112, 1, v112
	v_and_b32_e32 v100, 0x1fffff, v102
	s_delay_alu instid0(VALU_DEP_1) | instskip(NEXT) | instid1(VALU_DEP_3)
	v_add_nc_u32_e32 v102, v100, v113
                                        ; implicit-def: $vgpr100
	v_cmpx_ne_u32_e64 v103, v112
	s_xor_b32 s10, exec_lo, s10
; %bb.1436:                             ;   in Loop: Header=BB2_1329 Depth=2
	s_delay_alu instid0(VALU_DEP_2) | instskip(SKIP_1) | instid1(VALU_DEP_2)
	v_cmp_lt_u32_e64 s7, 0xffffff, v102
	v_sub_nc_u32_e32 v100, v103, v112
	v_cndmask_b32_e64 v103, 0, 1, s7
	s_delay_alu instid0(VALU_DEP_2) | instskip(NEXT) | instid1(VALU_DEP_2)
	v_add_co_ci_u32_e64 v100, s7, 0, v100, s7
	v_lshrrev_b32_e32 v102, v103, v102
; %bb.1437:                             ;   in Loop: Header=BB2_1329 Depth=2
	s_and_not1_saveexec_b32 s7, s10
; %bb.1438:                             ;   in Loop: Header=BB2_1329 Depth=2
	s_delay_alu instid0(VALU_DEP_1)
	v_bfe_u32 v100, v102, 23, 1
; %bb.1439:                             ;   in Loop: Header=BB2_1329 Depth=2
	s_or_b32 exec_lo, exec_lo, s7
	v_lshrrev_b32_e32 v102, 21, v102
	s_delay_alu instid0(VALU_DEP_2) | instskip(SKIP_2) | instid1(VALU_DEP_3)
	v_min_i32_e32 v103, 31, v100
	v_cmp_gt_i32_e64 s7, 32, v100
	v_lshrrev_b32_e32 v101, 24, v101
	v_lshlrev_b32_e32 v103, 2, v103
	s_delay_alu instid0(VALU_DEP_3) | instskip(NEXT) | instid1(VALU_DEP_3)
	v_cndmask_b32_e64 v102, 3, v102, s7
	v_and_b32_e32 v101, 0x80, v101
	s_delay_alu instid0(VALU_DEP_3) | instskip(NEXT) | instid1(VALU_DEP_3)
	v_and_b32_e32 v103, 0xfc, v103
	v_and_b32_e32 v112, 3, v102
	v_or_b32_e32 v100, v100, v102
	s_delay_alu instid0(VALU_DEP_2) | instskip(NEXT) | instid1(VALU_DEP_2)
	v_or3_b32 v101, v103, v101, v112
	v_cmp_ne_u32_e64 s7, 0, v100
	s_delay_alu instid0(VALU_DEP_1)
	v_cndmask_b32_e64 v100, 0, v101, s7
.LBB2_1440:                             ;   in Loop: Header=BB2_1329 Depth=2
	s_or_b32 exec_lo, exec_lo, s24
.LBB2_1441:                             ;   in Loop: Header=BB2_1329 Depth=2
	s_delay_alu instid0(SALU_CYCLE_1) | instskip(SKIP_3) | instid1(VALU_DEP_1)
	s_or_b32 exec_lo, exec_lo, s23
	v_lshrrev_b32_e32 v102, 24, v15
	s_mov_b32 s10, 0
	s_mov_b32 s24, exec_lo
                                        ; implicit-def: $sgpr23
	v_cmpx_lt_i16_e32 0x7f, v102
	s_xor_b32 s24, exec_lo, s24
	s_cbranch_execnz .LBB2_1639
; %bb.1442:                             ;   in Loop: Header=BB2_1329 Depth=2
	s_or_saveexec_b32 s24, s24
	v_mov_b32_e32 v101, s23
	s_xor_b32 exec_lo, exec_lo, s24
	s_cbranch_execnz .LBB2_1642
.LBB2_1443:                             ;   in Loop: Header=BB2_1329 Depth=2
	s_or_b32 exec_lo, exec_lo, s24
	s_and_saveexec_b32 s23, s10
	s_cbranch_execz .LBB2_1445
.LBB2_1444:                             ;   in Loop: Header=BB2_1329 Depth=2
	v_bfe_u32 v101, v15, 24, 2
	s_delay_alu instid0(VALU_DEP_1) | instskip(NEXT) | instid1(VALU_DEP_1)
	v_clz_i32_u32_e32 v103, v101
	v_min_u32_e32 v103, 32, v103
	s_delay_alu instid0(VALU_DEP_1) | instskip(SKIP_1) | instid1(VALU_DEP_2)
	v_subrev_nc_u32_e32 v112, 29, v103
	v_sub_nc_u32_e32 v103, 30, v103
	v_lshlrev_b32_e32 v102, v112, v102
	v_bfe_u32 v112, v15, 26, 5
	v_and_b32_e32 v15, 0x80000000, v15
	s_delay_alu instid0(VALU_DEP_3) | instskip(NEXT) | instid1(VALU_DEP_3)
	v_and_b32_e32 v102, 3, v102
	v_cmp_eq_u32_e64 s7, 0, v112
	s_delay_alu instid0(VALU_DEP_1) | instskip(NEXT) | instid1(VALU_DEP_3)
	v_cndmask_b32_e64 v103, v112, v103, s7
	v_cndmask_b32_e64 v101, v101, v102, s7
	s_delay_alu instid0(VALU_DEP_2) | instskip(NEXT) | instid1(VALU_DEP_2)
	v_lshl_add_u32 v102, v103, 23, 0x37800000
	v_lshlrev_b32_e32 v101, 21, v101
	s_delay_alu instid0(VALU_DEP_1)
	v_or3_b32 v101, v15, v102, v101
.LBB2_1445:                             ;   in Loop: Header=BB2_1329 Depth=2
	s_or_b32 exec_lo, exec_lo, s23
	v_lshrrev_b32_e32 v15, 24, v11
	s_mov_b32 s10, 0
	s_mov_b32 s24, exec_lo
                                        ; implicit-def: $sgpr23
	s_delay_alu instid0(VALU_DEP_1)
	v_cmpx_lt_i16_e32 0x7f, v15
	s_xor_b32 s24, exec_lo, s24
	s_cbranch_execnz .LBB2_1643
; %bb.1446:                             ;   in Loop: Header=BB2_1329 Depth=2
	s_or_saveexec_b32 s24, s24
	v_mov_b32_e32 v102, s23
	s_xor_b32 exec_lo, exec_lo, s24
	s_cbranch_execnz .LBB2_1646
.LBB2_1447:                             ;   in Loop: Header=BB2_1329 Depth=2
	s_or_b32 exec_lo, exec_lo, s24
	s_and_saveexec_b32 s23, s10
	s_cbranch_execz .LBB2_1449
.LBB2_1448:                             ;   in Loop: Header=BB2_1329 Depth=2
	v_bfe_u32 v102, v11, 24, 2
	s_delay_alu instid0(VALU_DEP_1) | instskip(NEXT) | instid1(VALU_DEP_1)
	v_clz_i32_u32_e32 v103, v102
	v_min_u32_e32 v103, 32, v103
	s_delay_alu instid0(VALU_DEP_1) | instskip(SKIP_1) | instid1(VALU_DEP_2)
	v_subrev_nc_u32_e32 v112, 29, v103
	v_sub_nc_u32_e32 v103, 30, v103
	v_lshlrev_b32_e32 v15, v112, v15
	v_bfe_u32 v112, v11, 26, 5
	v_and_b32_e32 v11, 0x80000000, v11
	s_delay_alu instid0(VALU_DEP_3) | instskip(NEXT) | instid1(VALU_DEP_3)
	v_and_b32_e32 v15, 3, v15
	v_cmp_eq_u32_e64 s7, 0, v112
	s_delay_alu instid0(VALU_DEP_1) | instskip(NEXT) | instid1(VALU_DEP_3)
	v_cndmask_b32_e64 v103, v112, v103, s7
	v_cndmask_b32_e64 v15, v102, v15, s7
	s_delay_alu instid0(VALU_DEP_2) | instskip(NEXT) | instid1(VALU_DEP_2)
	v_lshl_add_u32 v102, v103, 23, 0x37800000
	v_lshlrev_b32_e32 v15, 21, v15
	s_delay_alu instid0(VALU_DEP_1)
	v_or3_b32 v102, v11, v102, v15
.LBB2_1449:                             ;   in Loop: Header=BB2_1329 Depth=2
	s_or_b32 exec_lo, exec_lo, s23
	s_delay_alu instid0(VALU_DEP_1) | instskip(NEXT) | instid1(VALU_DEP_1)
	v_mul_f32_e32 v15, v101, v102
	v_and_b32_e32 v11, 0x7f800000, v15
	s_delay_alu instid0(VALU_DEP_1) | instskip(SKIP_1) | instid1(VALU_DEP_2)
	v_cmp_ne_u32_e64 s7, 0x7f800000, v11
	v_mov_b32_e32 v11, 0x8000
	s_and_saveexec_b32 s23, s7
	s_cbranch_execz .LBB2_1457
; %bb.1450:                             ;   in Loop: Header=BB2_1329 Depth=2
	v_mov_b32_e32 v11, 0
	s_mov_b32 s24, exec_lo
	v_cmpx_ne_u32_e32 0, v15
	s_cbranch_execz .LBB2_1456
; %bb.1451:                             ;   in Loop: Header=BB2_1329 Depth=2
	v_bfe_u32 v11, v15, 23, 8
	v_and_b32_e32 v101, 0x7fffff, v15
	s_delay_alu instid0(VALU_DEP_2) | instskip(SKIP_1) | instid1(VALU_DEP_3)
	v_sub_nc_u32_e32 v102, 0x70, v11
	v_cmp_gt_u32_e64 s7, 0x71, v11
	v_or_b32_e32 v103, 0x800000, v101
	s_delay_alu instid0(VALU_DEP_2) | instskip(SKIP_2) | instid1(VALU_DEP_2)
	v_cndmask_b32_e64 v102, 0, v102, s7
	v_cmp_eq_u32_e64 s7, 0, v11
	v_add_nc_u32_e32 v11, 0xffffff91, v11
	v_cndmask_b32_e64 v102, v102, 0x6f, s7
	v_cndmask_b32_e64 v101, v103, v101, s7
	s_delay_alu instid0(VALU_DEP_3) | instskip(NEXT) | instid1(VALU_DEP_3)
	v_cndmask_b32_e64 v11, v11, 0xffffff92, s7
	v_lshl_add_u32 v103, 0x200000, v102, -1
	s_delay_alu instid0(VALU_DEP_3) | instskip(SKIP_1) | instid1(VALU_DEP_4)
	v_lshrrev_b32_e32 v112, v102, v101
	v_lshlrev_b32_e64 v114, v102, 0x100000
	v_add_nc_u32_e32 v102, v102, v11
	s_delay_alu instid0(VALU_DEP_4) | instskip(NEXT) | instid1(VALU_DEP_4)
	v_and_b32_e32 v101, v103, v101
	v_bfe_u32 v113, v112, 21, 1
	s_delay_alu instid0(VALU_DEP_2) | instskip(NEXT) | instid1(VALU_DEP_2)
	v_cmp_eq_u32_e64 s10, v101, v114
	v_add_nc_u32_e32 v103, -1, v113
	s_delay_alu instid0(VALU_DEP_1) | instskip(SKIP_2) | instid1(VALU_DEP_2)
	v_cndmask_b32_e64 v101, 0, v103, s10
	v_lshrrev_b32_e32 v103, 23, v112
	s_mov_b32 s10, exec_lo
	v_add_nc_u32_e32 v101, v101, v112
	s_delay_alu instid0(VALU_DEP_2) | instskip(NEXT) | instid1(VALU_DEP_2)
	v_xor_b32_e32 v103, 1, v103
	v_and_b32_e32 v11, 0x1fffff, v101
	s_delay_alu instid0(VALU_DEP_1) | instskip(NEXT) | instid1(VALU_DEP_3)
	v_add_nc_u32_e32 v101, v11, v112
                                        ; implicit-def: $vgpr11
	v_cmpx_ne_u32_e64 v102, v103
	s_xor_b32 s10, exec_lo, s10
; %bb.1452:                             ;   in Loop: Header=BB2_1329 Depth=2
	s_delay_alu instid0(VALU_DEP_2) | instskip(SKIP_1) | instid1(VALU_DEP_2)
	v_cmp_lt_u32_e64 s7, 0xffffff, v101
	v_sub_nc_u32_e32 v11, v102, v103
	v_cndmask_b32_e64 v102, 0, 1, s7
	s_delay_alu instid0(VALU_DEP_2) | instskip(NEXT) | instid1(VALU_DEP_2)
	v_add_co_ci_u32_e64 v11, s7, 0, v11, s7
	v_lshrrev_b32_e32 v101, v102, v101
; %bb.1453:                             ;   in Loop: Header=BB2_1329 Depth=2
	s_and_not1_saveexec_b32 s7, s10
; %bb.1454:                             ;   in Loop: Header=BB2_1329 Depth=2
	s_delay_alu instid0(VALU_DEP_1)
	v_bfe_u32 v11, v101, 23, 1
; %bb.1455:                             ;   in Loop: Header=BB2_1329 Depth=2
	s_or_b32 exec_lo, exec_lo, s7
	v_lshrrev_b32_e32 v101, 21, v101
	s_delay_alu instid0(VALU_DEP_2) | instskip(SKIP_2) | instid1(VALU_DEP_3)
	v_min_i32_e32 v102, 31, v11
	v_cmp_gt_i32_e64 s7, 32, v11
	v_lshrrev_b32_e32 v15, 24, v15
	v_lshlrev_b32_e32 v102, 2, v102
	s_delay_alu instid0(VALU_DEP_3) | instskip(NEXT) | instid1(VALU_DEP_3)
	v_cndmask_b32_e64 v101, 3, v101, s7
	v_and_b32_e32 v15, 0x80, v15
	s_delay_alu instid0(VALU_DEP_3) | instskip(NEXT) | instid1(VALU_DEP_3)
	v_and_b32_e32 v102, 0xfc, v102
	v_and_b32_e32 v103, 3, v101
	v_or_b32_e32 v11, v11, v101
	s_delay_alu instid0(VALU_DEP_2) | instskip(NEXT) | instid1(VALU_DEP_2)
	v_or3_b32 v15, v15, v102, v103
	v_cmp_ne_u32_e64 s7, 0, v11
	s_delay_alu instid0(VALU_DEP_2) | instskip(NEXT) | instid1(VALU_DEP_1)
	v_lshlrev_b32_e32 v15, 8, v15
	v_cndmask_b32_e64 v11, 0, v15, s7
.LBB2_1456:                             ;   in Loop: Header=BB2_1329 Depth=2
	s_or_b32 exec_lo, exec_lo, s24
.LBB2_1457:                             ;   in Loop: Header=BB2_1329 Depth=2
	s_delay_alu instid0(SALU_CYCLE_1) | instskip(SKIP_3) | instid1(VALU_DEP_1)
	s_or_b32 exec_lo, exec_lo, s23
	v_and_b32_e32 v101, 0xff, v16
	s_mov_b32 s10, 0
	s_mov_b32 s24, exec_lo
                                        ; implicit-def: $sgpr23
	v_cmpx_lt_i16_e32 0x7f, v101
	s_xor_b32 s24, exec_lo, s24
	s_cbranch_execnz .LBB2_1647
; %bb.1458:                             ;   in Loop: Header=BB2_1329 Depth=2
	s_or_saveexec_b32 s24, s24
	v_mov_b32_e32 v15, s23
	s_xor_b32 exec_lo, exec_lo, s24
	s_cbranch_execnz .LBB2_1650
.LBB2_1459:                             ;   in Loop: Header=BB2_1329 Depth=2
	s_or_b32 exec_lo, exec_lo, s24
	s_and_saveexec_b32 s23, s10
	s_cbranch_execz .LBB2_1461
.LBB2_1460:                             ;   in Loop: Header=BB2_1329 Depth=2
	v_and_b32_e32 v15, 3, v16
	v_bfe_u32 v103, v16, 2, 5
	v_lshlrev_b32_e32 v112, 24, v16
	s_delay_alu instid0(VALU_DEP_3) | instskip(NEXT) | instid1(VALU_DEP_3)
	v_clz_i32_u32_e32 v101, v15
	v_cmp_eq_u32_e64 s7, 0, v103
	s_delay_alu instid0(VALU_DEP_2) | instskip(NEXT) | instid1(VALU_DEP_1)
	v_min_u32_e32 v101, 32, v101
	v_subrev_nc_u32_e32 v102, 29, v101
	v_sub_nc_u32_e32 v101, 30, v101
	s_delay_alu instid0(VALU_DEP_2) | instskip(NEXT) | instid1(VALU_DEP_2)
	v_lshlrev_b32_e32 v102, v102, v16
	v_cndmask_b32_e64 v101, v103, v101, s7
	s_delay_alu instid0(VALU_DEP_2) | instskip(NEXT) | instid1(VALU_DEP_2)
	v_and_b32_e32 v102, 3, v102
	v_lshl_add_u32 v101, v101, 23, 0x37800000
	s_delay_alu instid0(VALU_DEP_2) | instskip(SKIP_1) | instid1(VALU_DEP_2)
	v_cndmask_b32_e64 v15, v15, v102, s7
	v_and_b32_e32 v102, 0x80000000, v112
	v_lshlrev_b32_e32 v15, 21, v15
	s_delay_alu instid0(VALU_DEP_1)
	v_or3_b32 v15, v102, v101, v15
.LBB2_1461:                             ;   in Loop: Header=BB2_1329 Depth=2
	s_or_b32 exec_lo, exec_lo, s23
	v_and_b32_e32 v102, 0xff, v12
	s_mov_b32 s10, 0
	s_mov_b32 s24, exec_lo
                                        ; implicit-def: $sgpr23
	s_delay_alu instid0(VALU_DEP_1)
	v_cmpx_lt_i16_e32 0x7f, v102
	s_xor_b32 s24, exec_lo, s24
	s_cbranch_execnz .LBB2_1651
; %bb.1462:                             ;   in Loop: Header=BB2_1329 Depth=2
	s_or_saveexec_b32 s24, s24
	v_mov_b32_e32 v101, s23
	s_xor_b32 exec_lo, exec_lo, s24
	s_cbranch_execnz .LBB2_1654
.LBB2_1463:                             ;   in Loop: Header=BB2_1329 Depth=2
	s_or_b32 exec_lo, exec_lo, s24
	s_and_saveexec_b32 s23, s10
	s_cbranch_execz .LBB2_1465
.LBB2_1464:                             ;   in Loop: Header=BB2_1329 Depth=2
	v_and_b32_e32 v101, 3, v12
	v_bfe_u32 v112, v12, 2, 5
	v_lshlrev_b32_e32 v113, 24, v12
	s_delay_alu instid0(VALU_DEP_3) | instskip(NEXT) | instid1(VALU_DEP_3)
	v_clz_i32_u32_e32 v102, v101
	v_cmp_eq_u32_e64 s7, 0, v112
	s_delay_alu instid0(VALU_DEP_2) | instskip(NEXT) | instid1(VALU_DEP_1)
	v_min_u32_e32 v102, 32, v102
	v_subrev_nc_u32_e32 v103, 29, v102
	v_sub_nc_u32_e32 v102, 30, v102
	s_delay_alu instid0(VALU_DEP_2) | instskip(NEXT) | instid1(VALU_DEP_2)
	v_lshlrev_b32_e32 v103, v103, v12
	v_cndmask_b32_e64 v102, v112, v102, s7
	s_delay_alu instid0(VALU_DEP_2) | instskip(NEXT) | instid1(VALU_DEP_2)
	v_and_b32_e32 v103, 3, v103
	v_lshl_add_u32 v102, v102, 23, 0x37800000
	s_delay_alu instid0(VALU_DEP_2) | instskip(SKIP_1) | instid1(VALU_DEP_2)
	v_cndmask_b32_e64 v101, v101, v103, s7
	v_and_b32_e32 v103, 0x80000000, v113
	v_lshlrev_b32_e32 v101, 21, v101
	s_delay_alu instid0(VALU_DEP_1)
	v_or3_b32 v101, v103, v102, v101
.LBB2_1465:                             ;   in Loop: Header=BB2_1329 Depth=2
	s_or_b32 exec_lo, exec_lo, s23
	s_delay_alu instid0(VALU_DEP_1) | instskip(NEXT) | instid1(VALU_DEP_1)
	v_mul_f32_e32 v101, v15, v101
	v_and_b32_e32 v15, 0x7f800000, v101
	s_delay_alu instid0(VALU_DEP_1) | instskip(SKIP_1) | instid1(VALU_DEP_2)
	v_cmp_ne_u32_e64 s7, 0x7f800000, v15
	v_mov_b32_e32 v15, 0x80
	s_and_saveexec_b32 s23, s7
	s_cbranch_execz .LBB2_1473
; %bb.1466:                             ;   in Loop: Header=BB2_1329 Depth=2
	v_mov_b32_e32 v15, 0
	s_mov_b32 s24, exec_lo
	v_cmpx_ne_u32_e32 0, v101
	s_cbranch_execz .LBB2_1472
; %bb.1467:                             ;   in Loop: Header=BB2_1329 Depth=2
	v_bfe_u32 v15, v101, 23, 8
	v_and_b32_e32 v102, 0x7fffff, v101
	s_delay_alu instid0(VALU_DEP_2) | instskip(SKIP_1) | instid1(VALU_DEP_3)
	v_sub_nc_u32_e32 v103, 0x70, v15
	v_cmp_gt_u32_e64 s7, 0x71, v15
	v_or_b32_e32 v112, 0x800000, v102
	s_delay_alu instid0(VALU_DEP_2) | instskip(SKIP_2) | instid1(VALU_DEP_2)
	v_cndmask_b32_e64 v103, 0, v103, s7
	v_cmp_eq_u32_e64 s7, 0, v15
	v_add_nc_u32_e32 v15, 0xffffff91, v15
	v_cndmask_b32_e64 v103, v103, 0x6f, s7
	v_cndmask_b32_e64 v102, v112, v102, s7
	s_delay_alu instid0(VALU_DEP_3) | instskip(NEXT) | instid1(VALU_DEP_3)
	v_cndmask_b32_e64 v15, v15, 0xffffff92, s7
	v_lshl_add_u32 v112, 0x200000, v103, -1
	s_delay_alu instid0(VALU_DEP_3) | instskip(SKIP_1) | instid1(VALU_DEP_4)
	v_lshrrev_b32_e32 v113, v103, v102
	v_lshlrev_b32_e64 v115, v103, 0x100000
	v_add_nc_u32_e32 v103, v103, v15
	s_delay_alu instid0(VALU_DEP_4) | instskip(NEXT) | instid1(VALU_DEP_4)
	v_and_b32_e32 v102, v112, v102
	v_bfe_u32 v114, v113, 21, 1
	s_delay_alu instid0(VALU_DEP_2) | instskip(NEXT) | instid1(VALU_DEP_2)
	v_cmp_eq_u32_e64 s10, v102, v115
	v_add_nc_u32_e32 v112, -1, v114
	s_delay_alu instid0(VALU_DEP_1) | instskip(SKIP_2) | instid1(VALU_DEP_2)
	v_cndmask_b32_e64 v102, 0, v112, s10
	v_lshrrev_b32_e32 v112, 23, v113
	s_mov_b32 s10, exec_lo
	v_add_nc_u32_e32 v102, v102, v113
	s_delay_alu instid0(VALU_DEP_2) | instskip(NEXT) | instid1(VALU_DEP_2)
	v_xor_b32_e32 v112, 1, v112
	v_and_b32_e32 v15, 0x1fffff, v102
	s_delay_alu instid0(VALU_DEP_1) | instskip(NEXT) | instid1(VALU_DEP_3)
	v_add_nc_u32_e32 v102, v15, v113
                                        ; implicit-def: $vgpr15
	v_cmpx_ne_u32_e64 v103, v112
	s_xor_b32 s10, exec_lo, s10
; %bb.1468:                             ;   in Loop: Header=BB2_1329 Depth=2
	s_delay_alu instid0(VALU_DEP_2) | instskip(SKIP_1) | instid1(VALU_DEP_2)
	v_cmp_lt_u32_e64 s7, 0xffffff, v102
	v_sub_nc_u32_e32 v15, v103, v112
	v_cndmask_b32_e64 v103, 0, 1, s7
	s_delay_alu instid0(VALU_DEP_2) | instskip(NEXT) | instid1(VALU_DEP_2)
	v_add_co_ci_u32_e64 v15, s7, 0, v15, s7
	v_lshrrev_b32_e32 v102, v103, v102
; %bb.1469:                             ;   in Loop: Header=BB2_1329 Depth=2
	s_and_not1_saveexec_b32 s7, s10
; %bb.1470:                             ;   in Loop: Header=BB2_1329 Depth=2
	s_delay_alu instid0(VALU_DEP_1)
	v_bfe_u32 v15, v102, 23, 1
; %bb.1471:                             ;   in Loop: Header=BB2_1329 Depth=2
	s_or_b32 exec_lo, exec_lo, s7
	v_lshrrev_b32_e32 v102, 21, v102
	s_delay_alu instid0(VALU_DEP_2) | instskip(SKIP_2) | instid1(VALU_DEP_3)
	v_cmp_gt_i32_e64 s7, 32, v15
	v_lshrrev_b32_e32 v101, 24, v101
	v_min_i32_e32 v103, 31, v15
	v_cndmask_b32_e64 v102, 3, v102, s7
	s_delay_alu instid0(VALU_DEP_3) | instskip(NEXT) | instid1(VALU_DEP_3)
	v_and_b32_e32 v101, 0x80, v101
	v_lshlrev_b32_e32 v103, 2, v103
	s_delay_alu instid0(VALU_DEP_3) | instskip(SKIP_1) | instid1(VALU_DEP_2)
	v_and_b32_e32 v112, 3, v102
	v_or_b32_e32 v15, v15, v102
	v_or3_b32 v101, v103, v101, v112
	s_delay_alu instid0(VALU_DEP_2) | instskip(NEXT) | instid1(VALU_DEP_1)
	v_cmp_ne_u32_e64 s7, 0, v15
	v_cndmask_b32_e64 v15, 0, v101, s7
.LBB2_1472:                             ;   in Loop: Header=BB2_1329 Depth=2
	s_or_b32 exec_lo, exec_lo, s24
.LBB2_1473:                             ;   in Loop: Header=BB2_1329 Depth=2
	s_delay_alu instid0(SALU_CYCLE_1) | instskip(SKIP_3) | instid1(VALU_DEP_1)
	s_or_b32 exec_lo, exec_lo, s23
	v_lshrrev_b16 v102, 8, v16
	s_mov_b32 s10, 0
	s_mov_b32 s24, exec_lo
                                        ; implicit-def: $sgpr23
	v_cmpx_lt_i16_e32 0x7f, v102
	s_xor_b32 s24, exec_lo, s24
	s_cbranch_execnz .LBB2_1655
; %bb.1474:                             ;   in Loop: Header=BB2_1329 Depth=2
	s_or_saveexec_b32 s24, s24
	v_mov_b32_e32 v101, s23
	s_xor_b32 exec_lo, exec_lo, s24
	s_cbranch_execnz .LBB2_1658
.LBB2_1475:                             ;   in Loop: Header=BB2_1329 Depth=2
	s_or_b32 exec_lo, exec_lo, s24
	s_and_saveexec_b32 s23, s10
	s_cbranch_execz .LBB2_1477
.LBB2_1476:                             ;   in Loop: Header=BB2_1329 Depth=2
	v_and_b32_e32 v101, 0xffff, v102
	v_lshlrev_b32_e32 v102, 24, v102
	s_delay_alu instid0(VALU_DEP_2) | instskip(NEXT) | instid1(VALU_DEP_2)
	v_and_b32_e32 v103, 3, v101
	v_and_b32_e32 v102, 0x80000000, v102
	s_delay_alu instid0(VALU_DEP_2) | instskip(NEXT) | instid1(VALU_DEP_1)
	v_clz_i32_u32_e32 v112, v103
	v_min_u32_e32 v112, 32, v112
	s_delay_alu instid0(VALU_DEP_1) | instskip(SKIP_1) | instid1(VALU_DEP_2)
	v_subrev_nc_u32_e32 v113, 29, v112
	v_sub_nc_u32_e32 v112, 30, v112
	v_lshlrev_b32_e32 v113, v113, v101
	v_bfe_u32 v101, v101, 2, 5
	s_delay_alu instid0(VALU_DEP_2) | instskip(NEXT) | instid1(VALU_DEP_2)
	v_and_b32_e32 v113, 3, v113
	v_cmp_eq_u32_e64 s7, 0, v101
	s_delay_alu instid0(VALU_DEP_1) | instskip(NEXT) | instid1(VALU_DEP_3)
	v_cndmask_b32_e64 v101, v101, v112, s7
	v_cndmask_b32_e64 v103, v103, v113, s7
	s_delay_alu instid0(VALU_DEP_2) | instskip(NEXT) | instid1(VALU_DEP_2)
	v_lshl_add_u32 v101, v101, 23, 0x37800000
	v_lshlrev_b32_e32 v103, 21, v103
	s_delay_alu instid0(VALU_DEP_1)
	v_or3_b32 v101, v102, v101, v103
.LBB2_1477:                             ;   in Loop: Header=BB2_1329 Depth=2
	s_or_b32 exec_lo, exec_lo, s23
	v_lshrrev_b16 v102, 8, v12
	s_mov_b32 s10, 0
	s_mov_b32 s24, exec_lo
                                        ; implicit-def: $sgpr23
	s_delay_alu instid0(VALU_DEP_1)
	v_cmpx_lt_i16_e32 0x7f, v102
	s_xor_b32 s24, exec_lo, s24
	s_cbranch_execnz .LBB2_1659
; %bb.1478:                             ;   in Loop: Header=BB2_1329 Depth=2
	s_or_saveexec_b32 s24, s24
	v_mov_b32_e32 v103, s23
	s_xor_b32 exec_lo, exec_lo, s24
	s_cbranch_execnz .LBB2_1662
.LBB2_1479:                             ;   in Loop: Header=BB2_1329 Depth=2
	s_or_b32 exec_lo, exec_lo, s24
	s_and_saveexec_b32 s23, s10
	s_cbranch_execz .LBB2_1481
.LBB2_1480:                             ;   in Loop: Header=BB2_1329 Depth=2
	v_and_b32_e32 v103, 0xffff, v102
	v_lshlrev_b32_e32 v102, 24, v102
	s_delay_alu instid0(VALU_DEP_2) | instskip(NEXT) | instid1(VALU_DEP_2)
	v_and_b32_e32 v112, 3, v103
	v_and_b32_e32 v102, 0x80000000, v102
	s_delay_alu instid0(VALU_DEP_2) | instskip(NEXT) | instid1(VALU_DEP_1)
	v_clz_i32_u32_e32 v113, v112
	v_min_u32_e32 v113, 32, v113
	s_delay_alu instid0(VALU_DEP_1) | instskip(SKIP_1) | instid1(VALU_DEP_2)
	v_subrev_nc_u32_e32 v114, 29, v113
	v_sub_nc_u32_e32 v113, 30, v113
	v_lshlrev_b32_e32 v114, v114, v103
	v_bfe_u32 v103, v103, 2, 5
	s_delay_alu instid0(VALU_DEP_2) | instskip(NEXT) | instid1(VALU_DEP_2)
	v_and_b32_e32 v114, 3, v114
	v_cmp_eq_u32_e64 s7, 0, v103
	s_delay_alu instid0(VALU_DEP_1) | instskip(NEXT) | instid1(VALU_DEP_3)
	v_cndmask_b32_e64 v103, v103, v113, s7
	v_cndmask_b32_e64 v112, v112, v114, s7
	s_delay_alu instid0(VALU_DEP_2) | instskip(NEXT) | instid1(VALU_DEP_2)
	v_lshl_add_u32 v103, v103, 23, 0x37800000
	v_lshlrev_b32_e32 v112, 21, v112
	s_delay_alu instid0(VALU_DEP_1)
	v_or3_b32 v103, v102, v103, v112
.LBB2_1481:                             ;   in Loop: Header=BB2_1329 Depth=2
	s_or_b32 exec_lo, exec_lo, s23
	s_delay_alu instid0(VALU_DEP_1) | instskip(NEXT) | instid1(VALU_DEP_1)
	v_mul_f32_e32 v102, v101, v103
	v_and_b32_e32 v101, 0x7f800000, v102
	s_delay_alu instid0(VALU_DEP_1) | instskip(SKIP_1) | instid1(VALU_DEP_2)
	v_cmp_ne_u32_e64 s7, 0x7f800000, v101
	v_mov_b32_e32 v101, 0x80
	s_and_saveexec_b32 s23, s7
	s_cbranch_execz .LBB2_1489
; %bb.1482:                             ;   in Loop: Header=BB2_1329 Depth=2
	v_mov_b32_e32 v101, 0
	s_mov_b32 s24, exec_lo
	v_cmpx_ne_u32_e32 0, v102
	s_cbranch_execz .LBB2_1488
; %bb.1483:                             ;   in Loop: Header=BB2_1329 Depth=2
	v_bfe_u32 v101, v102, 23, 8
	v_and_b32_e32 v103, 0x7fffff, v102
	s_delay_alu instid0(VALU_DEP_2) | instskip(SKIP_1) | instid1(VALU_DEP_3)
	v_sub_nc_u32_e32 v112, 0x70, v101
	v_cmp_gt_u32_e64 s7, 0x71, v101
	v_or_b32_e32 v113, 0x800000, v103
	s_delay_alu instid0(VALU_DEP_2) | instskip(SKIP_2) | instid1(VALU_DEP_2)
	v_cndmask_b32_e64 v112, 0, v112, s7
	v_cmp_eq_u32_e64 s7, 0, v101
	v_add_nc_u32_e32 v101, 0xffffff91, v101
	v_cndmask_b32_e64 v112, v112, 0x6f, s7
	v_cndmask_b32_e64 v103, v113, v103, s7
	s_delay_alu instid0(VALU_DEP_3) | instskip(NEXT) | instid1(VALU_DEP_3)
	v_cndmask_b32_e64 v101, v101, 0xffffff92, s7
	v_lshl_add_u32 v113, 0x200000, v112, -1
	s_delay_alu instid0(VALU_DEP_3) | instskip(SKIP_1) | instid1(VALU_DEP_4)
	v_lshrrev_b32_e32 v114, v112, v103
	v_lshlrev_b32_e64 v116, v112, 0x100000
	v_add_nc_u32_e32 v112, v112, v101
	s_delay_alu instid0(VALU_DEP_4) | instskip(NEXT) | instid1(VALU_DEP_4)
	v_and_b32_e32 v103, v113, v103
	v_bfe_u32 v115, v114, 21, 1
	s_delay_alu instid0(VALU_DEP_2) | instskip(NEXT) | instid1(VALU_DEP_2)
	v_cmp_eq_u32_e64 s10, v103, v116
	v_add_nc_u32_e32 v113, -1, v115
	s_delay_alu instid0(VALU_DEP_1) | instskip(SKIP_2) | instid1(VALU_DEP_2)
	v_cndmask_b32_e64 v103, 0, v113, s10
	v_lshrrev_b32_e32 v113, 23, v114
	s_mov_b32 s10, exec_lo
	v_add_nc_u32_e32 v103, v103, v114
	s_delay_alu instid0(VALU_DEP_2) | instskip(NEXT) | instid1(VALU_DEP_2)
	v_xor_b32_e32 v113, 1, v113
	v_and_b32_e32 v101, 0x1fffff, v103
	s_delay_alu instid0(VALU_DEP_1) | instskip(NEXT) | instid1(VALU_DEP_3)
	v_add_nc_u32_e32 v103, v101, v114
                                        ; implicit-def: $vgpr101
	v_cmpx_ne_u32_e64 v112, v113
	s_xor_b32 s10, exec_lo, s10
; %bb.1484:                             ;   in Loop: Header=BB2_1329 Depth=2
	s_delay_alu instid0(VALU_DEP_2) | instskip(SKIP_1) | instid1(VALU_DEP_2)
	v_cmp_lt_u32_e64 s7, 0xffffff, v103
	v_sub_nc_u32_e32 v101, v112, v113
	v_cndmask_b32_e64 v112, 0, 1, s7
	s_delay_alu instid0(VALU_DEP_2) | instskip(NEXT) | instid1(VALU_DEP_2)
	v_add_co_ci_u32_e64 v101, s7, 0, v101, s7
	v_lshrrev_b32_e32 v103, v112, v103
; %bb.1485:                             ;   in Loop: Header=BB2_1329 Depth=2
	s_and_not1_saveexec_b32 s7, s10
; %bb.1486:                             ;   in Loop: Header=BB2_1329 Depth=2
	s_delay_alu instid0(VALU_DEP_1)
	v_bfe_u32 v101, v103, 23, 1
; %bb.1487:                             ;   in Loop: Header=BB2_1329 Depth=2
	s_or_b32 exec_lo, exec_lo, s7
	v_lshrrev_b32_e32 v103, 21, v103
	s_delay_alu instid0(VALU_DEP_2) | instskip(SKIP_2) | instid1(VALU_DEP_3)
	v_cmp_gt_i32_e64 s7, 32, v101
	v_lshrrev_b32_e32 v102, 24, v102
	v_min_i32_e32 v112, 31, v101
	v_cndmask_b32_e64 v103, 3, v103, s7
	s_delay_alu instid0(VALU_DEP_3) | instskip(NEXT) | instid1(VALU_DEP_3)
	v_and_b32_e32 v102, 0x80, v102
	v_lshlrev_b32_e32 v112, 2, v112
	s_delay_alu instid0(VALU_DEP_3) | instskip(SKIP_1) | instid1(VALU_DEP_2)
	v_and_b32_e32 v113, 3, v103
	v_or_b32_e32 v101, v101, v103
	v_or3_b32 v102, v112, v102, v113
	s_delay_alu instid0(VALU_DEP_2) | instskip(NEXT) | instid1(VALU_DEP_1)
	v_cmp_ne_u32_e64 s7, 0, v101
	v_cndmask_b32_e64 v101, 0, v102, s7
.LBB2_1488:                             ;   in Loop: Header=BB2_1329 Depth=2
	s_or_b32 exec_lo, exec_lo, s24
.LBB2_1489:                             ;   in Loop: Header=BB2_1329 Depth=2
	s_delay_alu instid0(SALU_CYCLE_1) | instskip(SKIP_3) | instid1(VALU_DEP_1)
	s_or_b32 exec_lo, exec_lo, s23
	v_lshrrev_b32_e32 v103, 16, v16
	s_mov_b32 s10, 0
	s_mov_b32 s24, exec_lo
                                        ; implicit-def: $sgpr23
	v_and_b32_e32 v112, 0xff, v103
	s_delay_alu instid0(VALU_DEP_1)
	v_cmpx_lt_i16_e32 0x7f, v112
	s_xor_b32 s24, exec_lo, s24
	s_cbranch_execnz .LBB2_1663
; %bb.1490:                             ;   in Loop: Header=BB2_1329 Depth=2
	s_or_saveexec_b32 s24, s24
	v_mov_b32_e32 v102, s23
	s_xor_b32 exec_lo, exec_lo, s24
	s_cbranch_execnz .LBB2_1666
.LBB2_1491:                             ;   in Loop: Header=BB2_1329 Depth=2
	s_or_b32 exec_lo, exec_lo, s24
	s_and_saveexec_b32 s23, s10
	s_cbranch_execz .LBB2_1493
.LBB2_1492:                             ;   in Loop: Header=BB2_1329 Depth=2
	v_bfe_u32 v102, v16, 16, 2
	v_lshlrev_b32_e32 v114, 8, v16
	s_delay_alu instid0(VALU_DEP_2) | instskip(NEXT) | instid1(VALU_DEP_1)
	v_clz_i32_u32_e32 v112, v102
	v_min_u32_e32 v112, 32, v112
	s_delay_alu instid0(VALU_DEP_1) | instskip(SKIP_1) | instid1(VALU_DEP_2)
	v_subrev_nc_u32_e32 v113, 29, v112
	v_sub_nc_u32_e32 v112, 30, v112
	v_lshlrev_b32_e32 v103, v113, v103
	v_bfe_u32 v113, v16, 18, 5
	s_delay_alu instid0(VALU_DEP_2) | instskip(NEXT) | instid1(VALU_DEP_2)
	v_and_b32_e32 v103, 3, v103
	v_cmp_eq_u32_e64 s7, 0, v113
	s_delay_alu instid0(VALU_DEP_1) | instskip(NEXT) | instid1(VALU_DEP_3)
	v_cndmask_b32_e64 v112, v113, v112, s7
	v_cndmask_b32_e64 v102, v102, v103, s7
	v_and_b32_e32 v103, 0x80000000, v114
	s_delay_alu instid0(VALU_DEP_3) | instskip(NEXT) | instid1(VALU_DEP_3)
	v_lshl_add_u32 v112, v112, 23, 0x37800000
	v_lshlrev_b32_e32 v102, 21, v102
	s_delay_alu instid0(VALU_DEP_1)
	v_or3_b32 v102, v103, v112, v102
.LBB2_1493:                             ;   in Loop: Header=BB2_1329 Depth=2
	s_or_b32 exec_lo, exec_lo, s23
	v_lshrrev_b32_e32 v103, 16, v12
	s_mov_b32 s10, 0
	s_mov_b32 s24, exec_lo
                                        ; implicit-def: $sgpr23
	s_delay_alu instid0(VALU_DEP_1) | instskip(NEXT) | instid1(VALU_DEP_1)
	v_and_b32_e32 v113, 0xff, v103
	v_cmpx_lt_i16_e32 0x7f, v113
	s_xor_b32 s24, exec_lo, s24
	s_cbranch_execnz .LBB2_1667
; %bb.1494:                             ;   in Loop: Header=BB2_1329 Depth=2
	s_or_saveexec_b32 s24, s24
	v_mov_b32_e32 v112, s23
	s_xor_b32 exec_lo, exec_lo, s24
	s_cbranch_execnz .LBB2_1670
.LBB2_1495:                             ;   in Loop: Header=BB2_1329 Depth=2
	s_or_b32 exec_lo, exec_lo, s24
	s_and_saveexec_b32 s23, s10
	s_cbranch_execz .LBB2_1497
.LBB2_1496:                             ;   in Loop: Header=BB2_1329 Depth=2
	v_bfe_u32 v112, v12, 16, 2
	v_lshlrev_b32_e32 v115, 8, v12
	s_delay_alu instid0(VALU_DEP_2) | instskip(NEXT) | instid1(VALU_DEP_1)
	v_clz_i32_u32_e32 v113, v112
	v_min_u32_e32 v113, 32, v113
	s_delay_alu instid0(VALU_DEP_1) | instskip(SKIP_1) | instid1(VALU_DEP_2)
	v_subrev_nc_u32_e32 v114, 29, v113
	v_sub_nc_u32_e32 v113, 30, v113
	v_lshlrev_b32_e32 v103, v114, v103
	v_bfe_u32 v114, v12, 18, 5
	s_delay_alu instid0(VALU_DEP_2) | instskip(NEXT) | instid1(VALU_DEP_2)
	v_and_b32_e32 v103, 3, v103
	v_cmp_eq_u32_e64 s7, 0, v114
	s_delay_alu instid0(VALU_DEP_1) | instskip(NEXT) | instid1(VALU_DEP_3)
	v_cndmask_b32_e64 v113, v114, v113, s7
	v_cndmask_b32_e64 v103, v112, v103, s7
	v_and_b32_e32 v112, 0x80000000, v115
	s_delay_alu instid0(VALU_DEP_3) | instskip(NEXT) | instid1(VALU_DEP_3)
	v_lshl_add_u32 v113, v113, 23, 0x37800000
	v_lshlrev_b32_e32 v103, 21, v103
	s_delay_alu instid0(VALU_DEP_1)
	v_or3_b32 v112, v112, v113, v103
.LBB2_1497:                             ;   in Loop: Header=BB2_1329 Depth=2
	s_or_b32 exec_lo, exec_lo, s23
	s_delay_alu instid0(VALU_DEP_1) | instskip(NEXT) | instid1(VALU_DEP_1)
	v_mul_f32_e32 v103, v102, v112
	v_and_b32_e32 v102, 0x7f800000, v103
	s_delay_alu instid0(VALU_DEP_1) | instskip(SKIP_1) | instid1(VALU_DEP_2)
	v_cmp_ne_u32_e64 s7, 0x7f800000, v102
	v_mov_b32_e32 v102, 0x80
	s_and_saveexec_b32 s23, s7
	s_cbranch_execz .LBB2_1505
; %bb.1498:                             ;   in Loop: Header=BB2_1329 Depth=2
	v_mov_b32_e32 v102, 0
	s_mov_b32 s24, exec_lo
	v_cmpx_ne_u32_e32 0, v103
	s_cbranch_execz .LBB2_1504
; %bb.1499:                             ;   in Loop: Header=BB2_1329 Depth=2
	v_bfe_u32 v102, v103, 23, 8
	v_and_b32_e32 v112, 0x7fffff, v103
	s_delay_alu instid0(VALU_DEP_2) | instskip(SKIP_1) | instid1(VALU_DEP_3)
	v_sub_nc_u32_e32 v113, 0x70, v102
	v_cmp_gt_u32_e64 s7, 0x71, v102
	v_or_b32_e32 v114, 0x800000, v112
	s_delay_alu instid0(VALU_DEP_2) | instskip(SKIP_2) | instid1(VALU_DEP_2)
	v_cndmask_b32_e64 v113, 0, v113, s7
	v_cmp_eq_u32_e64 s7, 0, v102
	v_add_nc_u32_e32 v102, 0xffffff91, v102
	v_cndmask_b32_e64 v113, v113, 0x6f, s7
	v_cndmask_b32_e64 v112, v114, v112, s7
	s_delay_alu instid0(VALU_DEP_3) | instskip(NEXT) | instid1(VALU_DEP_3)
	v_cndmask_b32_e64 v102, v102, 0xffffff92, s7
	v_lshl_add_u32 v114, 0x200000, v113, -1
	s_delay_alu instid0(VALU_DEP_3) | instskip(SKIP_1) | instid1(VALU_DEP_4)
	v_lshrrev_b32_e32 v115, v113, v112
	v_lshlrev_b32_e64 v117, v113, 0x100000
	v_add_nc_u32_e32 v113, v113, v102
	s_delay_alu instid0(VALU_DEP_4) | instskip(NEXT) | instid1(VALU_DEP_4)
	v_and_b32_e32 v112, v114, v112
	v_bfe_u32 v116, v115, 21, 1
	s_delay_alu instid0(VALU_DEP_2) | instskip(NEXT) | instid1(VALU_DEP_2)
	v_cmp_eq_u32_e64 s10, v112, v117
	v_add_nc_u32_e32 v114, -1, v116
	s_delay_alu instid0(VALU_DEP_1) | instskip(SKIP_2) | instid1(VALU_DEP_2)
	v_cndmask_b32_e64 v112, 0, v114, s10
	v_lshrrev_b32_e32 v114, 23, v115
	s_mov_b32 s10, exec_lo
	v_add_nc_u32_e32 v112, v112, v115
	s_delay_alu instid0(VALU_DEP_2) | instskip(NEXT) | instid1(VALU_DEP_2)
	v_xor_b32_e32 v114, 1, v114
	v_and_b32_e32 v102, 0x1fffff, v112
	s_delay_alu instid0(VALU_DEP_1) | instskip(NEXT) | instid1(VALU_DEP_3)
	v_add_nc_u32_e32 v112, v102, v115
                                        ; implicit-def: $vgpr102
	v_cmpx_ne_u32_e64 v113, v114
	s_xor_b32 s10, exec_lo, s10
; %bb.1500:                             ;   in Loop: Header=BB2_1329 Depth=2
	s_delay_alu instid0(VALU_DEP_2) | instskip(SKIP_1) | instid1(VALU_DEP_2)
	v_cmp_lt_u32_e64 s7, 0xffffff, v112
	v_sub_nc_u32_e32 v102, v113, v114
	v_cndmask_b32_e64 v113, 0, 1, s7
	s_delay_alu instid0(VALU_DEP_2) | instskip(NEXT) | instid1(VALU_DEP_2)
	v_add_co_ci_u32_e64 v102, s7, 0, v102, s7
	v_lshrrev_b32_e32 v112, v113, v112
; %bb.1501:                             ;   in Loop: Header=BB2_1329 Depth=2
	s_and_not1_saveexec_b32 s7, s10
; %bb.1502:                             ;   in Loop: Header=BB2_1329 Depth=2
	s_delay_alu instid0(VALU_DEP_1)
	v_bfe_u32 v102, v112, 23, 1
; %bb.1503:                             ;   in Loop: Header=BB2_1329 Depth=2
	s_or_b32 exec_lo, exec_lo, s7
	v_lshrrev_b32_e32 v112, 21, v112
	s_delay_alu instid0(VALU_DEP_2) | instskip(SKIP_2) | instid1(VALU_DEP_3)
	v_cmp_gt_i32_e64 s7, 32, v102
	v_lshrrev_b32_e32 v103, 24, v103
	v_min_i32_e32 v113, 31, v102
	v_cndmask_b32_e64 v112, 3, v112, s7
	s_delay_alu instid0(VALU_DEP_3) | instskip(NEXT) | instid1(VALU_DEP_3)
	v_and_b32_e32 v103, 0x80, v103
	v_lshlrev_b32_e32 v113, 2, v113
	s_delay_alu instid0(VALU_DEP_3) | instskip(SKIP_1) | instid1(VALU_DEP_2)
	v_and_b32_e32 v114, 3, v112
	v_or_b32_e32 v102, v102, v112
	v_or3_b32 v103, v113, v103, v114
	s_delay_alu instid0(VALU_DEP_2) | instskip(NEXT) | instid1(VALU_DEP_1)
	v_cmp_ne_u32_e64 s7, 0, v102
	v_cndmask_b32_e64 v102, 0, v103, s7
.LBB2_1504:                             ;   in Loop: Header=BB2_1329 Depth=2
	s_or_b32 exec_lo, exec_lo, s24
.LBB2_1505:                             ;   in Loop: Header=BB2_1329 Depth=2
	s_delay_alu instid0(SALU_CYCLE_1) | instskip(SKIP_3) | instid1(VALU_DEP_1)
	s_or_b32 exec_lo, exec_lo, s23
	v_lshrrev_b32_e32 v112, 24, v16
	s_mov_b32 s10, 0
	s_mov_b32 s24, exec_lo
                                        ; implicit-def: $sgpr23
	v_cmpx_lt_i16_e32 0x7f, v112
	s_xor_b32 s24, exec_lo, s24
	s_cbranch_execnz .LBB2_1671
; %bb.1506:                             ;   in Loop: Header=BB2_1329 Depth=2
	s_or_saveexec_b32 s24, s24
	v_mov_b32_e32 v103, s23
	s_xor_b32 exec_lo, exec_lo, s24
	s_cbranch_execnz .LBB2_1674
.LBB2_1507:                             ;   in Loop: Header=BB2_1329 Depth=2
	s_or_b32 exec_lo, exec_lo, s24
	s_and_saveexec_b32 s23, s10
	s_cbranch_execz .LBB2_1509
.LBB2_1508:                             ;   in Loop: Header=BB2_1329 Depth=2
	v_bfe_u32 v103, v16, 24, 2
	s_delay_alu instid0(VALU_DEP_1) | instskip(NEXT) | instid1(VALU_DEP_1)
	v_clz_i32_u32_e32 v113, v103
	v_min_u32_e32 v113, 32, v113
	s_delay_alu instid0(VALU_DEP_1) | instskip(SKIP_1) | instid1(VALU_DEP_2)
	v_subrev_nc_u32_e32 v114, 29, v113
	v_sub_nc_u32_e32 v113, 30, v113
	v_lshlrev_b32_e32 v112, v114, v112
	v_bfe_u32 v114, v16, 26, 5
	v_and_b32_e32 v16, 0x80000000, v16
	s_delay_alu instid0(VALU_DEP_3) | instskip(NEXT) | instid1(VALU_DEP_3)
	v_and_b32_e32 v112, 3, v112
	v_cmp_eq_u32_e64 s7, 0, v114
	s_delay_alu instid0(VALU_DEP_1) | instskip(NEXT) | instid1(VALU_DEP_3)
	v_cndmask_b32_e64 v113, v114, v113, s7
	v_cndmask_b32_e64 v103, v103, v112, s7
	s_delay_alu instid0(VALU_DEP_2) | instskip(NEXT) | instid1(VALU_DEP_2)
	v_lshl_add_u32 v112, v113, 23, 0x37800000
	v_lshlrev_b32_e32 v103, 21, v103
	s_delay_alu instid0(VALU_DEP_1)
	v_or3_b32 v103, v16, v112, v103
.LBB2_1509:                             ;   in Loop: Header=BB2_1329 Depth=2
	s_or_b32 exec_lo, exec_lo, s23
	v_lshrrev_b32_e32 v16, 24, v12
	s_mov_b32 s10, 0
	s_mov_b32 s24, exec_lo
                                        ; implicit-def: $sgpr23
	s_delay_alu instid0(VALU_DEP_1)
	v_cmpx_lt_i16_e32 0x7f, v16
	s_xor_b32 s24, exec_lo, s24
	s_cbranch_execnz .LBB2_1675
; %bb.1510:                             ;   in Loop: Header=BB2_1329 Depth=2
	s_or_saveexec_b32 s24, s24
	v_mov_b32_e32 v112, s23
	s_xor_b32 exec_lo, exec_lo, s24
	s_cbranch_execnz .LBB2_1678
.LBB2_1511:                             ;   in Loop: Header=BB2_1329 Depth=2
	s_or_b32 exec_lo, exec_lo, s24
	s_and_saveexec_b32 s23, s10
	s_cbranch_execz .LBB2_1513
.LBB2_1512:                             ;   in Loop: Header=BB2_1329 Depth=2
	v_bfe_u32 v112, v12, 24, 2
	s_delay_alu instid0(VALU_DEP_1) | instskip(NEXT) | instid1(VALU_DEP_1)
	v_clz_i32_u32_e32 v113, v112
	v_min_u32_e32 v113, 32, v113
	s_delay_alu instid0(VALU_DEP_1) | instskip(SKIP_1) | instid1(VALU_DEP_2)
	v_subrev_nc_u32_e32 v114, 29, v113
	v_sub_nc_u32_e32 v113, 30, v113
	v_lshlrev_b32_e32 v16, v114, v16
	v_bfe_u32 v114, v12, 26, 5
	v_and_b32_e32 v12, 0x80000000, v12
	s_delay_alu instid0(VALU_DEP_3) | instskip(NEXT) | instid1(VALU_DEP_3)
	v_and_b32_e32 v16, 3, v16
	v_cmp_eq_u32_e64 s7, 0, v114
	s_delay_alu instid0(VALU_DEP_1) | instskip(NEXT) | instid1(VALU_DEP_3)
	v_cndmask_b32_e64 v113, v114, v113, s7
	v_cndmask_b32_e64 v16, v112, v16, s7
	s_delay_alu instid0(VALU_DEP_2) | instskip(NEXT) | instid1(VALU_DEP_2)
	v_lshl_add_u32 v112, v113, 23, 0x37800000
	v_lshlrev_b32_e32 v16, 21, v16
	s_delay_alu instid0(VALU_DEP_1)
	v_or3_b32 v112, v12, v112, v16
.LBB2_1513:                             ;   in Loop: Header=BB2_1329 Depth=2
	s_or_b32 exec_lo, exec_lo, s23
	s_delay_alu instid0(VALU_DEP_1) | instskip(NEXT) | instid1(VALU_DEP_1)
	v_mul_f32_e32 v16, v103, v112
	v_and_b32_e32 v12, 0x7f800000, v16
	s_delay_alu instid0(VALU_DEP_1) | instskip(SKIP_1) | instid1(VALU_DEP_2)
	v_cmp_ne_u32_e64 s7, 0x7f800000, v12
	v_mov_b32_e32 v12, 0x80
	s_and_saveexec_b32 s23, s7
	s_cbranch_execz .LBB2_1521
; %bb.1514:                             ;   in Loop: Header=BB2_1329 Depth=2
	v_mov_b32_e32 v12, 0
	s_mov_b32 s24, exec_lo
	v_cmpx_ne_u32_e32 0, v16
	s_cbranch_execz .LBB2_1520
; %bb.1515:                             ;   in Loop: Header=BB2_1329 Depth=2
	v_bfe_u32 v12, v16, 23, 8
	v_and_b32_e32 v103, 0x7fffff, v16
	s_delay_alu instid0(VALU_DEP_2) | instskip(SKIP_1) | instid1(VALU_DEP_3)
	v_sub_nc_u32_e32 v112, 0x70, v12
	v_cmp_gt_u32_e64 s7, 0x71, v12
	v_or_b32_e32 v113, 0x800000, v103
	s_delay_alu instid0(VALU_DEP_2) | instskip(SKIP_2) | instid1(VALU_DEP_2)
	v_cndmask_b32_e64 v112, 0, v112, s7
	v_cmp_eq_u32_e64 s7, 0, v12
	v_add_nc_u32_e32 v12, 0xffffff91, v12
	v_cndmask_b32_e64 v112, v112, 0x6f, s7
	v_cndmask_b32_e64 v103, v113, v103, s7
	s_delay_alu instid0(VALU_DEP_3) | instskip(NEXT) | instid1(VALU_DEP_3)
	v_cndmask_b32_e64 v12, v12, 0xffffff92, s7
	v_lshl_add_u32 v113, 0x200000, v112, -1
	s_delay_alu instid0(VALU_DEP_3) | instskip(SKIP_1) | instid1(VALU_DEP_4)
	v_lshrrev_b32_e32 v114, v112, v103
	v_lshlrev_b32_e64 v116, v112, 0x100000
	v_add_nc_u32_e32 v112, v112, v12
	s_delay_alu instid0(VALU_DEP_4) | instskip(NEXT) | instid1(VALU_DEP_4)
	v_and_b32_e32 v103, v113, v103
	v_bfe_u32 v115, v114, 21, 1
	s_delay_alu instid0(VALU_DEP_2) | instskip(NEXT) | instid1(VALU_DEP_2)
	v_cmp_eq_u32_e64 s10, v103, v116
	v_add_nc_u32_e32 v113, -1, v115
	s_delay_alu instid0(VALU_DEP_1) | instskip(SKIP_2) | instid1(VALU_DEP_2)
	v_cndmask_b32_e64 v103, 0, v113, s10
	v_lshrrev_b32_e32 v113, 23, v114
	s_mov_b32 s10, exec_lo
	v_add_nc_u32_e32 v103, v103, v114
	s_delay_alu instid0(VALU_DEP_2) | instskip(NEXT) | instid1(VALU_DEP_2)
	v_xor_b32_e32 v113, 1, v113
	v_and_b32_e32 v12, 0x1fffff, v103
	s_delay_alu instid0(VALU_DEP_1) | instskip(NEXT) | instid1(VALU_DEP_3)
	v_add_nc_u32_e32 v103, v12, v114
                                        ; implicit-def: $vgpr12
	v_cmpx_ne_u32_e64 v112, v113
	s_xor_b32 s10, exec_lo, s10
; %bb.1516:                             ;   in Loop: Header=BB2_1329 Depth=2
	s_delay_alu instid0(VALU_DEP_2) | instskip(SKIP_1) | instid1(VALU_DEP_2)
	v_cmp_lt_u32_e64 s7, 0xffffff, v103
	v_sub_nc_u32_e32 v12, v112, v113
	v_cndmask_b32_e64 v112, 0, 1, s7
	s_delay_alu instid0(VALU_DEP_2) | instskip(NEXT) | instid1(VALU_DEP_2)
	v_add_co_ci_u32_e64 v12, s7, 0, v12, s7
	v_lshrrev_b32_e32 v103, v112, v103
; %bb.1517:                             ;   in Loop: Header=BB2_1329 Depth=2
	s_and_not1_saveexec_b32 s7, s10
; %bb.1518:                             ;   in Loop: Header=BB2_1329 Depth=2
	s_delay_alu instid0(VALU_DEP_1)
	v_bfe_u32 v12, v103, 23, 1
; %bb.1519:                             ;   in Loop: Header=BB2_1329 Depth=2
	s_or_b32 exec_lo, exec_lo, s7
	v_lshrrev_b32_e32 v103, 21, v103
	s_delay_alu instid0(VALU_DEP_2) | instskip(SKIP_2) | instid1(VALU_DEP_3)
	v_cmp_gt_i32_e64 s7, 32, v12
	v_lshrrev_b32_e32 v16, 24, v16
	v_min_i32_e32 v112, 31, v12
	v_cndmask_b32_e64 v103, 3, v103, s7
	s_delay_alu instid0(VALU_DEP_3) | instskip(NEXT) | instid1(VALU_DEP_3)
	v_and_b32_e32 v16, 0x80, v16
	v_lshlrev_b32_e32 v112, 2, v112
	s_delay_alu instid0(VALU_DEP_3) | instskip(SKIP_1) | instid1(VALU_DEP_2)
	v_and_b32_e32 v113, 3, v103
	v_or_b32_e32 v12, v12, v103
	v_or3_b32 v16, v112, v16, v113
	s_delay_alu instid0(VALU_DEP_2) | instskip(NEXT) | instid1(VALU_DEP_1)
	v_cmp_ne_u32_e64 s7, 0, v12
	v_cndmask_b32_e64 v12, 0, v16, s7
.LBB2_1520:                             ;   in Loop: Header=BB2_1329 Depth=2
	s_or_b32 exec_lo, exec_lo, s24
.LBB2_1521:                             ;   in Loop: Header=BB2_1329 Depth=2
	s_delay_alu instid0(SALU_CYCLE_1) | instskip(SKIP_3) | instid1(VALU_DEP_1)
	s_or_b32 exec_lo, exec_lo, s23
	v_and_b32_e32 v103, 0xff, v17
	s_mov_b32 s10, 0
	s_mov_b32 s24, exec_lo
                                        ; implicit-def: $sgpr23
	v_cmpx_lt_i16_e32 0x7f, v103
	s_xor_b32 s24, exec_lo, s24
	s_cbranch_execnz .LBB2_1679
; %bb.1522:                             ;   in Loop: Header=BB2_1329 Depth=2
	s_or_saveexec_b32 s24, s24
	v_mov_b32_e32 v16, s23
	s_xor_b32 exec_lo, exec_lo, s24
	s_cbranch_execnz .LBB2_1682
.LBB2_1523:                             ;   in Loop: Header=BB2_1329 Depth=2
	s_or_b32 exec_lo, exec_lo, s24
	s_and_saveexec_b32 s23, s10
	s_cbranch_execz .LBB2_1525
.LBB2_1524:                             ;   in Loop: Header=BB2_1329 Depth=2
	v_and_b32_e32 v16, 3, v17
	v_bfe_u32 v113, v17, 2, 5
	v_lshlrev_b32_e32 v114, 24, v17
	s_delay_alu instid0(VALU_DEP_3) | instskip(NEXT) | instid1(VALU_DEP_3)
	v_clz_i32_u32_e32 v103, v16
	v_cmp_eq_u32_e64 s7, 0, v113
	s_delay_alu instid0(VALU_DEP_2) | instskip(NEXT) | instid1(VALU_DEP_1)
	v_min_u32_e32 v103, 32, v103
	v_subrev_nc_u32_e32 v112, 29, v103
	v_sub_nc_u32_e32 v103, 30, v103
	s_delay_alu instid0(VALU_DEP_2) | instskip(NEXT) | instid1(VALU_DEP_2)
	v_lshlrev_b32_e32 v112, v112, v17
	v_cndmask_b32_e64 v103, v113, v103, s7
	s_delay_alu instid0(VALU_DEP_2) | instskip(NEXT) | instid1(VALU_DEP_2)
	v_and_b32_e32 v112, 3, v112
	v_lshl_add_u32 v103, v103, 23, 0x37800000
	s_delay_alu instid0(VALU_DEP_2) | instskip(SKIP_1) | instid1(VALU_DEP_2)
	v_cndmask_b32_e64 v16, v16, v112, s7
	v_and_b32_e32 v112, 0x80000000, v114
	v_lshlrev_b32_e32 v16, 21, v16
	s_delay_alu instid0(VALU_DEP_1)
	v_or3_b32 v16, v112, v103, v16
.LBB2_1525:                             ;   in Loop: Header=BB2_1329 Depth=2
	s_or_b32 exec_lo, exec_lo, s23
	v_and_b32_e32 v112, 0xff, v13
	s_mov_b32 s10, 0
	s_mov_b32 s24, exec_lo
                                        ; implicit-def: $sgpr23
	s_delay_alu instid0(VALU_DEP_1)
	v_cmpx_lt_i16_e32 0x7f, v112
	s_xor_b32 s24, exec_lo, s24
	s_cbranch_execnz .LBB2_1683
; %bb.1526:                             ;   in Loop: Header=BB2_1329 Depth=2
	s_or_saveexec_b32 s24, s24
	v_mov_b32_e32 v103, s23
	s_xor_b32 exec_lo, exec_lo, s24
	s_cbranch_execnz .LBB2_1686
.LBB2_1527:                             ;   in Loop: Header=BB2_1329 Depth=2
	s_or_b32 exec_lo, exec_lo, s24
	s_and_saveexec_b32 s23, s10
	s_cbranch_execz .LBB2_1529
.LBB2_1528:                             ;   in Loop: Header=BB2_1329 Depth=2
	v_and_b32_e32 v103, 3, v13
	v_bfe_u32 v114, v13, 2, 5
	v_lshlrev_b32_e32 v115, 24, v13
	s_delay_alu instid0(VALU_DEP_3) | instskip(NEXT) | instid1(VALU_DEP_3)
	v_clz_i32_u32_e32 v112, v103
	v_cmp_eq_u32_e64 s7, 0, v114
	s_delay_alu instid0(VALU_DEP_2) | instskip(NEXT) | instid1(VALU_DEP_1)
	v_min_u32_e32 v112, 32, v112
	v_subrev_nc_u32_e32 v113, 29, v112
	v_sub_nc_u32_e32 v112, 30, v112
	s_delay_alu instid0(VALU_DEP_2) | instskip(NEXT) | instid1(VALU_DEP_2)
	v_lshlrev_b32_e32 v113, v113, v13
	v_cndmask_b32_e64 v112, v114, v112, s7
	s_delay_alu instid0(VALU_DEP_2) | instskip(NEXT) | instid1(VALU_DEP_2)
	v_and_b32_e32 v113, 3, v113
	v_lshl_add_u32 v112, v112, 23, 0x37800000
	s_delay_alu instid0(VALU_DEP_2) | instskip(SKIP_1) | instid1(VALU_DEP_2)
	v_cndmask_b32_e64 v103, v103, v113, s7
	v_and_b32_e32 v113, 0x80000000, v115
	v_lshlrev_b32_e32 v103, 21, v103
	s_delay_alu instid0(VALU_DEP_1)
	v_or3_b32 v103, v113, v112, v103
.LBB2_1529:                             ;   in Loop: Header=BB2_1329 Depth=2
	s_or_b32 exec_lo, exec_lo, s23
	s_delay_alu instid0(VALU_DEP_1) | instskip(NEXT) | instid1(VALU_DEP_1)
	v_mul_f32_e32 v103, v16, v103
	v_and_b32_e32 v16, 0x7f800000, v103
	s_delay_alu instid0(VALU_DEP_1) | instskip(SKIP_1) | instid1(VALU_DEP_2)
	v_cmp_ne_u32_e64 s7, 0x7f800000, v16
	v_mov_b32_e32 v16, 0x80
	s_and_saveexec_b32 s23, s7
	s_cbranch_execz .LBB2_1537
; %bb.1530:                             ;   in Loop: Header=BB2_1329 Depth=2
	v_mov_b32_e32 v16, 0
	s_mov_b32 s24, exec_lo
	v_cmpx_ne_u32_e32 0, v103
	s_cbranch_execz .LBB2_1536
; %bb.1531:                             ;   in Loop: Header=BB2_1329 Depth=2
	v_bfe_u32 v16, v103, 23, 8
	v_and_b32_e32 v112, 0x7fffff, v103
	s_delay_alu instid0(VALU_DEP_2) | instskip(SKIP_1) | instid1(VALU_DEP_3)
	v_sub_nc_u32_e32 v113, 0x70, v16
	v_cmp_gt_u32_e64 s7, 0x71, v16
	v_or_b32_e32 v114, 0x800000, v112
	s_delay_alu instid0(VALU_DEP_2) | instskip(SKIP_2) | instid1(VALU_DEP_2)
	v_cndmask_b32_e64 v113, 0, v113, s7
	v_cmp_eq_u32_e64 s7, 0, v16
	v_add_nc_u32_e32 v16, 0xffffff91, v16
	v_cndmask_b32_e64 v113, v113, 0x6f, s7
	v_cndmask_b32_e64 v112, v114, v112, s7
	s_delay_alu instid0(VALU_DEP_3) | instskip(NEXT) | instid1(VALU_DEP_3)
	v_cndmask_b32_e64 v16, v16, 0xffffff92, s7
	v_lshl_add_u32 v114, 0x200000, v113, -1
	s_delay_alu instid0(VALU_DEP_3) | instskip(SKIP_1) | instid1(VALU_DEP_4)
	v_lshrrev_b32_e32 v115, v113, v112
	v_lshlrev_b32_e64 v117, v113, 0x100000
	v_add_nc_u32_e32 v113, v113, v16
	s_delay_alu instid0(VALU_DEP_4) | instskip(NEXT) | instid1(VALU_DEP_4)
	v_and_b32_e32 v112, v114, v112
	v_bfe_u32 v116, v115, 21, 1
	s_delay_alu instid0(VALU_DEP_2) | instskip(NEXT) | instid1(VALU_DEP_2)
	v_cmp_eq_u32_e64 s10, v112, v117
	v_add_nc_u32_e32 v114, -1, v116
	s_delay_alu instid0(VALU_DEP_1) | instskip(SKIP_2) | instid1(VALU_DEP_2)
	v_cndmask_b32_e64 v112, 0, v114, s10
	v_lshrrev_b32_e32 v114, 23, v115
	s_mov_b32 s10, exec_lo
	v_add_nc_u32_e32 v112, v112, v115
	s_delay_alu instid0(VALU_DEP_2) | instskip(NEXT) | instid1(VALU_DEP_2)
	v_xor_b32_e32 v114, 1, v114
	v_and_b32_e32 v16, 0x1fffff, v112
	s_delay_alu instid0(VALU_DEP_1) | instskip(NEXT) | instid1(VALU_DEP_3)
	v_add_nc_u32_e32 v112, v16, v115
                                        ; implicit-def: $vgpr16
	v_cmpx_ne_u32_e64 v113, v114
	s_xor_b32 s10, exec_lo, s10
; %bb.1532:                             ;   in Loop: Header=BB2_1329 Depth=2
	s_delay_alu instid0(VALU_DEP_2) | instskip(SKIP_1) | instid1(VALU_DEP_2)
	v_cmp_lt_u32_e64 s7, 0xffffff, v112
	v_sub_nc_u32_e32 v16, v113, v114
	v_cndmask_b32_e64 v113, 0, 1, s7
	s_delay_alu instid0(VALU_DEP_2) | instskip(NEXT) | instid1(VALU_DEP_2)
	v_add_co_ci_u32_e64 v16, s7, 0, v16, s7
	v_lshrrev_b32_e32 v112, v113, v112
; %bb.1533:                             ;   in Loop: Header=BB2_1329 Depth=2
	s_and_not1_saveexec_b32 s7, s10
; %bb.1534:                             ;   in Loop: Header=BB2_1329 Depth=2
	s_delay_alu instid0(VALU_DEP_1)
	v_bfe_u32 v16, v112, 23, 1
; %bb.1535:                             ;   in Loop: Header=BB2_1329 Depth=2
	s_or_b32 exec_lo, exec_lo, s7
	v_lshrrev_b32_e32 v112, 21, v112
	s_delay_alu instid0(VALU_DEP_2) | instskip(SKIP_2) | instid1(VALU_DEP_3)
	v_cmp_gt_i32_e64 s7, 32, v16
	v_lshrrev_b32_e32 v103, 24, v103
	v_min_i32_e32 v113, 31, v16
	v_cndmask_b32_e64 v112, 3, v112, s7
	s_delay_alu instid0(VALU_DEP_3) | instskip(NEXT) | instid1(VALU_DEP_3)
	v_and_b32_e32 v103, 0x80, v103
	v_lshlrev_b32_e32 v113, 2, v113
	s_delay_alu instid0(VALU_DEP_3) | instskip(SKIP_1) | instid1(VALU_DEP_2)
	v_and_b32_e32 v114, 3, v112
	v_or_b32_e32 v16, v16, v112
	v_or3_b32 v103, v113, v103, v114
	s_delay_alu instid0(VALU_DEP_2) | instskip(NEXT) | instid1(VALU_DEP_1)
	v_cmp_ne_u32_e64 s7, 0, v16
	v_cndmask_b32_e64 v16, 0, v103, s7
.LBB2_1536:                             ;   in Loop: Header=BB2_1329 Depth=2
	s_or_b32 exec_lo, exec_lo, s24
.LBB2_1537:                             ;   in Loop: Header=BB2_1329 Depth=2
	s_delay_alu instid0(SALU_CYCLE_1) | instskip(SKIP_3) | instid1(VALU_DEP_1)
	s_or_b32 exec_lo, exec_lo, s23
	v_lshrrev_b16 v112, 8, v17
	s_mov_b32 s10, 0
	s_mov_b32 s24, exec_lo
                                        ; implicit-def: $sgpr23
	v_cmpx_lt_i16_e32 0x7f, v112
	s_xor_b32 s24, exec_lo, s24
	s_cbranch_execnz .LBB2_1687
; %bb.1538:                             ;   in Loop: Header=BB2_1329 Depth=2
	s_or_saveexec_b32 s24, s24
	v_mov_b32_e32 v103, s23
	s_xor_b32 exec_lo, exec_lo, s24
	s_cbranch_execnz .LBB2_1690
.LBB2_1539:                             ;   in Loop: Header=BB2_1329 Depth=2
	s_or_b32 exec_lo, exec_lo, s24
	s_and_saveexec_b32 s23, s10
	s_cbranch_execz .LBB2_1541
.LBB2_1540:                             ;   in Loop: Header=BB2_1329 Depth=2
	v_and_b32_e32 v103, 0xffff, v112
	v_lshlrev_b32_e32 v112, 24, v112
	s_delay_alu instid0(VALU_DEP_2) | instskip(NEXT) | instid1(VALU_DEP_2)
	v_and_b32_e32 v113, 3, v103
	v_and_b32_e32 v112, 0x80000000, v112
	s_delay_alu instid0(VALU_DEP_2) | instskip(NEXT) | instid1(VALU_DEP_1)
	v_clz_i32_u32_e32 v114, v113
	v_min_u32_e32 v114, 32, v114
	s_delay_alu instid0(VALU_DEP_1) | instskip(SKIP_1) | instid1(VALU_DEP_2)
	v_subrev_nc_u32_e32 v115, 29, v114
	v_sub_nc_u32_e32 v114, 30, v114
	v_lshlrev_b32_e32 v115, v115, v103
	v_bfe_u32 v103, v103, 2, 5
	s_delay_alu instid0(VALU_DEP_2) | instskip(NEXT) | instid1(VALU_DEP_2)
	v_and_b32_e32 v115, 3, v115
	v_cmp_eq_u32_e64 s7, 0, v103
	s_delay_alu instid0(VALU_DEP_1) | instskip(NEXT) | instid1(VALU_DEP_3)
	v_cndmask_b32_e64 v103, v103, v114, s7
	v_cndmask_b32_e64 v113, v113, v115, s7
	s_delay_alu instid0(VALU_DEP_2) | instskip(NEXT) | instid1(VALU_DEP_2)
	v_lshl_add_u32 v103, v103, 23, 0x37800000
	v_lshlrev_b32_e32 v113, 21, v113
	s_delay_alu instid0(VALU_DEP_1)
	v_or3_b32 v103, v112, v103, v113
.LBB2_1541:                             ;   in Loop: Header=BB2_1329 Depth=2
	s_or_b32 exec_lo, exec_lo, s23
	v_lshrrev_b16 v112, 8, v13
	s_mov_b32 s10, 0
	s_mov_b32 s24, exec_lo
                                        ; implicit-def: $sgpr23
	s_delay_alu instid0(VALU_DEP_1)
	v_cmpx_lt_i16_e32 0x7f, v112
	s_xor_b32 s24, exec_lo, s24
	s_cbranch_execnz .LBB2_1691
; %bb.1542:                             ;   in Loop: Header=BB2_1329 Depth=2
	s_or_saveexec_b32 s24, s24
	v_mov_b32_e32 v113, s23
	s_xor_b32 exec_lo, exec_lo, s24
	s_cbranch_execnz .LBB2_1694
.LBB2_1543:                             ;   in Loop: Header=BB2_1329 Depth=2
	s_or_b32 exec_lo, exec_lo, s24
	s_and_saveexec_b32 s23, s10
	s_cbranch_execz .LBB2_1545
.LBB2_1544:                             ;   in Loop: Header=BB2_1329 Depth=2
	v_and_b32_e32 v113, 0xffff, v112
	v_lshlrev_b32_e32 v112, 24, v112
	s_delay_alu instid0(VALU_DEP_2) | instskip(NEXT) | instid1(VALU_DEP_2)
	v_and_b32_e32 v114, 3, v113
	v_and_b32_e32 v112, 0x80000000, v112
	s_delay_alu instid0(VALU_DEP_2) | instskip(NEXT) | instid1(VALU_DEP_1)
	v_clz_i32_u32_e32 v115, v114
	v_min_u32_e32 v115, 32, v115
	s_delay_alu instid0(VALU_DEP_1) | instskip(SKIP_1) | instid1(VALU_DEP_2)
	v_subrev_nc_u32_e32 v116, 29, v115
	v_sub_nc_u32_e32 v115, 30, v115
	v_lshlrev_b32_e32 v116, v116, v113
	v_bfe_u32 v113, v113, 2, 5
	s_delay_alu instid0(VALU_DEP_2) | instskip(NEXT) | instid1(VALU_DEP_2)
	v_and_b32_e32 v116, 3, v116
	v_cmp_eq_u32_e64 s7, 0, v113
	s_delay_alu instid0(VALU_DEP_1) | instskip(NEXT) | instid1(VALU_DEP_3)
	v_cndmask_b32_e64 v113, v113, v115, s7
	v_cndmask_b32_e64 v114, v114, v116, s7
	s_delay_alu instid0(VALU_DEP_2) | instskip(NEXT) | instid1(VALU_DEP_2)
	v_lshl_add_u32 v113, v113, 23, 0x37800000
	v_lshlrev_b32_e32 v114, 21, v114
	s_delay_alu instid0(VALU_DEP_1)
	v_or3_b32 v113, v112, v113, v114
.LBB2_1545:                             ;   in Loop: Header=BB2_1329 Depth=2
	s_or_b32 exec_lo, exec_lo, s23
	s_delay_alu instid0(VALU_DEP_1) | instskip(NEXT) | instid1(VALU_DEP_1)
	v_mul_f32_e32 v112, v103, v113
	v_and_b32_e32 v103, 0x7f800000, v112
	s_delay_alu instid0(VALU_DEP_1) | instskip(SKIP_1) | instid1(VALU_DEP_2)
	v_cmp_ne_u32_e64 s7, 0x7f800000, v103
	v_mov_b32_e32 v103, 0x8000
	s_and_saveexec_b32 s23, s7
	s_cbranch_execz .LBB2_1553
; %bb.1546:                             ;   in Loop: Header=BB2_1329 Depth=2
	v_mov_b32_e32 v103, 0
	s_mov_b32 s24, exec_lo
	v_cmpx_ne_u32_e32 0, v112
	s_cbranch_execz .LBB2_1552
; %bb.1547:                             ;   in Loop: Header=BB2_1329 Depth=2
	v_bfe_u32 v103, v112, 23, 8
	v_and_b32_e32 v113, 0x7fffff, v112
	s_delay_alu instid0(VALU_DEP_2) | instskip(SKIP_1) | instid1(VALU_DEP_3)
	v_sub_nc_u32_e32 v114, 0x70, v103
	v_cmp_gt_u32_e64 s7, 0x71, v103
	v_or_b32_e32 v115, 0x800000, v113
	s_delay_alu instid0(VALU_DEP_2) | instskip(SKIP_2) | instid1(VALU_DEP_2)
	v_cndmask_b32_e64 v114, 0, v114, s7
	v_cmp_eq_u32_e64 s7, 0, v103
	v_add_nc_u32_e32 v103, 0xffffff91, v103
	v_cndmask_b32_e64 v114, v114, 0x6f, s7
	v_cndmask_b32_e64 v113, v115, v113, s7
	s_delay_alu instid0(VALU_DEP_3) | instskip(NEXT) | instid1(VALU_DEP_3)
	v_cndmask_b32_e64 v103, v103, 0xffffff92, s7
	v_lshl_add_u32 v115, 0x200000, v114, -1
	s_delay_alu instid0(VALU_DEP_3) | instskip(SKIP_1) | instid1(VALU_DEP_4)
	v_lshrrev_b32_e32 v116, v114, v113
	v_lshlrev_b32_e64 v118, v114, 0x100000
	v_add_nc_u32_e32 v114, v114, v103
	s_delay_alu instid0(VALU_DEP_4) | instskip(NEXT) | instid1(VALU_DEP_4)
	v_and_b32_e32 v113, v115, v113
	v_bfe_u32 v117, v116, 21, 1
	s_delay_alu instid0(VALU_DEP_2) | instskip(NEXT) | instid1(VALU_DEP_2)
	v_cmp_eq_u32_e64 s10, v113, v118
	v_add_nc_u32_e32 v115, -1, v117
	s_delay_alu instid0(VALU_DEP_1) | instskip(SKIP_2) | instid1(VALU_DEP_2)
	v_cndmask_b32_e64 v113, 0, v115, s10
	v_lshrrev_b32_e32 v115, 23, v116
	s_mov_b32 s10, exec_lo
	v_add_nc_u32_e32 v113, v113, v116
	s_delay_alu instid0(VALU_DEP_2) | instskip(NEXT) | instid1(VALU_DEP_2)
	v_xor_b32_e32 v115, 1, v115
	v_and_b32_e32 v103, 0x1fffff, v113
	s_delay_alu instid0(VALU_DEP_1) | instskip(NEXT) | instid1(VALU_DEP_3)
	v_add_nc_u32_e32 v113, v103, v116
                                        ; implicit-def: $vgpr103
	v_cmpx_ne_u32_e64 v114, v115
	s_xor_b32 s10, exec_lo, s10
; %bb.1548:                             ;   in Loop: Header=BB2_1329 Depth=2
	s_delay_alu instid0(VALU_DEP_2) | instskip(SKIP_1) | instid1(VALU_DEP_2)
	v_cmp_lt_u32_e64 s7, 0xffffff, v113
	v_sub_nc_u32_e32 v103, v114, v115
	v_cndmask_b32_e64 v114, 0, 1, s7
	s_delay_alu instid0(VALU_DEP_2) | instskip(NEXT) | instid1(VALU_DEP_2)
	v_add_co_ci_u32_e64 v103, s7, 0, v103, s7
	v_lshrrev_b32_e32 v113, v114, v113
; %bb.1549:                             ;   in Loop: Header=BB2_1329 Depth=2
	s_and_not1_saveexec_b32 s7, s10
; %bb.1550:                             ;   in Loop: Header=BB2_1329 Depth=2
	s_delay_alu instid0(VALU_DEP_1)
	v_bfe_u32 v103, v113, 23, 1
; %bb.1551:                             ;   in Loop: Header=BB2_1329 Depth=2
	s_or_b32 exec_lo, exec_lo, s7
	v_lshrrev_b32_e32 v113, 21, v113
	s_delay_alu instid0(VALU_DEP_2) | instskip(SKIP_2) | instid1(VALU_DEP_3)
	v_min_i32_e32 v114, 31, v103
	v_cmp_gt_i32_e64 s7, 32, v103
	v_lshrrev_b32_e32 v112, 24, v112
	v_lshlrev_b32_e32 v114, 2, v114
	s_delay_alu instid0(VALU_DEP_3) | instskip(NEXT) | instid1(VALU_DEP_3)
	v_cndmask_b32_e64 v113, 3, v113, s7
	v_and_b32_e32 v112, 0x80, v112
	s_delay_alu instid0(VALU_DEP_3) | instskip(NEXT) | instid1(VALU_DEP_3)
	v_and_b32_e32 v114, 0xfc, v114
	v_and_b32_e32 v115, 3, v113
	v_or_b32_e32 v103, v103, v113
	s_delay_alu instid0(VALU_DEP_2) | instskip(NEXT) | instid1(VALU_DEP_2)
	v_or3_b32 v112, v112, v114, v115
	v_cmp_ne_u32_e64 s7, 0, v103
	s_delay_alu instid0(VALU_DEP_2) | instskip(NEXT) | instid1(VALU_DEP_1)
	v_lshlrev_b32_e32 v112, 8, v112
	v_cndmask_b32_e64 v103, 0, v112, s7
.LBB2_1552:                             ;   in Loop: Header=BB2_1329 Depth=2
	s_or_b32 exec_lo, exec_lo, s24
.LBB2_1553:                             ;   in Loop: Header=BB2_1329 Depth=2
	s_delay_alu instid0(SALU_CYCLE_1) | instskip(SKIP_3) | instid1(VALU_DEP_1)
	s_or_b32 exec_lo, exec_lo, s23
	v_lshrrev_b32_e32 v113, 16, v17
	s_mov_b32 s10, 0
	s_mov_b32 s24, exec_lo
                                        ; implicit-def: $sgpr23
	v_and_b32_e32 v114, 0xff, v113
	s_delay_alu instid0(VALU_DEP_1)
	v_cmpx_lt_i16_e32 0x7f, v114
	s_xor_b32 s24, exec_lo, s24
	s_cbranch_execnz .LBB2_1695
; %bb.1554:                             ;   in Loop: Header=BB2_1329 Depth=2
	s_or_saveexec_b32 s24, s24
	v_mov_b32_e32 v112, s23
	s_xor_b32 exec_lo, exec_lo, s24
	s_cbranch_execnz .LBB2_1698
.LBB2_1555:                             ;   in Loop: Header=BB2_1329 Depth=2
	s_or_b32 exec_lo, exec_lo, s24
	s_and_saveexec_b32 s23, s10
	s_cbranch_execz .LBB2_1557
.LBB2_1556:                             ;   in Loop: Header=BB2_1329 Depth=2
	v_bfe_u32 v112, v17, 16, 2
	v_lshlrev_b32_e32 v116, 8, v17
	s_delay_alu instid0(VALU_DEP_2) | instskip(NEXT) | instid1(VALU_DEP_1)
	v_clz_i32_u32_e32 v114, v112
	v_min_u32_e32 v114, 32, v114
	s_delay_alu instid0(VALU_DEP_1) | instskip(SKIP_1) | instid1(VALU_DEP_2)
	v_subrev_nc_u32_e32 v115, 29, v114
	v_sub_nc_u32_e32 v114, 30, v114
	v_lshlrev_b32_e32 v113, v115, v113
	v_bfe_u32 v115, v17, 18, 5
	s_delay_alu instid0(VALU_DEP_2) | instskip(NEXT) | instid1(VALU_DEP_2)
	v_and_b32_e32 v113, 3, v113
	v_cmp_eq_u32_e64 s7, 0, v115
	s_delay_alu instid0(VALU_DEP_1) | instskip(NEXT) | instid1(VALU_DEP_3)
	v_cndmask_b32_e64 v114, v115, v114, s7
	v_cndmask_b32_e64 v112, v112, v113, s7
	v_and_b32_e32 v113, 0x80000000, v116
	s_delay_alu instid0(VALU_DEP_3) | instskip(NEXT) | instid1(VALU_DEP_3)
	v_lshl_add_u32 v114, v114, 23, 0x37800000
	v_lshlrev_b32_e32 v112, 21, v112
	s_delay_alu instid0(VALU_DEP_1)
	v_or3_b32 v112, v113, v114, v112
.LBB2_1557:                             ;   in Loop: Header=BB2_1329 Depth=2
	s_or_b32 exec_lo, exec_lo, s23
	v_lshrrev_b32_e32 v113, 16, v13
	s_mov_b32 s10, 0
	s_mov_b32 s24, exec_lo
                                        ; implicit-def: $sgpr23
	s_delay_alu instid0(VALU_DEP_1) | instskip(NEXT) | instid1(VALU_DEP_1)
	v_and_b32_e32 v115, 0xff, v113
	v_cmpx_lt_i16_e32 0x7f, v115
	s_xor_b32 s24, exec_lo, s24
	s_cbranch_execnz .LBB2_1699
; %bb.1558:                             ;   in Loop: Header=BB2_1329 Depth=2
	s_or_saveexec_b32 s24, s24
	v_mov_b32_e32 v114, s23
	s_xor_b32 exec_lo, exec_lo, s24
	s_cbranch_execnz .LBB2_1702
.LBB2_1559:                             ;   in Loop: Header=BB2_1329 Depth=2
	s_or_b32 exec_lo, exec_lo, s24
	s_and_saveexec_b32 s23, s10
	s_cbranch_execz .LBB2_1561
.LBB2_1560:                             ;   in Loop: Header=BB2_1329 Depth=2
	v_bfe_u32 v114, v13, 16, 2
	v_lshlrev_b32_e32 v117, 8, v13
	s_delay_alu instid0(VALU_DEP_2) | instskip(NEXT) | instid1(VALU_DEP_1)
	v_clz_i32_u32_e32 v115, v114
	v_min_u32_e32 v115, 32, v115
	s_delay_alu instid0(VALU_DEP_1) | instskip(SKIP_1) | instid1(VALU_DEP_2)
	v_subrev_nc_u32_e32 v116, 29, v115
	v_sub_nc_u32_e32 v115, 30, v115
	v_lshlrev_b32_e32 v113, v116, v113
	v_bfe_u32 v116, v13, 18, 5
	s_delay_alu instid0(VALU_DEP_2) | instskip(NEXT) | instid1(VALU_DEP_2)
	v_and_b32_e32 v113, 3, v113
	v_cmp_eq_u32_e64 s7, 0, v116
	s_delay_alu instid0(VALU_DEP_1) | instskip(NEXT) | instid1(VALU_DEP_3)
	v_cndmask_b32_e64 v115, v116, v115, s7
	v_cndmask_b32_e64 v113, v114, v113, s7
	v_and_b32_e32 v114, 0x80000000, v117
	s_delay_alu instid0(VALU_DEP_3) | instskip(NEXT) | instid1(VALU_DEP_3)
	v_lshl_add_u32 v115, v115, 23, 0x37800000
	v_lshlrev_b32_e32 v113, 21, v113
	s_delay_alu instid0(VALU_DEP_1)
	v_or3_b32 v114, v114, v115, v113
.LBB2_1561:                             ;   in Loop: Header=BB2_1329 Depth=2
	s_or_b32 exec_lo, exec_lo, s23
	s_delay_alu instid0(VALU_DEP_1) | instskip(NEXT) | instid1(VALU_DEP_1)
	v_mul_f32_e32 v113, v112, v114
	v_and_b32_e32 v112, 0x7f800000, v113
	s_delay_alu instid0(VALU_DEP_1) | instskip(SKIP_1) | instid1(VALU_DEP_2)
	v_cmp_ne_u32_e64 s7, 0x7f800000, v112
	v_mov_b32_e32 v112, 0x80
	s_and_saveexec_b32 s23, s7
	s_cbranch_execz .LBB2_1569
; %bb.1562:                             ;   in Loop: Header=BB2_1329 Depth=2
	v_mov_b32_e32 v112, 0
	s_mov_b32 s24, exec_lo
	v_cmpx_ne_u32_e32 0, v113
	s_cbranch_execz .LBB2_1568
; %bb.1563:                             ;   in Loop: Header=BB2_1329 Depth=2
	v_bfe_u32 v112, v113, 23, 8
	v_and_b32_e32 v114, 0x7fffff, v113
	s_delay_alu instid0(VALU_DEP_2) | instskip(SKIP_1) | instid1(VALU_DEP_3)
	v_sub_nc_u32_e32 v115, 0x70, v112
	v_cmp_gt_u32_e64 s7, 0x71, v112
	v_or_b32_e32 v116, 0x800000, v114
	s_delay_alu instid0(VALU_DEP_2) | instskip(SKIP_2) | instid1(VALU_DEP_2)
	v_cndmask_b32_e64 v115, 0, v115, s7
	v_cmp_eq_u32_e64 s7, 0, v112
	v_add_nc_u32_e32 v112, 0xffffff91, v112
	v_cndmask_b32_e64 v115, v115, 0x6f, s7
	v_cndmask_b32_e64 v114, v116, v114, s7
	s_delay_alu instid0(VALU_DEP_3) | instskip(NEXT) | instid1(VALU_DEP_3)
	v_cndmask_b32_e64 v112, v112, 0xffffff92, s7
	v_lshl_add_u32 v116, 0x200000, v115, -1
	s_delay_alu instid0(VALU_DEP_3) | instskip(SKIP_1) | instid1(VALU_DEP_4)
	v_lshrrev_b32_e32 v117, v115, v114
	v_lshlrev_b32_e64 v119, v115, 0x100000
	v_add_nc_u32_e32 v115, v115, v112
	s_delay_alu instid0(VALU_DEP_4) | instskip(NEXT) | instid1(VALU_DEP_4)
	v_and_b32_e32 v114, v116, v114
	v_bfe_u32 v118, v117, 21, 1
	s_delay_alu instid0(VALU_DEP_2) | instskip(NEXT) | instid1(VALU_DEP_2)
	v_cmp_eq_u32_e64 s10, v114, v119
	v_add_nc_u32_e32 v116, -1, v118
	s_delay_alu instid0(VALU_DEP_1) | instskip(SKIP_2) | instid1(VALU_DEP_2)
	v_cndmask_b32_e64 v114, 0, v116, s10
	v_lshrrev_b32_e32 v116, 23, v117
	s_mov_b32 s10, exec_lo
	v_add_nc_u32_e32 v114, v114, v117
	s_delay_alu instid0(VALU_DEP_2) | instskip(NEXT) | instid1(VALU_DEP_2)
	v_xor_b32_e32 v116, 1, v116
	v_and_b32_e32 v112, 0x1fffff, v114
	s_delay_alu instid0(VALU_DEP_1) | instskip(NEXT) | instid1(VALU_DEP_3)
	v_add_nc_u32_e32 v114, v112, v117
                                        ; implicit-def: $vgpr112
	v_cmpx_ne_u32_e64 v115, v116
	s_xor_b32 s10, exec_lo, s10
; %bb.1564:                             ;   in Loop: Header=BB2_1329 Depth=2
	s_delay_alu instid0(VALU_DEP_2) | instskip(SKIP_1) | instid1(VALU_DEP_2)
	v_cmp_lt_u32_e64 s7, 0xffffff, v114
	v_sub_nc_u32_e32 v112, v115, v116
	v_cndmask_b32_e64 v115, 0, 1, s7
	s_delay_alu instid0(VALU_DEP_2) | instskip(NEXT) | instid1(VALU_DEP_2)
	v_add_co_ci_u32_e64 v112, s7, 0, v112, s7
	v_lshrrev_b32_e32 v114, v115, v114
; %bb.1565:                             ;   in Loop: Header=BB2_1329 Depth=2
	s_and_not1_saveexec_b32 s7, s10
; %bb.1566:                             ;   in Loop: Header=BB2_1329 Depth=2
	s_delay_alu instid0(VALU_DEP_1)
	v_bfe_u32 v112, v114, 23, 1
; %bb.1567:                             ;   in Loop: Header=BB2_1329 Depth=2
	s_or_b32 exec_lo, exec_lo, s7
	v_lshrrev_b32_e32 v114, 21, v114
	s_delay_alu instid0(VALU_DEP_2) | instskip(SKIP_2) | instid1(VALU_DEP_3)
	v_min_i32_e32 v115, 31, v112
	v_cmp_gt_i32_e64 s7, 32, v112
	v_lshrrev_b32_e32 v113, 24, v113
	v_lshlrev_b32_e32 v115, 2, v115
	s_delay_alu instid0(VALU_DEP_3) | instskip(NEXT) | instid1(VALU_DEP_3)
	v_cndmask_b32_e64 v114, 3, v114, s7
	v_and_b32_e32 v113, 0x80, v113
	s_delay_alu instid0(VALU_DEP_3) | instskip(NEXT) | instid1(VALU_DEP_3)
	v_and_b32_e32 v115, 0xfc, v115
	v_and_b32_e32 v116, 3, v114
	v_or_b32_e32 v112, v112, v114
	s_delay_alu instid0(VALU_DEP_2) | instskip(NEXT) | instid1(VALU_DEP_2)
	v_or3_b32 v113, v115, v113, v116
	v_cmp_ne_u32_e64 s7, 0, v112
	s_delay_alu instid0(VALU_DEP_1)
	v_cndmask_b32_e64 v112, 0, v113, s7
.LBB2_1568:                             ;   in Loop: Header=BB2_1329 Depth=2
	s_or_b32 exec_lo, exec_lo, s24
.LBB2_1569:                             ;   in Loop: Header=BB2_1329 Depth=2
	s_delay_alu instid0(SALU_CYCLE_1) | instskip(SKIP_3) | instid1(VALU_DEP_1)
	s_or_b32 exec_lo, exec_lo, s23
	v_lshrrev_b32_e32 v114, 24, v17
	s_mov_b32 s10, 0
	s_mov_b32 s24, exec_lo
                                        ; implicit-def: $sgpr23
	v_cmpx_lt_i16_e32 0x7f, v114
	s_xor_b32 s24, exec_lo, s24
	s_cbranch_execnz .LBB2_1703
; %bb.1570:                             ;   in Loop: Header=BB2_1329 Depth=2
	s_or_saveexec_b32 s24, s24
	v_mov_b32_e32 v113, s23
	s_xor_b32 exec_lo, exec_lo, s24
	s_cbranch_execnz .LBB2_1706
.LBB2_1571:                             ;   in Loop: Header=BB2_1329 Depth=2
	s_or_b32 exec_lo, exec_lo, s24
	s_and_saveexec_b32 s23, s10
	s_cbranch_execz .LBB2_1573
.LBB2_1572:                             ;   in Loop: Header=BB2_1329 Depth=2
	v_bfe_u32 v113, v17, 24, 2
	s_delay_alu instid0(VALU_DEP_1) | instskip(NEXT) | instid1(VALU_DEP_1)
	v_clz_i32_u32_e32 v115, v113
	v_min_u32_e32 v115, 32, v115
	s_delay_alu instid0(VALU_DEP_1) | instskip(SKIP_1) | instid1(VALU_DEP_2)
	v_subrev_nc_u32_e32 v116, 29, v115
	v_sub_nc_u32_e32 v115, 30, v115
	v_lshlrev_b32_e32 v114, v116, v114
	v_bfe_u32 v116, v17, 26, 5
	v_and_b32_e32 v17, 0x80000000, v17
	s_delay_alu instid0(VALU_DEP_3) | instskip(NEXT) | instid1(VALU_DEP_3)
	v_and_b32_e32 v114, 3, v114
	v_cmp_eq_u32_e64 s7, 0, v116
	s_delay_alu instid0(VALU_DEP_1) | instskip(NEXT) | instid1(VALU_DEP_3)
	v_cndmask_b32_e64 v115, v116, v115, s7
	v_cndmask_b32_e64 v113, v113, v114, s7
	s_delay_alu instid0(VALU_DEP_2) | instskip(NEXT) | instid1(VALU_DEP_2)
	v_lshl_add_u32 v114, v115, 23, 0x37800000
	v_lshlrev_b32_e32 v113, 21, v113
	s_delay_alu instid0(VALU_DEP_1)
	v_or3_b32 v113, v17, v114, v113
.LBB2_1573:                             ;   in Loop: Header=BB2_1329 Depth=2
	s_or_b32 exec_lo, exec_lo, s23
	v_lshrrev_b32_e32 v17, 24, v13
	s_mov_b32 s10, 0
	s_mov_b32 s24, exec_lo
                                        ; implicit-def: $sgpr23
	s_delay_alu instid0(VALU_DEP_1)
	v_cmpx_lt_i16_e32 0x7f, v17
	s_xor_b32 s24, exec_lo, s24
	s_cbranch_execnz .LBB2_1707
; %bb.1574:                             ;   in Loop: Header=BB2_1329 Depth=2
	s_or_saveexec_b32 s24, s24
	v_mov_b32_e32 v114, s23
	s_xor_b32 exec_lo, exec_lo, s24
	s_cbranch_execnz .LBB2_1710
.LBB2_1575:                             ;   in Loop: Header=BB2_1329 Depth=2
	s_or_b32 exec_lo, exec_lo, s24
	s_and_saveexec_b32 s23, s10
	s_cbranch_execz .LBB2_1577
.LBB2_1576:                             ;   in Loop: Header=BB2_1329 Depth=2
	v_bfe_u32 v114, v13, 24, 2
	s_delay_alu instid0(VALU_DEP_1) | instskip(NEXT) | instid1(VALU_DEP_1)
	v_clz_i32_u32_e32 v115, v114
	v_min_u32_e32 v115, 32, v115
	s_delay_alu instid0(VALU_DEP_1) | instskip(SKIP_1) | instid1(VALU_DEP_2)
	v_subrev_nc_u32_e32 v116, 29, v115
	v_sub_nc_u32_e32 v115, 30, v115
	v_lshlrev_b32_e32 v17, v116, v17
	v_bfe_u32 v116, v13, 26, 5
	v_and_b32_e32 v13, 0x80000000, v13
	s_delay_alu instid0(VALU_DEP_3) | instskip(NEXT) | instid1(VALU_DEP_3)
	v_and_b32_e32 v17, 3, v17
	v_cmp_eq_u32_e64 s7, 0, v116
	s_delay_alu instid0(VALU_DEP_1) | instskip(NEXT) | instid1(VALU_DEP_3)
	v_cndmask_b32_e64 v115, v116, v115, s7
	v_cndmask_b32_e64 v17, v114, v17, s7
	s_delay_alu instid0(VALU_DEP_2) | instskip(NEXT) | instid1(VALU_DEP_2)
	v_lshl_add_u32 v114, v115, 23, 0x37800000
	v_lshlrev_b32_e32 v17, 21, v17
	s_delay_alu instid0(VALU_DEP_1)
	v_or3_b32 v114, v13, v114, v17
.LBB2_1577:                             ;   in Loop: Header=BB2_1329 Depth=2
	s_or_b32 exec_lo, exec_lo, s23
	s_delay_alu instid0(VALU_DEP_1) | instskip(NEXT) | instid1(VALU_DEP_1)
	v_mul_f32_e32 v13, v113, v114
	v_and_b32_e32 v17, 0x7f800000, v13
	s_delay_alu instid0(VALU_DEP_1) | instskip(SKIP_1) | instid1(VALU_DEP_2)
	v_cmp_ne_u32_e64 s7, 0x7f800000, v17
	v_mov_b32_e32 v17, 0x8000
	s_and_saveexec_b32 s23, s7
	s_cbranch_execz .LBB2_1328
; %bb.1578:                             ;   in Loop: Header=BB2_1329 Depth=2
	v_mov_b32_e32 v17, 0
	s_mov_b32 s24, exec_lo
	v_cmpx_ne_u32_e32 0, v13
	s_cbranch_execz .LBB2_1327
; %bb.1579:                             ;   in Loop: Header=BB2_1329 Depth=2
	v_bfe_u32 v17, v13, 23, 8
	v_and_b32_e32 v113, 0x7fffff, v13
	s_delay_alu instid0(VALU_DEP_2) | instskip(SKIP_1) | instid1(VALU_DEP_3)
	v_sub_nc_u32_e32 v114, 0x70, v17
	v_cmp_gt_u32_e64 s7, 0x71, v17
	v_or_b32_e32 v115, 0x800000, v113
	s_delay_alu instid0(VALU_DEP_2) | instskip(SKIP_2) | instid1(VALU_DEP_2)
	v_cndmask_b32_e64 v114, 0, v114, s7
	v_cmp_eq_u32_e64 s7, 0, v17
	v_add_nc_u32_e32 v17, 0xffffff91, v17
	v_cndmask_b32_e64 v114, v114, 0x6f, s7
	v_cndmask_b32_e64 v113, v115, v113, s7
	s_delay_alu instid0(VALU_DEP_3) | instskip(NEXT) | instid1(VALU_DEP_3)
	v_cndmask_b32_e64 v17, v17, 0xffffff92, s7
	v_lshl_add_u32 v115, 0x200000, v114, -1
	s_delay_alu instid0(VALU_DEP_3) | instskip(SKIP_1) | instid1(VALU_DEP_4)
	v_lshrrev_b32_e32 v116, v114, v113
	v_lshlrev_b32_e64 v118, v114, 0x100000
	v_add_nc_u32_e32 v114, v114, v17
	s_delay_alu instid0(VALU_DEP_4) | instskip(NEXT) | instid1(VALU_DEP_4)
	v_and_b32_e32 v113, v115, v113
	v_bfe_u32 v117, v116, 21, 1
	s_delay_alu instid0(VALU_DEP_2) | instskip(NEXT) | instid1(VALU_DEP_2)
	v_cmp_eq_u32_e64 s10, v113, v118
	v_add_nc_u32_e32 v115, -1, v117
	s_delay_alu instid0(VALU_DEP_1) | instskip(SKIP_2) | instid1(VALU_DEP_2)
	v_cndmask_b32_e64 v113, 0, v115, s10
	v_lshrrev_b32_e32 v115, 23, v116
	s_mov_b32 s10, exec_lo
	v_add_nc_u32_e32 v113, v113, v116
	s_delay_alu instid0(VALU_DEP_2) | instskip(NEXT) | instid1(VALU_DEP_2)
	v_xor_b32_e32 v115, 1, v115
	v_and_b32_e32 v17, 0x1fffff, v113
	s_delay_alu instid0(VALU_DEP_1) | instskip(NEXT) | instid1(VALU_DEP_3)
	v_add_nc_u32_e32 v113, v17, v116
                                        ; implicit-def: $vgpr17
	v_cmpx_ne_u32_e64 v114, v115
	s_xor_b32 s10, exec_lo, s10
; %bb.1580:                             ;   in Loop: Header=BB2_1329 Depth=2
	s_delay_alu instid0(VALU_DEP_2) | instskip(SKIP_1) | instid1(VALU_DEP_2)
	v_cmp_lt_u32_e64 s7, 0xffffff, v113
	v_sub_nc_u32_e32 v17, v114, v115
	v_cndmask_b32_e64 v114, 0, 1, s7
	s_delay_alu instid0(VALU_DEP_2) | instskip(NEXT) | instid1(VALU_DEP_2)
	v_add_co_ci_u32_e64 v17, s7, 0, v17, s7
	v_lshrrev_b32_e32 v113, v114, v113
; %bb.1581:                             ;   in Loop: Header=BB2_1329 Depth=2
	s_and_not1_saveexec_b32 s7, s10
	s_cbranch_execz .LBB2_1326
; %bb.1582:                             ;   in Loop: Header=BB2_1329 Depth=2
	s_delay_alu instid0(VALU_DEP_1)
	v_bfe_u32 v17, v113, 23, 1
	s_branch .LBB2_1326
.LBB2_1583:                             ;   in Loop: Header=BB2_1329 Depth=2
	s_mov_b32 s10, -1
	s_mov_b32 s25, exec_lo
                                        ; implicit-def: $sgpr23
	v_cmpx_eq_u16_e32 0x80, v97
; %bb.1584:                             ;   in Loop: Header=BB2_1329 Depth=2
	s_mov_b32 s23, 0x7f800001
	s_xor_b32 s10, exec_lo, -1
; %bb.1585:                             ;   in Loop: Header=BB2_1329 Depth=2
	s_or_b32 exec_lo, exec_lo, s25
	s_delay_alu instid0(SALU_CYCLE_1)
	s_and_b32 s10, s10, exec_lo
                                        ; implicit-def: $vgpr97
	s_or_saveexec_b32 s24, s24
	v_mov_b32_e32 v86, s23
	s_xor_b32 exec_lo, exec_lo, s24
	s_cbranch_execz .LBB2_1331
.LBB2_1586:                             ;   in Loop: Header=BB2_1329 Depth=2
	v_cmp_ne_u16_e64 s7, 0, v97
	v_mov_b32_e32 v86, 0
	s_and_not1_b32 s10, s10, exec_lo
	s_delay_alu instid0(VALU_DEP_2) | instskip(NEXT) | instid1(SALU_CYCLE_1)
	s_and_b32 s7, s7, exec_lo
	s_or_b32 s10, s10, s7
	s_or_b32 exec_lo, exec_lo, s24
	s_and_saveexec_b32 s23, s10
	s_cbranch_execnz .LBB2_1332
	s_branch .LBB2_1333
.LBB2_1587:                             ;   in Loop: Header=BB2_1329 Depth=2
	s_mov_b32 s10, -1
	s_mov_b32 s25, exec_lo
                                        ; implicit-def: $sgpr23
	v_cmpx_eq_u16_e32 0x80, v98
; %bb.1588:                             ;   in Loop: Header=BB2_1329 Depth=2
	s_mov_b32 s23, 0x7f800001
	s_xor_b32 s10, exec_lo, -1
; %bb.1589:                             ;   in Loop: Header=BB2_1329 Depth=2
	s_or_b32 exec_lo, exec_lo, s25
	s_delay_alu instid0(SALU_CYCLE_1)
	s_and_b32 s10, s10, exec_lo
                                        ; implicit-def: $vgpr98
	s_or_saveexec_b32 s24, s24
	v_mov_b32_e32 v97, s23
	s_xor_b32 exec_lo, exec_lo, s24
	s_cbranch_execz .LBB2_1335
.LBB2_1590:                             ;   in Loop: Header=BB2_1329 Depth=2
	v_cmp_ne_u16_e64 s7, 0, v98
	v_mov_b32_e32 v97, 0
	s_and_not1_b32 s10, s10, exec_lo
	s_delay_alu instid0(VALU_DEP_2) | instskip(NEXT) | instid1(SALU_CYCLE_1)
	s_and_b32 s7, s7, exec_lo
	s_or_b32 s10, s10, s7
	s_or_b32 exec_lo, exec_lo, s24
	s_and_saveexec_b32 s23, s10
	s_cbranch_execnz .LBB2_1336
	s_branch .LBB2_1337
.LBB2_1591:                             ;   in Loop: Header=BB2_1329 Depth=2
	s_mov_b32 s10, -1
	s_mov_b32 s25, exec_lo
                                        ; implicit-def: $sgpr23
	v_cmpx_eq_u16_e32 0x80, v98
; %bb.1592:                             ;   in Loop: Header=BB2_1329 Depth=2
	s_mov_b32 s23, 0x7f800001
	s_xor_b32 s10, exec_lo, -1
; %bb.1593:                             ;   in Loop: Header=BB2_1329 Depth=2
	s_or_b32 exec_lo, exec_lo, s25
	s_delay_alu instid0(SALU_CYCLE_1)
	s_and_b32 s10, s10, exec_lo
	s_or_saveexec_b32 s24, s24
	v_mov_b32_e32 v97, s23
	s_xor_b32 exec_lo, exec_lo, s24
	s_cbranch_execz .LBB2_1347
.LBB2_1594:                             ;   in Loop: Header=BB2_1329 Depth=2
	v_cmp_ne_u16_e64 s7, 0, v98
	v_mov_b32_e32 v97, 0
	s_and_not1_b32 s10, s10, exec_lo
	s_delay_alu instid0(VALU_DEP_2) | instskip(NEXT) | instid1(SALU_CYCLE_1)
	s_and_b32 s7, s7, exec_lo
	s_or_b32 s10, s10, s7
	s_or_b32 exec_lo, exec_lo, s24
	s_and_saveexec_b32 s23, s10
	s_cbranch_execnz .LBB2_1348
	s_branch .LBB2_1349
.LBB2_1595:                             ;   in Loop: Header=BB2_1329 Depth=2
	s_mov_b32 s10, -1
	s_mov_b32 s25, exec_lo
                                        ; implicit-def: $sgpr23
	v_cmpx_eq_u16_e32 0x80, v98
; %bb.1596:                             ;   in Loop: Header=BB2_1329 Depth=2
	s_mov_b32 s23, 0x7f800001
	s_xor_b32 s10, exec_lo, -1
; %bb.1597:                             ;   in Loop: Header=BB2_1329 Depth=2
	s_or_b32 exec_lo, exec_lo, s25
	s_delay_alu instid0(SALU_CYCLE_1)
	s_and_b32 s10, s10, exec_lo
	s_or_saveexec_b32 s24, s24
	v_mov_b32_e32 v99, s23
	s_xor_b32 exec_lo, exec_lo, s24
	s_cbranch_execz .LBB2_1351
.LBB2_1598:                             ;   in Loop: Header=BB2_1329 Depth=2
	v_cmp_ne_u16_e64 s7, 0, v98
	v_mov_b32_e32 v99, 0
	s_and_not1_b32 s10, s10, exec_lo
	s_delay_alu instid0(VALU_DEP_2) | instskip(NEXT) | instid1(SALU_CYCLE_1)
	s_and_b32 s7, s7, exec_lo
	s_or_b32 s10, s10, s7
	s_or_b32 exec_lo, exec_lo, s24
	s_and_saveexec_b32 s23, s10
	s_cbranch_execnz .LBB2_1352
	s_branch .LBB2_1353
.LBB2_1599:                             ;   in Loop: Header=BB2_1329 Depth=2
	s_mov_b32 s10, -1
	s_mov_b32 s25, exec_lo
                                        ; implicit-def: $sgpr23
	v_cmpx_eq_u16_e32 0x80, v100
; %bb.1600:                             ;   in Loop: Header=BB2_1329 Depth=2
	s_mov_b32 s23, 0x7f800001
	s_xor_b32 s10, exec_lo, -1
; %bb.1601:                             ;   in Loop: Header=BB2_1329 Depth=2
	s_or_b32 exec_lo, exec_lo, s25
	s_delay_alu instid0(SALU_CYCLE_1)
	s_and_b32 s10, s10, exec_lo
                                        ; implicit-def: $vgpr100
	s_or_saveexec_b32 s24, s24
	v_mov_b32_e32 v98, s23
	s_xor_b32 exec_lo, exec_lo, s24
	s_cbranch_execz .LBB2_1363
.LBB2_1602:                             ;   in Loop: Header=BB2_1329 Depth=2
	v_cmp_ne_u16_e64 s7, 0, v100
	v_mov_b32_e32 v98, 0
	s_and_not1_b32 s10, s10, exec_lo
	s_delay_alu instid0(VALU_DEP_2) | instskip(NEXT) | instid1(SALU_CYCLE_1)
	s_and_b32 s7, s7, exec_lo
	s_or_b32 s10, s10, s7
	s_or_b32 exec_lo, exec_lo, s24
	s_and_saveexec_b32 s23, s10
	s_cbranch_execnz .LBB2_1364
	s_branch .LBB2_1365
.LBB2_1603:                             ;   in Loop: Header=BB2_1329 Depth=2
	s_mov_b32 s10, -1
	s_mov_b32 s25, exec_lo
                                        ; implicit-def: $sgpr23
	v_cmpx_eq_u16_e32 0x80, v101
; %bb.1604:                             ;   in Loop: Header=BB2_1329 Depth=2
	s_mov_b32 s23, 0x7f800001
	s_xor_b32 s10, exec_lo, -1
; %bb.1605:                             ;   in Loop: Header=BB2_1329 Depth=2
	s_or_b32 exec_lo, exec_lo, s25
	s_delay_alu instid0(SALU_CYCLE_1)
	s_and_b32 s10, s10, exec_lo
                                        ; implicit-def: $vgpr101
	s_or_saveexec_b32 s24, s24
	v_mov_b32_e32 v100, s23
	s_xor_b32 exec_lo, exec_lo, s24
	s_cbranch_execz .LBB2_1367
.LBB2_1606:                             ;   in Loop: Header=BB2_1329 Depth=2
	v_cmp_ne_u16_e64 s7, 0, v101
	v_mov_b32_e32 v100, 0
	s_and_not1_b32 s10, s10, exec_lo
	s_delay_alu instid0(VALU_DEP_2) | instskip(NEXT) | instid1(SALU_CYCLE_1)
	s_and_b32 s7, s7, exec_lo
	s_or_b32 s10, s10, s7
	s_or_b32 exec_lo, exec_lo, s24
	s_and_saveexec_b32 s23, s10
	s_cbranch_execnz .LBB2_1368
	s_branch .LBB2_1369
.LBB2_1607:                             ;   in Loop: Header=BB2_1329 Depth=2
	s_mov_b32 s10, -1
	s_mov_b32 s25, exec_lo
                                        ; implicit-def: $sgpr23
	v_cmpx_eq_u16_e32 0x80, v100
; %bb.1608:                             ;   in Loop: Header=BB2_1329 Depth=2
	s_mov_b32 s23, 0x7f800001
	s_xor_b32 s10, exec_lo, -1
; %bb.1609:                             ;   in Loop: Header=BB2_1329 Depth=2
	s_or_b32 exec_lo, exec_lo, s25
	s_delay_alu instid0(SALU_CYCLE_1)
	s_and_b32 s10, s10, exec_lo
	s_or_saveexec_b32 s24, s24
	v_mov_b32_e32 v99, s23
	s_xor_b32 exec_lo, exec_lo, s24
	s_cbranch_execz .LBB2_1379
.LBB2_1610:                             ;   in Loop: Header=BB2_1329 Depth=2
	v_cmp_ne_u16_e64 s7, 0, v100
	v_mov_b32_e32 v99, 0
	s_and_not1_b32 s10, s10, exec_lo
	s_delay_alu instid0(VALU_DEP_2) | instskip(NEXT) | instid1(SALU_CYCLE_1)
	s_and_b32 s7, s7, exec_lo
	s_or_b32 s10, s10, s7
	s_or_b32 exec_lo, exec_lo, s24
	s_and_saveexec_b32 s23, s10
	s_cbranch_execnz .LBB2_1380
	s_branch .LBB2_1381
.LBB2_1611:                             ;   in Loop: Header=BB2_1329 Depth=2
	s_mov_b32 s10, -1
	s_mov_b32 s25, exec_lo
                                        ; implicit-def: $sgpr23
	v_cmpx_eq_u16_e32 0x80, v14
; %bb.1612:                             ;   in Loop: Header=BB2_1329 Depth=2
	s_mov_b32 s23, 0x7f800001
	s_xor_b32 s10, exec_lo, -1
; %bb.1613:                             ;   in Loop: Header=BB2_1329 Depth=2
	s_or_b32 exec_lo, exec_lo, s25
	s_delay_alu instid0(SALU_CYCLE_1)
	s_and_b32 s10, s10, exec_lo
	s_or_saveexec_b32 s24, s24
	v_mov_b32_e32 v100, s23
	s_xor_b32 exec_lo, exec_lo, s24
	s_cbranch_execz .LBB2_1383
.LBB2_1614:                             ;   in Loop: Header=BB2_1329 Depth=2
	v_cmp_ne_u16_e64 s7, 0, v14
	v_mov_b32_e32 v100, 0
	s_and_not1_b32 s10, s10, exec_lo
	s_delay_alu instid0(VALU_DEP_2) | instskip(NEXT) | instid1(SALU_CYCLE_1)
	s_and_b32 s7, s7, exec_lo
	s_or_b32 s10, s10, s7
	s_or_b32 exec_lo, exec_lo, s24
	s_and_saveexec_b32 s23, s10
	s_cbranch_execnz .LBB2_1384
	s_branch .LBB2_1385
.LBB2_1615:                             ;   in Loop: Header=BB2_1329 Depth=2
	s_mov_b32 s10, -1
	s_mov_b32 s25, exec_lo
                                        ; implicit-def: $sgpr23
	v_cmpx_eq_u16_e32 0x80, v99
; %bb.1616:                             ;   in Loop: Header=BB2_1329 Depth=2
	s_mov_b32 s23, 0x7f800001
	s_xor_b32 s10, exec_lo, -1
; %bb.1617:                             ;   in Loop: Header=BB2_1329 Depth=2
	s_or_b32 exec_lo, exec_lo, s25
	s_delay_alu instid0(SALU_CYCLE_1)
	s_and_b32 s10, s10, exec_lo
                                        ; implicit-def: $vgpr99
	s_or_saveexec_b32 s24, s24
	v_mov_b32_e32 v14, s23
	s_xor_b32 exec_lo, exec_lo, s24
	s_cbranch_execz .LBB2_1395
.LBB2_1618:                             ;   in Loop: Header=BB2_1329 Depth=2
	v_cmp_ne_u16_e64 s7, 0, v99
	v_mov_b32_e32 v14, 0
	s_and_not1_b32 s10, s10, exec_lo
	s_delay_alu instid0(VALU_DEP_2) | instskip(NEXT) | instid1(SALU_CYCLE_1)
	s_and_b32 s7, s7, exec_lo
	s_or_b32 s10, s10, s7
	s_or_b32 exec_lo, exec_lo, s24
	s_and_saveexec_b32 s23, s10
	s_cbranch_execnz .LBB2_1396
	s_branch .LBB2_1397
.LBB2_1619:                             ;   in Loop: Header=BB2_1329 Depth=2
	s_mov_b32 s10, -1
	s_mov_b32 s25, exec_lo
                                        ; implicit-def: $sgpr23
	v_cmpx_eq_u16_e32 0x80, v100
; %bb.1620:                             ;   in Loop: Header=BB2_1329 Depth=2
	s_mov_b32 s23, 0x7f800001
	s_xor_b32 s10, exec_lo, -1
; %bb.1621:                             ;   in Loop: Header=BB2_1329 Depth=2
	s_or_b32 exec_lo, exec_lo, s25
	s_delay_alu instid0(SALU_CYCLE_1)
	s_and_b32 s10, s10, exec_lo
                                        ; implicit-def: $vgpr100
	s_or_saveexec_b32 s24, s24
	v_mov_b32_e32 v99, s23
	s_xor_b32 exec_lo, exec_lo, s24
	s_cbranch_execz .LBB2_1399
.LBB2_1622:                             ;   in Loop: Header=BB2_1329 Depth=2
	v_cmp_ne_u16_e64 s7, 0, v100
	v_mov_b32_e32 v99, 0
	s_and_not1_b32 s10, s10, exec_lo
	s_delay_alu instid0(VALU_DEP_2) | instskip(NEXT) | instid1(SALU_CYCLE_1)
	s_and_b32 s7, s7, exec_lo
	s_or_b32 s10, s10, s7
	s_or_b32 exec_lo, exec_lo, s24
	s_and_saveexec_b32 s23, s10
	s_cbranch_execnz .LBB2_1400
	s_branch .LBB2_1401
.LBB2_1623:                             ;   in Loop: Header=BB2_1329 Depth=2
	s_mov_b32 s10, -1
	s_mov_b32 s25, exec_lo
                                        ; implicit-def: $sgpr23
	v_cmpx_eq_u16_e32 0x80, v100
; %bb.1624:                             ;   in Loop: Header=BB2_1329 Depth=2
	s_mov_b32 s23, 0x7f800001
	s_xor_b32 s10, exec_lo, -1
; %bb.1625:                             ;   in Loop: Header=BB2_1329 Depth=2
	s_or_b32 exec_lo, exec_lo, s25
	s_delay_alu instid0(SALU_CYCLE_1)
	s_and_b32 s10, s10, exec_lo
	s_or_saveexec_b32 s24, s24
	v_mov_b32_e32 v99, s23
	s_xor_b32 exec_lo, exec_lo, s24
	s_cbranch_execz .LBB2_1411
.LBB2_1626:                             ;   in Loop: Header=BB2_1329 Depth=2
	v_cmp_ne_u16_e64 s7, 0, v100
	v_mov_b32_e32 v99, 0
	s_and_not1_b32 s10, s10, exec_lo
	s_delay_alu instid0(VALU_DEP_2) | instskip(NEXT) | instid1(SALU_CYCLE_1)
	s_and_b32 s7, s7, exec_lo
	s_or_b32 s10, s10, s7
	s_or_b32 exec_lo, exec_lo, s24
	s_and_saveexec_b32 s23, s10
	s_cbranch_execnz .LBB2_1412
	s_branch .LBB2_1413
.LBB2_1627:                             ;   in Loop: Header=BB2_1329 Depth=2
	s_mov_b32 s10, -1
	s_mov_b32 s25, exec_lo
                                        ; implicit-def: $sgpr23
	v_cmpx_eq_u16_e32 0x80, v100
; %bb.1628:                             ;   in Loop: Header=BB2_1329 Depth=2
	s_mov_b32 s23, 0x7f800001
	s_xor_b32 s10, exec_lo, -1
; %bb.1629:                             ;   in Loop: Header=BB2_1329 Depth=2
	s_or_b32 exec_lo, exec_lo, s25
	s_delay_alu instid0(SALU_CYCLE_1)
	s_and_b32 s10, s10, exec_lo
	s_or_saveexec_b32 s24, s24
	v_mov_b32_e32 v101, s23
	s_xor_b32 exec_lo, exec_lo, s24
	s_cbranch_execz .LBB2_1415
.LBB2_1630:                             ;   in Loop: Header=BB2_1329 Depth=2
	v_cmp_ne_u16_e64 s7, 0, v100
	v_mov_b32_e32 v101, 0
	s_and_not1_b32 s10, s10, exec_lo
	s_delay_alu instid0(VALU_DEP_2) | instskip(NEXT) | instid1(SALU_CYCLE_1)
	s_and_b32 s7, s7, exec_lo
	s_or_b32 s10, s10, s7
	s_or_b32 exec_lo, exec_lo, s24
	s_and_saveexec_b32 s23, s10
	s_cbranch_execnz .LBB2_1416
	s_branch .LBB2_1417
.LBB2_1631:                             ;   in Loop: Header=BB2_1329 Depth=2
	s_mov_b32 s10, -1
	s_mov_b32 s25, exec_lo
                                        ; implicit-def: $sgpr23
	v_cmpx_eq_u16_e32 0x80, v102
; %bb.1632:                             ;   in Loop: Header=BB2_1329 Depth=2
	s_mov_b32 s23, 0x7f800001
	s_xor_b32 s10, exec_lo, -1
; %bb.1633:                             ;   in Loop: Header=BB2_1329 Depth=2
	s_or_b32 exec_lo, exec_lo, s25
	s_delay_alu instid0(SALU_CYCLE_1)
	s_and_b32 s10, s10, exec_lo
                                        ; implicit-def: $vgpr102
	s_or_saveexec_b32 s24, s24
	v_mov_b32_e32 v100, s23
	s_xor_b32 exec_lo, exec_lo, s24
	s_cbranch_execz .LBB2_1427
.LBB2_1634:                             ;   in Loop: Header=BB2_1329 Depth=2
	v_cmp_ne_u16_e64 s7, 0, v102
	v_mov_b32_e32 v100, 0
	s_and_not1_b32 s10, s10, exec_lo
	s_delay_alu instid0(VALU_DEP_2) | instskip(NEXT) | instid1(SALU_CYCLE_1)
	s_and_b32 s7, s7, exec_lo
	s_or_b32 s10, s10, s7
	s_or_b32 exec_lo, exec_lo, s24
	s_and_saveexec_b32 s23, s10
	s_cbranch_execnz .LBB2_1428
	s_branch .LBB2_1429
.LBB2_1635:                             ;   in Loop: Header=BB2_1329 Depth=2
	s_mov_b32 s10, -1
	s_mov_b32 s25, exec_lo
                                        ; implicit-def: $sgpr23
	v_cmpx_eq_u16_e32 0x80, v103
; %bb.1636:                             ;   in Loop: Header=BB2_1329 Depth=2
	s_mov_b32 s23, 0x7f800001
	s_xor_b32 s10, exec_lo, -1
; %bb.1637:                             ;   in Loop: Header=BB2_1329 Depth=2
	s_or_b32 exec_lo, exec_lo, s25
	s_delay_alu instid0(SALU_CYCLE_1)
	s_and_b32 s10, s10, exec_lo
                                        ; implicit-def: $vgpr103
	s_or_saveexec_b32 s24, s24
	v_mov_b32_e32 v102, s23
	s_xor_b32 exec_lo, exec_lo, s24
	s_cbranch_execz .LBB2_1431
.LBB2_1638:                             ;   in Loop: Header=BB2_1329 Depth=2
	v_cmp_ne_u16_e64 s7, 0, v103
	v_mov_b32_e32 v102, 0
	s_and_not1_b32 s10, s10, exec_lo
	s_delay_alu instid0(VALU_DEP_2) | instskip(NEXT) | instid1(SALU_CYCLE_1)
	s_and_b32 s7, s7, exec_lo
	s_or_b32 s10, s10, s7
	s_or_b32 exec_lo, exec_lo, s24
	s_and_saveexec_b32 s23, s10
	s_cbranch_execnz .LBB2_1432
	s_branch .LBB2_1433
.LBB2_1639:                             ;   in Loop: Header=BB2_1329 Depth=2
	s_mov_b32 s10, -1
	s_mov_b32 s25, exec_lo
                                        ; implicit-def: $sgpr23
	v_cmpx_eq_u16_e32 0x80, v102
; %bb.1640:                             ;   in Loop: Header=BB2_1329 Depth=2
	s_mov_b32 s23, 0x7f800001
	s_xor_b32 s10, exec_lo, -1
; %bb.1641:                             ;   in Loop: Header=BB2_1329 Depth=2
	s_or_b32 exec_lo, exec_lo, s25
	s_delay_alu instid0(SALU_CYCLE_1)
	s_and_b32 s10, s10, exec_lo
	s_or_saveexec_b32 s24, s24
	v_mov_b32_e32 v101, s23
	s_xor_b32 exec_lo, exec_lo, s24
	s_cbranch_execz .LBB2_1443
.LBB2_1642:                             ;   in Loop: Header=BB2_1329 Depth=2
	v_cmp_ne_u16_e64 s7, 0, v102
	v_mov_b32_e32 v101, 0
	s_and_not1_b32 s10, s10, exec_lo
	s_delay_alu instid0(VALU_DEP_2) | instskip(NEXT) | instid1(SALU_CYCLE_1)
	s_and_b32 s7, s7, exec_lo
	s_or_b32 s10, s10, s7
	s_or_b32 exec_lo, exec_lo, s24
	s_and_saveexec_b32 s23, s10
	s_cbranch_execnz .LBB2_1444
	s_branch .LBB2_1445
.LBB2_1643:                             ;   in Loop: Header=BB2_1329 Depth=2
	s_mov_b32 s10, -1
	s_mov_b32 s25, exec_lo
                                        ; implicit-def: $sgpr23
	v_cmpx_eq_u16_e32 0x80, v15
; %bb.1644:                             ;   in Loop: Header=BB2_1329 Depth=2
	s_mov_b32 s23, 0x7f800001
	s_xor_b32 s10, exec_lo, -1
; %bb.1645:                             ;   in Loop: Header=BB2_1329 Depth=2
	s_or_b32 exec_lo, exec_lo, s25
	s_delay_alu instid0(SALU_CYCLE_1)
	s_and_b32 s10, s10, exec_lo
	s_or_saveexec_b32 s24, s24
	v_mov_b32_e32 v102, s23
	s_xor_b32 exec_lo, exec_lo, s24
	s_cbranch_execz .LBB2_1447
.LBB2_1646:                             ;   in Loop: Header=BB2_1329 Depth=2
	v_cmp_ne_u16_e64 s7, 0, v15
	v_mov_b32_e32 v102, 0
	s_and_not1_b32 s10, s10, exec_lo
	s_delay_alu instid0(VALU_DEP_2) | instskip(NEXT) | instid1(SALU_CYCLE_1)
	s_and_b32 s7, s7, exec_lo
	s_or_b32 s10, s10, s7
	s_or_b32 exec_lo, exec_lo, s24
	s_and_saveexec_b32 s23, s10
	s_cbranch_execnz .LBB2_1448
	s_branch .LBB2_1449
.LBB2_1647:                             ;   in Loop: Header=BB2_1329 Depth=2
	s_mov_b32 s10, -1
	s_mov_b32 s25, exec_lo
                                        ; implicit-def: $sgpr23
	v_cmpx_eq_u16_e32 0x80, v101
; %bb.1648:                             ;   in Loop: Header=BB2_1329 Depth=2
	s_mov_b32 s23, 0x7f800001
	s_xor_b32 s10, exec_lo, -1
; %bb.1649:                             ;   in Loop: Header=BB2_1329 Depth=2
	s_or_b32 exec_lo, exec_lo, s25
	s_delay_alu instid0(SALU_CYCLE_1)
	s_and_b32 s10, s10, exec_lo
                                        ; implicit-def: $vgpr101
	s_or_saveexec_b32 s24, s24
	v_mov_b32_e32 v15, s23
	s_xor_b32 exec_lo, exec_lo, s24
	s_cbranch_execz .LBB2_1459
.LBB2_1650:                             ;   in Loop: Header=BB2_1329 Depth=2
	v_cmp_ne_u16_e64 s7, 0, v101
	v_mov_b32_e32 v15, 0
	s_and_not1_b32 s10, s10, exec_lo
	s_delay_alu instid0(VALU_DEP_2) | instskip(NEXT) | instid1(SALU_CYCLE_1)
	s_and_b32 s7, s7, exec_lo
	s_or_b32 s10, s10, s7
	s_or_b32 exec_lo, exec_lo, s24
	s_and_saveexec_b32 s23, s10
	s_cbranch_execnz .LBB2_1460
	s_branch .LBB2_1461
.LBB2_1651:                             ;   in Loop: Header=BB2_1329 Depth=2
	s_mov_b32 s10, -1
	s_mov_b32 s25, exec_lo
                                        ; implicit-def: $sgpr23
	v_cmpx_eq_u16_e32 0x80, v102
; %bb.1652:                             ;   in Loop: Header=BB2_1329 Depth=2
	s_mov_b32 s23, 0x7f800001
	s_xor_b32 s10, exec_lo, -1
; %bb.1653:                             ;   in Loop: Header=BB2_1329 Depth=2
	s_or_b32 exec_lo, exec_lo, s25
	s_delay_alu instid0(SALU_CYCLE_1)
	s_and_b32 s10, s10, exec_lo
                                        ; implicit-def: $vgpr102
	s_or_saveexec_b32 s24, s24
	v_mov_b32_e32 v101, s23
	s_xor_b32 exec_lo, exec_lo, s24
	s_cbranch_execz .LBB2_1463
.LBB2_1654:                             ;   in Loop: Header=BB2_1329 Depth=2
	v_cmp_ne_u16_e64 s7, 0, v102
	v_mov_b32_e32 v101, 0
	s_and_not1_b32 s10, s10, exec_lo
	s_delay_alu instid0(VALU_DEP_2) | instskip(NEXT) | instid1(SALU_CYCLE_1)
	s_and_b32 s7, s7, exec_lo
	s_or_b32 s10, s10, s7
	s_or_b32 exec_lo, exec_lo, s24
	s_and_saveexec_b32 s23, s10
	s_cbranch_execnz .LBB2_1464
	s_branch .LBB2_1465
.LBB2_1655:                             ;   in Loop: Header=BB2_1329 Depth=2
	s_mov_b32 s10, -1
	s_mov_b32 s25, exec_lo
                                        ; implicit-def: $sgpr23
	v_cmpx_eq_u16_e32 0x80, v102
; %bb.1656:                             ;   in Loop: Header=BB2_1329 Depth=2
	s_mov_b32 s23, 0x7f800001
	s_xor_b32 s10, exec_lo, -1
; %bb.1657:                             ;   in Loop: Header=BB2_1329 Depth=2
	s_or_b32 exec_lo, exec_lo, s25
	s_delay_alu instid0(SALU_CYCLE_1)
	s_and_b32 s10, s10, exec_lo
	s_or_saveexec_b32 s24, s24
	v_mov_b32_e32 v101, s23
	s_xor_b32 exec_lo, exec_lo, s24
	s_cbranch_execz .LBB2_1475
.LBB2_1658:                             ;   in Loop: Header=BB2_1329 Depth=2
	v_cmp_ne_u16_e64 s7, 0, v102
	v_mov_b32_e32 v101, 0
	s_and_not1_b32 s10, s10, exec_lo
	s_delay_alu instid0(VALU_DEP_2) | instskip(NEXT) | instid1(SALU_CYCLE_1)
	s_and_b32 s7, s7, exec_lo
	s_or_b32 s10, s10, s7
	s_or_b32 exec_lo, exec_lo, s24
	s_and_saveexec_b32 s23, s10
	s_cbranch_execnz .LBB2_1476
	s_branch .LBB2_1477
.LBB2_1659:                             ;   in Loop: Header=BB2_1329 Depth=2
	s_mov_b32 s10, -1
	s_mov_b32 s25, exec_lo
                                        ; implicit-def: $sgpr23
	v_cmpx_eq_u16_e32 0x80, v102
; %bb.1660:                             ;   in Loop: Header=BB2_1329 Depth=2
	s_mov_b32 s23, 0x7f800001
	s_xor_b32 s10, exec_lo, -1
; %bb.1661:                             ;   in Loop: Header=BB2_1329 Depth=2
	s_or_b32 exec_lo, exec_lo, s25
	s_delay_alu instid0(SALU_CYCLE_1)
	s_and_b32 s10, s10, exec_lo
	s_or_saveexec_b32 s24, s24
	v_mov_b32_e32 v103, s23
	s_xor_b32 exec_lo, exec_lo, s24
	s_cbranch_execz .LBB2_1479
.LBB2_1662:                             ;   in Loop: Header=BB2_1329 Depth=2
	v_cmp_ne_u16_e64 s7, 0, v102
	v_mov_b32_e32 v103, 0
	s_and_not1_b32 s10, s10, exec_lo
	s_delay_alu instid0(VALU_DEP_2) | instskip(NEXT) | instid1(SALU_CYCLE_1)
	s_and_b32 s7, s7, exec_lo
	s_or_b32 s10, s10, s7
	s_or_b32 exec_lo, exec_lo, s24
	s_and_saveexec_b32 s23, s10
	s_cbranch_execnz .LBB2_1480
	s_branch .LBB2_1481
.LBB2_1663:                             ;   in Loop: Header=BB2_1329 Depth=2
	s_mov_b32 s10, -1
	s_mov_b32 s25, exec_lo
                                        ; implicit-def: $sgpr23
	v_cmpx_eq_u16_e32 0x80, v112
; %bb.1664:                             ;   in Loop: Header=BB2_1329 Depth=2
	s_mov_b32 s23, 0x7f800001
	s_xor_b32 s10, exec_lo, -1
; %bb.1665:                             ;   in Loop: Header=BB2_1329 Depth=2
	s_or_b32 exec_lo, exec_lo, s25
	s_delay_alu instid0(SALU_CYCLE_1)
	s_and_b32 s10, s10, exec_lo
                                        ; implicit-def: $vgpr112
	s_or_saveexec_b32 s24, s24
	v_mov_b32_e32 v102, s23
	s_xor_b32 exec_lo, exec_lo, s24
	s_cbranch_execz .LBB2_1491
.LBB2_1666:                             ;   in Loop: Header=BB2_1329 Depth=2
	v_cmp_ne_u16_e64 s7, 0, v112
	v_mov_b32_e32 v102, 0
	s_and_not1_b32 s10, s10, exec_lo
	s_delay_alu instid0(VALU_DEP_2) | instskip(NEXT) | instid1(SALU_CYCLE_1)
	s_and_b32 s7, s7, exec_lo
	s_or_b32 s10, s10, s7
	s_or_b32 exec_lo, exec_lo, s24
	s_and_saveexec_b32 s23, s10
	s_cbranch_execnz .LBB2_1492
	s_branch .LBB2_1493
.LBB2_1667:                             ;   in Loop: Header=BB2_1329 Depth=2
	s_mov_b32 s10, -1
	s_mov_b32 s25, exec_lo
                                        ; implicit-def: $sgpr23
	v_cmpx_eq_u16_e32 0x80, v113
; %bb.1668:                             ;   in Loop: Header=BB2_1329 Depth=2
	s_mov_b32 s23, 0x7f800001
	s_xor_b32 s10, exec_lo, -1
; %bb.1669:                             ;   in Loop: Header=BB2_1329 Depth=2
	s_or_b32 exec_lo, exec_lo, s25
	s_delay_alu instid0(SALU_CYCLE_1)
	s_and_b32 s10, s10, exec_lo
                                        ; implicit-def: $vgpr113
	s_or_saveexec_b32 s24, s24
	v_mov_b32_e32 v112, s23
	s_xor_b32 exec_lo, exec_lo, s24
	s_cbranch_execz .LBB2_1495
.LBB2_1670:                             ;   in Loop: Header=BB2_1329 Depth=2
	v_cmp_ne_u16_e64 s7, 0, v113
	v_mov_b32_e32 v112, 0
	s_and_not1_b32 s10, s10, exec_lo
	s_delay_alu instid0(VALU_DEP_2) | instskip(NEXT) | instid1(SALU_CYCLE_1)
	s_and_b32 s7, s7, exec_lo
	s_or_b32 s10, s10, s7
	s_or_b32 exec_lo, exec_lo, s24
	s_and_saveexec_b32 s23, s10
	s_cbranch_execnz .LBB2_1496
	s_branch .LBB2_1497
.LBB2_1671:                             ;   in Loop: Header=BB2_1329 Depth=2
	s_mov_b32 s10, -1
	s_mov_b32 s25, exec_lo
                                        ; implicit-def: $sgpr23
	v_cmpx_eq_u16_e32 0x80, v112
; %bb.1672:                             ;   in Loop: Header=BB2_1329 Depth=2
	s_mov_b32 s23, 0x7f800001
	s_xor_b32 s10, exec_lo, -1
; %bb.1673:                             ;   in Loop: Header=BB2_1329 Depth=2
	s_or_b32 exec_lo, exec_lo, s25
	s_delay_alu instid0(SALU_CYCLE_1)
	s_and_b32 s10, s10, exec_lo
	s_or_saveexec_b32 s24, s24
	v_mov_b32_e32 v103, s23
	s_xor_b32 exec_lo, exec_lo, s24
	s_cbranch_execz .LBB2_1507
.LBB2_1674:                             ;   in Loop: Header=BB2_1329 Depth=2
	v_cmp_ne_u16_e64 s7, 0, v112
	v_mov_b32_e32 v103, 0
	s_and_not1_b32 s10, s10, exec_lo
	s_delay_alu instid0(VALU_DEP_2) | instskip(NEXT) | instid1(SALU_CYCLE_1)
	s_and_b32 s7, s7, exec_lo
	s_or_b32 s10, s10, s7
	s_or_b32 exec_lo, exec_lo, s24
	s_and_saveexec_b32 s23, s10
	s_cbranch_execnz .LBB2_1508
	s_branch .LBB2_1509
.LBB2_1675:                             ;   in Loop: Header=BB2_1329 Depth=2
	s_mov_b32 s10, -1
	s_mov_b32 s25, exec_lo
                                        ; implicit-def: $sgpr23
	v_cmpx_eq_u16_e32 0x80, v16
; %bb.1676:                             ;   in Loop: Header=BB2_1329 Depth=2
	s_mov_b32 s23, 0x7f800001
	s_xor_b32 s10, exec_lo, -1
; %bb.1677:                             ;   in Loop: Header=BB2_1329 Depth=2
	s_or_b32 exec_lo, exec_lo, s25
	s_delay_alu instid0(SALU_CYCLE_1)
	s_and_b32 s10, s10, exec_lo
	s_or_saveexec_b32 s24, s24
	v_mov_b32_e32 v112, s23
	s_xor_b32 exec_lo, exec_lo, s24
	s_cbranch_execz .LBB2_1511
.LBB2_1678:                             ;   in Loop: Header=BB2_1329 Depth=2
	v_cmp_ne_u16_e64 s7, 0, v16
	v_mov_b32_e32 v112, 0
	s_and_not1_b32 s10, s10, exec_lo
	s_delay_alu instid0(VALU_DEP_2) | instskip(NEXT) | instid1(SALU_CYCLE_1)
	s_and_b32 s7, s7, exec_lo
	s_or_b32 s10, s10, s7
	s_or_b32 exec_lo, exec_lo, s24
	s_and_saveexec_b32 s23, s10
	s_cbranch_execnz .LBB2_1512
	s_branch .LBB2_1513
.LBB2_1679:                             ;   in Loop: Header=BB2_1329 Depth=2
	s_mov_b32 s10, -1
	s_mov_b32 s25, exec_lo
                                        ; implicit-def: $sgpr23
	v_cmpx_eq_u16_e32 0x80, v103
; %bb.1680:                             ;   in Loop: Header=BB2_1329 Depth=2
	s_mov_b32 s23, 0x7f800001
	s_xor_b32 s10, exec_lo, -1
; %bb.1681:                             ;   in Loop: Header=BB2_1329 Depth=2
	s_or_b32 exec_lo, exec_lo, s25
	s_delay_alu instid0(SALU_CYCLE_1)
	s_and_b32 s10, s10, exec_lo
                                        ; implicit-def: $vgpr103
	s_or_saveexec_b32 s24, s24
	v_mov_b32_e32 v16, s23
	s_xor_b32 exec_lo, exec_lo, s24
	s_cbranch_execz .LBB2_1523
.LBB2_1682:                             ;   in Loop: Header=BB2_1329 Depth=2
	v_cmp_ne_u16_e64 s7, 0, v103
	v_mov_b32_e32 v16, 0
	s_and_not1_b32 s10, s10, exec_lo
	s_delay_alu instid0(VALU_DEP_2) | instskip(NEXT) | instid1(SALU_CYCLE_1)
	s_and_b32 s7, s7, exec_lo
	s_or_b32 s10, s10, s7
	s_or_b32 exec_lo, exec_lo, s24
	s_and_saveexec_b32 s23, s10
	s_cbranch_execnz .LBB2_1524
	s_branch .LBB2_1525
.LBB2_1683:                             ;   in Loop: Header=BB2_1329 Depth=2
	s_mov_b32 s10, -1
	s_mov_b32 s25, exec_lo
                                        ; implicit-def: $sgpr23
	v_cmpx_eq_u16_e32 0x80, v112
; %bb.1684:                             ;   in Loop: Header=BB2_1329 Depth=2
	s_mov_b32 s23, 0x7f800001
	s_xor_b32 s10, exec_lo, -1
; %bb.1685:                             ;   in Loop: Header=BB2_1329 Depth=2
	s_or_b32 exec_lo, exec_lo, s25
	s_delay_alu instid0(SALU_CYCLE_1)
	s_and_b32 s10, s10, exec_lo
                                        ; implicit-def: $vgpr112
	s_or_saveexec_b32 s24, s24
	v_mov_b32_e32 v103, s23
	s_xor_b32 exec_lo, exec_lo, s24
	s_cbranch_execz .LBB2_1527
.LBB2_1686:                             ;   in Loop: Header=BB2_1329 Depth=2
	v_cmp_ne_u16_e64 s7, 0, v112
	v_mov_b32_e32 v103, 0
	s_and_not1_b32 s10, s10, exec_lo
	s_delay_alu instid0(VALU_DEP_2) | instskip(NEXT) | instid1(SALU_CYCLE_1)
	s_and_b32 s7, s7, exec_lo
	s_or_b32 s10, s10, s7
	s_or_b32 exec_lo, exec_lo, s24
	s_and_saveexec_b32 s23, s10
	s_cbranch_execnz .LBB2_1528
	s_branch .LBB2_1529
.LBB2_1687:                             ;   in Loop: Header=BB2_1329 Depth=2
	s_mov_b32 s10, -1
	s_mov_b32 s25, exec_lo
                                        ; implicit-def: $sgpr23
	v_cmpx_eq_u16_e32 0x80, v112
; %bb.1688:                             ;   in Loop: Header=BB2_1329 Depth=2
	s_mov_b32 s23, 0x7f800001
	s_xor_b32 s10, exec_lo, -1
; %bb.1689:                             ;   in Loop: Header=BB2_1329 Depth=2
	s_or_b32 exec_lo, exec_lo, s25
	s_delay_alu instid0(SALU_CYCLE_1)
	s_and_b32 s10, s10, exec_lo
	s_or_saveexec_b32 s24, s24
	v_mov_b32_e32 v103, s23
	s_xor_b32 exec_lo, exec_lo, s24
	s_cbranch_execz .LBB2_1539
.LBB2_1690:                             ;   in Loop: Header=BB2_1329 Depth=2
	v_cmp_ne_u16_e64 s7, 0, v112
	v_mov_b32_e32 v103, 0
	s_and_not1_b32 s10, s10, exec_lo
	s_delay_alu instid0(VALU_DEP_2) | instskip(NEXT) | instid1(SALU_CYCLE_1)
	s_and_b32 s7, s7, exec_lo
	s_or_b32 s10, s10, s7
	s_or_b32 exec_lo, exec_lo, s24
	s_and_saveexec_b32 s23, s10
	s_cbranch_execnz .LBB2_1540
	s_branch .LBB2_1541
.LBB2_1691:                             ;   in Loop: Header=BB2_1329 Depth=2
	s_mov_b32 s10, -1
	s_mov_b32 s25, exec_lo
                                        ; implicit-def: $sgpr23
	v_cmpx_eq_u16_e32 0x80, v112
; %bb.1692:                             ;   in Loop: Header=BB2_1329 Depth=2
	s_mov_b32 s23, 0x7f800001
	s_xor_b32 s10, exec_lo, -1
; %bb.1693:                             ;   in Loop: Header=BB2_1329 Depth=2
	s_or_b32 exec_lo, exec_lo, s25
	s_delay_alu instid0(SALU_CYCLE_1)
	s_and_b32 s10, s10, exec_lo
	s_or_saveexec_b32 s24, s24
	v_mov_b32_e32 v113, s23
	s_xor_b32 exec_lo, exec_lo, s24
	s_cbranch_execz .LBB2_1543
.LBB2_1694:                             ;   in Loop: Header=BB2_1329 Depth=2
	v_cmp_ne_u16_e64 s7, 0, v112
	v_mov_b32_e32 v113, 0
	s_and_not1_b32 s10, s10, exec_lo
	s_delay_alu instid0(VALU_DEP_2) | instskip(NEXT) | instid1(SALU_CYCLE_1)
	s_and_b32 s7, s7, exec_lo
	s_or_b32 s10, s10, s7
	s_or_b32 exec_lo, exec_lo, s24
	s_and_saveexec_b32 s23, s10
	s_cbranch_execnz .LBB2_1544
	s_branch .LBB2_1545
.LBB2_1695:                             ;   in Loop: Header=BB2_1329 Depth=2
	s_mov_b32 s10, -1
	s_mov_b32 s25, exec_lo
                                        ; implicit-def: $sgpr23
	v_cmpx_eq_u16_e32 0x80, v114
; %bb.1696:                             ;   in Loop: Header=BB2_1329 Depth=2
	s_mov_b32 s23, 0x7f800001
	s_xor_b32 s10, exec_lo, -1
; %bb.1697:                             ;   in Loop: Header=BB2_1329 Depth=2
	s_or_b32 exec_lo, exec_lo, s25
	s_delay_alu instid0(SALU_CYCLE_1)
	s_and_b32 s10, s10, exec_lo
                                        ; implicit-def: $vgpr114
	s_or_saveexec_b32 s24, s24
	v_mov_b32_e32 v112, s23
	s_xor_b32 exec_lo, exec_lo, s24
	s_cbranch_execz .LBB2_1555
.LBB2_1698:                             ;   in Loop: Header=BB2_1329 Depth=2
	v_cmp_ne_u16_e64 s7, 0, v114
	v_mov_b32_e32 v112, 0
	s_and_not1_b32 s10, s10, exec_lo
	s_delay_alu instid0(VALU_DEP_2) | instskip(NEXT) | instid1(SALU_CYCLE_1)
	s_and_b32 s7, s7, exec_lo
	s_or_b32 s10, s10, s7
	s_or_b32 exec_lo, exec_lo, s24
	s_and_saveexec_b32 s23, s10
	s_cbranch_execnz .LBB2_1556
	s_branch .LBB2_1557
.LBB2_1699:                             ;   in Loop: Header=BB2_1329 Depth=2
	s_mov_b32 s10, -1
	s_mov_b32 s25, exec_lo
                                        ; implicit-def: $sgpr23
	v_cmpx_eq_u16_e32 0x80, v115
; %bb.1700:                             ;   in Loop: Header=BB2_1329 Depth=2
	s_mov_b32 s23, 0x7f800001
	s_xor_b32 s10, exec_lo, -1
; %bb.1701:                             ;   in Loop: Header=BB2_1329 Depth=2
	s_or_b32 exec_lo, exec_lo, s25
	s_delay_alu instid0(SALU_CYCLE_1)
	s_and_b32 s10, s10, exec_lo
                                        ; implicit-def: $vgpr115
	s_or_saveexec_b32 s24, s24
	v_mov_b32_e32 v114, s23
	s_xor_b32 exec_lo, exec_lo, s24
	s_cbranch_execz .LBB2_1559
.LBB2_1702:                             ;   in Loop: Header=BB2_1329 Depth=2
	v_cmp_ne_u16_e64 s7, 0, v115
	v_mov_b32_e32 v114, 0
	s_and_not1_b32 s10, s10, exec_lo
	s_delay_alu instid0(VALU_DEP_2) | instskip(NEXT) | instid1(SALU_CYCLE_1)
	s_and_b32 s7, s7, exec_lo
	s_or_b32 s10, s10, s7
	s_or_b32 exec_lo, exec_lo, s24
	s_and_saveexec_b32 s23, s10
	s_cbranch_execnz .LBB2_1560
	s_branch .LBB2_1561
.LBB2_1703:                             ;   in Loop: Header=BB2_1329 Depth=2
	s_mov_b32 s10, -1
	s_mov_b32 s25, exec_lo
                                        ; implicit-def: $sgpr23
	v_cmpx_eq_u16_e32 0x80, v114
; %bb.1704:                             ;   in Loop: Header=BB2_1329 Depth=2
	s_mov_b32 s23, 0x7f800001
	s_xor_b32 s10, exec_lo, -1
; %bb.1705:                             ;   in Loop: Header=BB2_1329 Depth=2
	s_or_b32 exec_lo, exec_lo, s25
	s_delay_alu instid0(SALU_CYCLE_1)
	s_and_b32 s10, s10, exec_lo
	s_or_saveexec_b32 s24, s24
	v_mov_b32_e32 v113, s23
	s_xor_b32 exec_lo, exec_lo, s24
	s_cbranch_execz .LBB2_1571
.LBB2_1706:                             ;   in Loop: Header=BB2_1329 Depth=2
	v_cmp_ne_u16_e64 s7, 0, v114
	v_mov_b32_e32 v113, 0
	s_and_not1_b32 s10, s10, exec_lo
	s_delay_alu instid0(VALU_DEP_2) | instskip(NEXT) | instid1(SALU_CYCLE_1)
	s_and_b32 s7, s7, exec_lo
	s_or_b32 s10, s10, s7
	s_or_b32 exec_lo, exec_lo, s24
	s_and_saveexec_b32 s23, s10
	s_cbranch_execnz .LBB2_1572
	s_branch .LBB2_1573
.LBB2_1707:                             ;   in Loop: Header=BB2_1329 Depth=2
	s_mov_b32 s10, -1
	s_mov_b32 s25, exec_lo
                                        ; implicit-def: $sgpr23
	v_cmpx_eq_u16_e32 0x80, v17
; %bb.1708:                             ;   in Loop: Header=BB2_1329 Depth=2
	s_mov_b32 s23, 0x7f800001
	s_xor_b32 s10, exec_lo, -1
; %bb.1709:                             ;   in Loop: Header=BB2_1329 Depth=2
	s_or_b32 exec_lo, exec_lo, s25
	s_delay_alu instid0(SALU_CYCLE_1)
	s_and_b32 s10, s10, exec_lo
	s_or_saveexec_b32 s24, s24
	v_mov_b32_e32 v114, s23
	s_xor_b32 exec_lo, exec_lo, s24
	s_cbranch_execz .LBB2_1575
.LBB2_1710:                             ;   in Loop: Header=BB2_1329 Depth=2
	v_cmp_ne_u16_e64 s7, 0, v17
	v_mov_b32_e32 v114, 0
	s_and_not1_b32 s10, s10, exec_lo
	s_delay_alu instid0(VALU_DEP_2) | instskip(NEXT) | instid1(SALU_CYCLE_1)
	s_and_b32 s7, s7, exec_lo
	s_or_b32 s10, s10, s7
	s_or_b32 exec_lo, exec_lo, s24
	s_and_saveexec_b32 s23, s10
	s_cbranch_execnz .LBB2_1576
	s_branch .LBB2_1577
.LBB2_1711:                             ;   in Loop: Header=BB2_1243 Depth=1
	s_or_b32 exec_lo, exec_lo, s22
.LBB2_1712:                             ;   in Loop: Header=BB2_1243 Depth=1
	s_delay_alu instid0(SALU_CYCLE_1) | instskip(SKIP_3) | instid1(VALU_DEP_1)
	s_or_b32 exec_lo, exec_lo, s21
	v_dual_mov_b32 v85, 0 :: v_dual_and_b32 v10, 15, v34
	s_mov_b32 s21, 0
	s_mov_b32 s10, exec_lo
                                        ; implicit-def: $vgpr16
	v_cndmask_b32_e32 v86, v87, v10, vcc_lo
	s_delay_alu instid0(VALU_DEP_1)
	v_cmpx_ne_u32_e32 0, v86
	s_cbranch_execz .LBB2_2103
; %bb.1713:                             ;   in Loop: Header=BB2_1243 Depth=1
	v_cmp_lt_i32_e64 s7, 0, v96
	s_mov_b32 s21, exec_lo
	s_delay_alu instid0(VALU_DEP_1) | instskip(NEXT) | instid1(VALU_DEP_1)
	v_cndmask_b32_e64 v11, 0, v54, s7
	v_sub_nc_u32_e32 v11, v11, v96
	s_delay_alu instid0(VALU_DEP_1) | instskip(NEXT) | instid1(VALU_DEP_1)
	v_lshl_add_u32 v11, v11, 5, v67
	v_ashrrev_i32_e32 v12, 31, v11
	s_delay_alu instid0(VALU_DEP_1) | instskip(NEXT) | instid1(VALU_DEP_1)
	v_lshrrev_b32_e32 v12, 27, v12
	v_add_nc_u32_e32 v12, v11, v12
	s_delay_alu instid0(VALU_DEP_1) | instskip(NEXT) | instid1(VALU_DEP_1)
	v_and_b32_e32 v13, 0xffffffe0, v12
	v_sub_nc_u32_e32 v96, v11, v13
	v_ashrrev_i32_e32 v11, 5, v12
	v_sub_nc_u32_e32 v13, v87, v10
	s_delay_alu instid0(VALU_DEP_3) | instskip(NEXT) | instid1(VALU_DEP_3)
	v_lshlrev_b32_e32 v12, 4, v96
	v_sub_nc_u32_e32 v87, 0, v11
	s_delay_alu instid0(VALU_DEP_2) | instskip(NEXT) | instid1(VALU_DEP_4)
	v_lshl_add_u32 v10, v11, 9, v12
	v_cndmask_b32_e32 v12, 0, v13, vcc_lo
	s_delay_alu instid0(VALU_DEP_2) | instskip(NEXT) | instid1(VALU_DEP_2)
	v_sub_nc_u32_e32 v97, v86, v10
	v_and_or_b32 v85, 0x3ffffe00, v34, v12
	s_delay_alu instid0(VALU_DEP_2)
	v_cmpx_lt_i32_e32 15, v97
	s_cbranch_execz .LBB2_2102
; %bb.1714:                             ;   in Loop: Header=BB2_1243 Depth=1
	s_cbranch_execnz .LBB2_2867
; %bb.1715:                             ;   in Loop: Header=BB2_1243 Depth=1
	ds_load_b128 v[11:14], v0
	ds_load_b64 v[15:16], v0
	v_add_nc_u32_e32 v10, v10, v85
	s_mov_b32 s22, 0
	s_delay_alu instid0(VALU_DEP_1) | instskip(SKIP_2) | instid1(VALU_DEP_2)
	v_ashrrev_i32_e32 v17, 31, v10
	s_waitcnt lgkmcnt(1)
	v_add_co_u32 v48, vcc_lo, v11, v10
	v_add_co_ci_u32_e32 v49, vcc_lo, v12, v17, vcc_lo
	v_add_co_u32 v50, vcc_lo, v13, v10
	v_add_co_ci_u32_e32 v51, vcc_lo, v14, v17, vcc_lo
	s_waitcnt lgkmcnt(0)
	v_add_co_u32 v52, vcc_lo, v15, v10
	v_add_co_ci_u32_e32 v53, vcc_lo, v16, v17, vcc_lo
	s_branch .LBB2_1719
.LBB2_1716:                             ;   in Loop: Header=BB2_1719 Depth=2
	s_or_b32 exec_lo, exec_lo, s7
	s_delay_alu instid0(VALU_DEP_1) | instskip(NEXT) | instid1(VALU_DEP_2)
	v_lshrrev_b32_e32 v115, 21, v115
	v_cmp_gt_i32_e32 vcc_lo, 32, v17
	v_min_i32_e32 v116, 31, v17
	v_lshrrev_b32_e32 v13, 24, v13
	s_delay_alu instid0(VALU_DEP_2) | instskip(NEXT) | instid1(VALU_DEP_2)
	v_dual_cndmask_b32 v115, 3, v115 :: v_dual_lshlrev_b32 v116, 2, v116
	v_and_b32_e32 v13, 0x80, v13
	s_delay_alu instid0(VALU_DEP_2) | instskip(SKIP_1) | instid1(VALU_DEP_2)
	v_or_b32_e32 v17, v17, v115
	v_and_b32_e32 v117, 3, v115
	v_cmp_ne_u32_e32 vcc_lo, 0, v17
	v_and_b32_e32 v116, 0xfc, v116
	s_delay_alu instid0(VALU_DEP_1) | instskip(NEXT) | instid1(VALU_DEP_1)
	v_or3_b32 v13, v13, v116, v117
	v_lshlrev_b32_e32 v13, 8, v13
	s_delay_alu instid0(VALU_DEP_1)
	v_cndmask_b32_e32 v17, 0, v13, vcc_lo
.LBB2_1717:                             ;   in Loop: Header=BB2_1719 Depth=2
	s_or_b32 exec_lo, exec_lo, s24
.LBB2_1718:                             ;   in Loop: Header=BB2_1719 Depth=2
	s_delay_alu instid0(SALU_CYCLE_1)
	s_or_b32 exec_lo, exec_lo, s23
	v_or_b32_e32 v11, v11, v102
	v_and_b32_e32 v13, 0xff, v100
	v_lshlrev_b32_e32 v99, 8, v99
	v_and_b32_e32 v100, 0xff, v112
	v_lshlrev_b32_e32 v102, 8, v103
	v_or_b32_e32 v17, v17, v114
	v_and_b32_e32 v14, 0xff, v14
	v_lshlrev_b32_e32 v10, 24, v10
	v_lshlrev_b32_e32 v11, 16, v11
	;; [unrolled: 1-line block ×3, first 2 shown]
	v_perm_b32 v98, v99, v98, 0xc0c0500
	v_lshlrev_b32_e32 v12, 24, v12
	v_lshlrev_b32_e32 v99, 16, v100
	v_perm_b32 v15, v102, v15, 0xc0c0500
	v_and_b32_e32 v16, 0xff, v16
	v_lshlrev_b32_e32 v17, 16, v17
	v_add_co_u32 v48, vcc_lo, v48, v70
	v_or3_b32 v11, v101, v14, v11
	v_or3_b32 v10, v10, v13, v98
	;; [unrolled: 1-line block ×4, first 2 shown]
	v_sub_nc_u32_e32 v97, v97, v66
	v_add_co_ci_u32_e32 v49, vcc_lo, v49, v71, vcc_lo
	v_add_co_u32 v50, vcc_lo, v50, v70
	v_add_co_ci_u32_e32 v51, vcc_lo, v51, v71, vcc_lo
	global_store_b128 v[52:53], v[10:13], off glc slc dlc
	v_cmp_gt_i32_e32 vcc_lo, 16, v97
	v_add_co_u32 v52, s7, v52, v70
	s_delay_alu instid0(VALU_DEP_1) | instskip(SKIP_2) | instid1(SALU_CYCLE_1)
	v_add_co_ci_u32_e64 v53, s7, v53, v71, s7
	v_sub_nc_u32_e32 v87, v87, v54
	s_or_b32 s22, vcc_lo, s22
	s_and_not1_b32 exec_lo, exec_lo, s22
	s_cbranch_execz .LBB2_2101
.LBB2_1719:                             ;   Parent Loop BB2_1243 Depth=1
                                        ; =>  This Inner Loop Header: Depth=2
	global_load_b128 v[14:17], v[48:49], off slc dlc
	global_load_b128 v[10:13], v[50:51], off slc dlc
	s_mov_b32 s7, 0
	s_mov_b32 s24, exec_lo
                                        ; implicit-def: $sgpr23
	s_waitcnt vmcnt(1)
	v_and_b32_e32 v99, 0xff, v14
	s_delay_alu instid0(VALU_DEP_1)
	v_cmpx_lt_i16_e32 0x7f, v99
	s_xor_b32 s24, exec_lo, s24
	s_cbranch_execnz .LBB2_1973
; %bb.1720:                             ;   in Loop: Header=BB2_1719 Depth=2
	s_or_saveexec_b32 s24, s24
	v_mov_b32_e32 v98, s23
	s_xor_b32 exec_lo, exec_lo, s24
	s_cbranch_execnz .LBB2_1976
.LBB2_1721:                             ;   in Loop: Header=BB2_1719 Depth=2
	s_or_b32 exec_lo, exec_lo, s24
	s_and_saveexec_b32 s23, s7
	s_cbranch_execz .LBB2_1723
.LBB2_1722:                             ;   in Loop: Header=BB2_1719 Depth=2
	v_bfe_u32 v101, v14, 2, 5
	v_lshlrev_b32_e32 v102, 24, v14
	s_delay_alu instid0(VALU_DEP_2) | instskip(SKIP_1) | instid1(VALU_DEP_1)
	v_cmp_eq_u32_e32 vcc_lo, 0, v101
	v_and_b32_e32 v98, 3, v14
	v_clz_i32_u32_e32 v99, v98
	s_delay_alu instid0(VALU_DEP_1) | instskip(NEXT) | instid1(VALU_DEP_1)
	v_min_u32_e32 v99, 32, v99
	v_subrev_nc_u32_e32 v100, 29, v99
	v_sub_nc_u32_e32 v99, 30, v99
	s_delay_alu instid0(VALU_DEP_1) | instskip(NEXT) | instid1(VALU_DEP_1)
	v_dual_cndmask_b32 v99, v101, v99 :: v_dual_lshlrev_b32 v100, v100, v14
	v_and_b32_e32 v100, 3, v100
	s_delay_alu instid0(VALU_DEP_2) | instskip(NEXT) | instid1(VALU_DEP_2)
	v_lshl_add_u32 v99, v99, 23, 0x37800000
	v_cndmask_b32_e32 v98, v98, v100, vcc_lo
	v_and_b32_e32 v100, 0x80000000, v102
	s_delay_alu instid0(VALU_DEP_2) | instskip(NEXT) | instid1(VALU_DEP_1)
	v_lshlrev_b32_e32 v98, 21, v98
	v_or3_b32 v98, v100, v99, v98
.LBB2_1723:                             ;   in Loop: Header=BB2_1719 Depth=2
	s_or_b32 exec_lo, exec_lo, s23
	s_waitcnt vmcnt(0)
	v_and_b32_e32 v100, 0xff, v10
	s_mov_b32 s7, 0
	s_mov_b32 s24, exec_lo
                                        ; implicit-def: $sgpr23
	s_delay_alu instid0(VALU_DEP_1)
	v_cmpx_lt_i16_e32 0x7f, v100
	s_xor_b32 s24, exec_lo, s24
	s_cbranch_execnz .LBB2_1977
; %bb.1724:                             ;   in Loop: Header=BB2_1719 Depth=2
	s_or_saveexec_b32 s24, s24
	v_mov_b32_e32 v99, s23
	s_xor_b32 exec_lo, exec_lo, s24
	s_cbranch_execnz .LBB2_1980
.LBB2_1725:                             ;   in Loop: Header=BB2_1719 Depth=2
	s_or_b32 exec_lo, exec_lo, s24
	s_and_saveexec_b32 s23, s7
	s_cbranch_execz .LBB2_1727
.LBB2_1726:                             ;   in Loop: Header=BB2_1719 Depth=2
	v_bfe_u32 v102, v10, 2, 5
	v_lshlrev_b32_e32 v103, 24, v10
	s_delay_alu instid0(VALU_DEP_2) | instskip(SKIP_1) | instid1(VALU_DEP_1)
	v_cmp_eq_u32_e32 vcc_lo, 0, v102
	v_and_b32_e32 v99, 3, v10
	v_clz_i32_u32_e32 v100, v99
	s_delay_alu instid0(VALU_DEP_1) | instskip(NEXT) | instid1(VALU_DEP_1)
	v_min_u32_e32 v100, 32, v100
	v_subrev_nc_u32_e32 v101, 29, v100
	v_sub_nc_u32_e32 v100, 30, v100
	s_delay_alu instid0(VALU_DEP_1) | instskip(NEXT) | instid1(VALU_DEP_1)
	v_dual_cndmask_b32 v100, v102, v100 :: v_dual_lshlrev_b32 v101, v101, v10
	v_and_b32_e32 v101, 3, v101
	s_delay_alu instid0(VALU_DEP_2) | instskip(NEXT) | instid1(VALU_DEP_2)
	v_lshl_add_u32 v100, v100, 23, 0x37800000
	v_cndmask_b32_e32 v99, v99, v101, vcc_lo
	v_and_b32_e32 v101, 0x80000000, v103
	s_delay_alu instid0(VALU_DEP_2) | instskip(NEXT) | instid1(VALU_DEP_1)
	v_lshlrev_b32_e32 v99, 21, v99
	v_or3_b32 v99, v101, v100, v99
.LBB2_1727:                             ;   in Loop: Header=BB2_1719 Depth=2
	s_or_b32 exec_lo, exec_lo, s23
	s_delay_alu instid0(VALU_DEP_1) | instskip(NEXT) | instid1(VALU_DEP_1)
	v_mul_f32_e32 v99, v98, v99
	v_and_b32_e32 v98, 0x7f800000, v99
	s_delay_alu instid0(VALU_DEP_1)
	v_cmp_ne_u32_e32 vcc_lo, 0x7f800000, v98
	v_mov_b32_e32 v98, 0x80
	s_and_saveexec_b32 s23, vcc_lo
	s_cbranch_execz .LBB2_1735
; %bb.1728:                             ;   in Loop: Header=BB2_1719 Depth=2
	v_mov_b32_e32 v98, 0
	s_mov_b32 s24, exec_lo
	v_cmpx_ne_u32_e32 0, v99
	s_cbranch_execz .LBB2_1734
; %bb.1729:                             ;   in Loop: Header=BB2_1719 Depth=2
	v_bfe_u32 v98, v99, 23, 8
	s_delay_alu instid0(VALU_DEP_1) | instskip(SKIP_1) | instid1(VALU_DEP_2)
	v_sub_nc_u32_e32 v101, 0x70, v98
	v_cmp_gt_u32_e32 vcc_lo, 0x71, v98
	v_dual_cndmask_b32 v101, 0, v101 :: v_dual_and_b32 v100, 0x7fffff, v99
	s_delay_alu instid0(VALU_DEP_1) | instskip(SKIP_2) | instid1(VALU_DEP_4)
	v_or_b32_e32 v102, 0x800000, v100
	v_cmp_eq_u32_e32 vcc_lo, 0, v98
	v_add_nc_u32_e32 v98, 0xffffff91, v98
	v_cndmask_b32_e64 v101, v101, 0x6f, vcc_lo
	s_delay_alu instid0(VALU_DEP_2) | instskip(SKIP_1) | instid1(VALU_DEP_3)
	v_cndmask_b32_e64 v98, v98, 0xffffff92, vcc_lo
	v_cndmask_b32_e32 v100, v102, v100, vcc_lo
	v_lshl_add_u32 v102, 0x200000, v101, -1
	v_lshlrev_b32_e64 v113, v101, 0x100000
	s_delay_alu instid0(VALU_DEP_3) | instskip(SKIP_1) | instid1(VALU_DEP_4)
	v_lshrrev_b32_e32 v103, v101, v100
	v_add_nc_u32_e32 v101, v101, v98
	v_and_b32_e32 v100, v102, v100
	s_delay_alu instid0(VALU_DEP_3) | instskip(NEXT) | instid1(VALU_DEP_2)
	v_bfe_u32 v112, v103, 21, 1
	v_cmp_eq_u32_e64 s7, v100, v113
	s_delay_alu instid0(VALU_DEP_2) | instskip(NEXT) | instid1(VALU_DEP_1)
	v_add_nc_u32_e32 v102, -1, v112
	v_cndmask_b32_e64 v100, 0, v102, s7
	v_lshrrev_b32_e32 v102, 23, v103
	s_mov_b32 s7, exec_lo
	s_delay_alu instid0(VALU_DEP_2) | instskip(NEXT) | instid1(VALU_DEP_2)
	v_add_nc_u32_e32 v100, v100, v103
	v_xor_b32_e32 v102, 1, v102
	s_delay_alu instid0(VALU_DEP_2) | instskip(NEXT) | instid1(VALU_DEP_1)
	v_and_b32_e32 v98, 0x1fffff, v100
	v_add_nc_u32_e32 v100, v98, v103
                                        ; implicit-def: $vgpr98
	s_delay_alu instid0(VALU_DEP_3)
	v_cmpx_ne_u32_e64 v101, v102
	s_xor_b32 s7, exec_lo, s7
; %bb.1730:                             ;   in Loop: Header=BB2_1719 Depth=2
	s_delay_alu instid0(VALU_DEP_2) | instskip(SKIP_2) | instid1(VALU_DEP_2)
	v_cmp_lt_u32_e32 vcc_lo, 0xffffff, v100
	v_sub_nc_u32_e32 v98, v101, v102
	v_cndmask_b32_e64 v101, 0, 1, vcc_lo
	v_add_co_ci_u32_e32 v98, vcc_lo, 0, v98, vcc_lo
	s_delay_alu instid0(VALU_DEP_2)
	v_lshrrev_b32_e32 v100, v101, v100
; %bb.1731:                             ;   in Loop: Header=BB2_1719 Depth=2
	s_and_not1_saveexec_b32 s7, s7
; %bb.1732:                             ;   in Loop: Header=BB2_1719 Depth=2
	s_delay_alu instid0(VALU_DEP_1)
	v_bfe_u32 v98, v100, 23, 1
; %bb.1733:                             ;   in Loop: Header=BB2_1719 Depth=2
	s_or_b32 exec_lo, exec_lo, s7
	v_lshrrev_b32_e32 v100, 21, v100
	s_delay_alu instid0(VALU_DEP_2) | instskip(SKIP_2) | instid1(VALU_DEP_2)
	v_cmp_gt_i32_e32 vcc_lo, 32, v98
	v_lshrrev_b32_e32 v99, 24, v99
	v_min_i32_e32 v101, 31, v98
	v_dual_cndmask_b32 v100, 3, v100 :: v_dual_and_b32 v99, 0x80, v99
	s_delay_alu instid0(VALU_DEP_1) | instskip(SKIP_1) | instid1(VALU_DEP_2)
	v_or_b32_e32 v98, v98, v100
	v_and_b32_e32 v102, 3, v100
	v_cmp_ne_u32_e32 vcc_lo, 0, v98
	v_lshlrev_b32_e32 v101, 2, v101
	s_delay_alu instid0(VALU_DEP_1) | instskip(NEXT) | instid1(VALU_DEP_1)
	v_or3_b32 v99, v101, v99, v102
	v_cndmask_b32_e32 v98, 0, v99, vcc_lo
.LBB2_1734:                             ;   in Loop: Header=BB2_1719 Depth=2
	s_or_b32 exec_lo, exec_lo, s24
.LBB2_1735:                             ;   in Loop: Header=BB2_1719 Depth=2
	s_delay_alu instid0(SALU_CYCLE_1) | instskip(SKIP_3) | instid1(VALU_DEP_1)
	s_or_b32 exec_lo, exec_lo, s23
	v_lshrrev_b16 v100, 8, v14
	s_mov_b32 s7, 0
	s_mov_b32 s24, exec_lo
                                        ; implicit-def: $sgpr23
	v_cmpx_lt_i16_e32 0x7f, v100
	s_xor_b32 s24, exec_lo, s24
	s_cbranch_execnz .LBB2_1981
; %bb.1736:                             ;   in Loop: Header=BB2_1719 Depth=2
	s_or_saveexec_b32 s24, s24
	v_mov_b32_e32 v99, s23
	s_xor_b32 exec_lo, exec_lo, s24
	s_cbranch_execnz .LBB2_1984
.LBB2_1737:                             ;   in Loop: Header=BB2_1719 Depth=2
	s_or_b32 exec_lo, exec_lo, s24
	s_and_saveexec_b32 s23, s7
	s_cbranch_execz .LBB2_1739
.LBB2_1738:                             ;   in Loop: Header=BB2_1719 Depth=2
	v_and_b32_e32 v99, 0xffff, v100
	s_delay_alu instid0(VALU_DEP_1) | instskip(NEXT) | instid1(VALU_DEP_1)
	v_and_b32_e32 v101, 3, v99
	v_clz_i32_u32_e32 v102, v101
	s_delay_alu instid0(VALU_DEP_1) | instskip(NEXT) | instid1(VALU_DEP_1)
	v_min_u32_e32 v102, 32, v102
	v_subrev_nc_u32_e32 v103, 29, v102
	v_sub_nc_u32_e32 v102, 30, v102
	s_delay_alu instid0(VALU_DEP_2) | instskip(SKIP_1) | instid1(VALU_DEP_2)
	v_lshlrev_b32_e32 v103, v103, v99
	v_bfe_u32 v99, v99, 2, 5
	v_and_b32_e32 v103, 3, v103
	s_delay_alu instid0(VALU_DEP_2) | instskip(SKIP_1) | instid1(VALU_DEP_1)
	v_cmp_eq_u32_e32 vcc_lo, 0, v99
	v_dual_cndmask_b32 v99, v99, v102 :: v_dual_lshlrev_b32 v100, 24, v100
	v_dual_cndmask_b32 v101, v101, v103 :: v_dual_and_b32 v100, 0x80000000, v100
	s_delay_alu instid0(VALU_DEP_2) | instskip(NEXT) | instid1(VALU_DEP_2)
	v_lshl_add_u32 v99, v99, 23, 0x37800000
	v_lshlrev_b32_e32 v101, 21, v101
	s_delay_alu instid0(VALU_DEP_1)
	v_or3_b32 v99, v100, v99, v101
.LBB2_1739:                             ;   in Loop: Header=BB2_1719 Depth=2
	s_or_b32 exec_lo, exec_lo, s23
	v_lshrrev_b16 v100, 8, v10
	s_mov_b32 s7, 0
	s_mov_b32 s24, exec_lo
                                        ; implicit-def: $sgpr23
	s_delay_alu instid0(VALU_DEP_1)
	v_cmpx_lt_i16_e32 0x7f, v100
	s_xor_b32 s24, exec_lo, s24
	s_cbranch_execnz .LBB2_1985
; %bb.1740:                             ;   in Loop: Header=BB2_1719 Depth=2
	s_or_saveexec_b32 s24, s24
	v_mov_b32_e32 v101, s23
	s_xor_b32 exec_lo, exec_lo, s24
	s_cbranch_execnz .LBB2_1988
.LBB2_1741:                             ;   in Loop: Header=BB2_1719 Depth=2
	s_or_b32 exec_lo, exec_lo, s24
	s_and_saveexec_b32 s23, s7
	s_cbranch_execz .LBB2_1743
.LBB2_1742:                             ;   in Loop: Header=BB2_1719 Depth=2
	v_and_b32_e32 v101, 0xffff, v100
	v_lshlrev_b32_e32 v100, 24, v100
	s_delay_alu instid0(VALU_DEP_2) | instskip(NEXT) | instid1(VALU_DEP_2)
	v_and_b32_e32 v102, 3, v101
	v_and_b32_e32 v100, 0x80000000, v100
	s_delay_alu instid0(VALU_DEP_2) | instskip(NEXT) | instid1(VALU_DEP_1)
	v_clz_i32_u32_e32 v103, v102
	v_min_u32_e32 v103, 32, v103
	s_delay_alu instid0(VALU_DEP_1) | instskip(SKIP_1) | instid1(VALU_DEP_2)
	v_subrev_nc_u32_e32 v112, 29, v103
	v_sub_nc_u32_e32 v103, 30, v103
	v_lshlrev_b32_e32 v112, v112, v101
	v_bfe_u32 v101, v101, 2, 5
	s_delay_alu instid0(VALU_DEP_2) | instskip(NEXT) | instid1(VALU_DEP_2)
	v_and_b32_e32 v112, 3, v112
	v_cmp_eq_u32_e32 vcc_lo, 0, v101
	s_delay_alu instid0(VALU_DEP_2) | instskip(NEXT) | instid1(VALU_DEP_1)
	v_dual_cndmask_b32 v101, v101, v103 :: v_dual_cndmask_b32 v102, v102, v112
	v_lshl_add_u32 v101, v101, 23, 0x37800000
	s_delay_alu instid0(VALU_DEP_2) | instskip(NEXT) | instid1(VALU_DEP_1)
	v_lshlrev_b32_e32 v102, 21, v102
	v_or3_b32 v101, v100, v101, v102
.LBB2_1743:                             ;   in Loop: Header=BB2_1719 Depth=2
	s_or_b32 exec_lo, exec_lo, s23
	s_delay_alu instid0(VALU_DEP_1) | instskip(NEXT) | instid1(VALU_DEP_1)
	v_mul_f32_e32 v100, v99, v101
	v_and_b32_e32 v99, 0x7f800000, v100
	s_delay_alu instid0(VALU_DEP_1)
	v_cmp_ne_u32_e32 vcc_lo, 0x7f800000, v99
	v_mov_b32_e32 v99, 0x80
	s_and_saveexec_b32 s23, vcc_lo
	s_cbranch_execz .LBB2_1751
; %bb.1744:                             ;   in Loop: Header=BB2_1719 Depth=2
	v_mov_b32_e32 v99, 0
	s_mov_b32 s24, exec_lo
	v_cmpx_ne_u32_e32 0, v100
	s_cbranch_execz .LBB2_1750
; %bb.1745:                             ;   in Loop: Header=BB2_1719 Depth=2
	v_bfe_u32 v99, v100, 23, 8
	s_delay_alu instid0(VALU_DEP_1) | instskip(SKIP_1) | instid1(VALU_DEP_2)
	v_sub_nc_u32_e32 v102, 0x70, v99
	v_cmp_gt_u32_e32 vcc_lo, 0x71, v99
	v_dual_cndmask_b32 v102, 0, v102 :: v_dual_and_b32 v101, 0x7fffff, v100
	s_delay_alu instid0(VALU_DEP_1) | instskip(SKIP_2) | instid1(VALU_DEP_4)
	v_or_b32_e32 v103, 0x800000, v101
	v_cmp_eq_u32_e32 vcc_lo, 0, v99
	v_add_nc_u32_e32 v99, 0xffffff91, v99
	v_cndmask_b32_e64 v102, v102, 0x6f, vcc_lo
	s_delay_alu instid0(VALU_DEP_2) | instskip(SKIP_1) | instid1(VALU_DEP_3)
	v_cndmask_b32_e64 v99, v99, 0xffffff92, vcc_lo
	v_cndmask_b32_e32 v101, v103, v101, vcc_lo
	v_lshl_add_u32 v103, 0x200000, v102, -1
	v_lshlrev_b32_e64 v114, v102, 0x100000
	s_delay_alu instid0(VALU_DEP_3) | instskip(SKIP_1) | instid1(VALU_DEP_4)
	v_lshrrev_b32_e32 v112, v102, v101
	v_add_nc_u32_e32 v102, v102, v99
	v_and_b32_e32 v101, v103, v101
	s_delay_alu instid0(VALU_DEP_3) | instskip(NEXT) | instid1(VALU_DEP_2)
	v_bfe_u32 v113, v112, 21, 1
	v_cmp_eq_u32_e64 s7, v101, v114
	s_delay_alu instid0(VALU_DEP_2) | instskip(NEXT) | instid1(VALU_DEP_1)
	v_add_nc_u32_e32 v103, -1, v113
	v_cndmask_b32_e64 v101, 0, v103, s7
	v_lshrrev_b32_e32 v103, 23, v112
	s_mov_b32 s7, exec_lo
	s_delay_alu instid0(VALU_DEP_2) | instskip(NEXT) | instid1(VALU_DEP_2)
	v_add_nc_u32_e32 v101, v101, v112
	v_xor_b32_e32 v103, 1, v103
	s_delay_alu instid0(VALU_DEP_2) | instskip(NEXT) | instid1(VALU_DEP_1)
	v_and_b32_e32 v99, 0x1fffff, v101
	v_add_nc_u32_e32 v101, v99, v112
                                        ; implicit-def: $vgpr99
	s_delay_alu instid0(VALU_DEP_3)
	v_cmpx_ne_u32_e64 v102, v103
	s_xor_b32 s7, exec_lo, s7
; %bb.1746:                             ;   in Loop: Header=BB2_1719 Depth=2
	s_delay_alu instid0(VALU_DEP_2) | instskip(SKIP_2) | instid1(VALU_DEP_2)
	v_cmp_lt_u32_e32 vcc_lo, 0xffffff, v101
	v_sub_nc_u32_e32 v99, v102, v103
	v_cndmask_b32_e64 v102, 0, 1, vcc_lo
	v_add_co_ci_u32_e32 v99, vcc_lo, 0, v99, vcc_lo
	s_delay_alu instid0(VALU_DEP_2)
	v_lshrrev_b32_e32 v101, v102, v101
; %bb.1747:                             ;   in Loop: Header=BB2_1719 Depth=2
	s_and_not1_saveexec_b32 s7, s7
; %bb.1748:                             ;   in Loop: Header=BB2_1719 Depth=2
	s_delay_alu instid0(VALU_DEP_1)
	v_bfe_u32 v99, v101, 23, 1
; %bb.1749:                             ;   in Loop: Header=BB2_1719 Depth=2
	s_or_b32 exec_lo, exec_lo, s7
	v_lshrrev_b32_e32 v101, 21, v101
	s_delay_alu instid0(VALU_DEP_2) | instskip(SKIP_2) | instid1(VALU_DEP_2)
	v_cmp_gt_i32_e32 vcc_lo, 32, v99
	v_lshrrev_b32_e32 v100, 24, v100
	v_min_i32_e32 v102, 31, v99
	v_dual_cndmask_b32 v101, 3, v101 :: v_dual_and_b32 v100, 0x80, v100
	s_delay_alu instid0(VALU_DEP_1) | instskip(SKIP_1) | instid1(VALU_DEP_2)
	v_or_b32_e32 v99, v99, v101
	v_and_b32_e32 v103, 3, v101
	v_cmp_ne_u32_e32 vcc_lo, 0, v99
	v_lshlrev_b32_e32 v102, 2, v102
	s_delay_alu instid0(VALU_DEP_1) | instskip(NEXT) | instid1(VALU_DEP_1)
	v_or3_b32 v100, v102, v100, v103
	v_cndmask_b32_e32 v99, 0, v100, vcc_lo
.LBB2_1750:                             ;   in Loop: Header=BB2_1719 Depth=2
	s_or_b32 exec_lo, exec_lo, s24
.LBB2_1751:                             ;   in Loop: Header=BB2_1719 Depth=2
	s_delay_alu instid0(SALU_CYCLE_1) | instskip(SKIP_3) | instid1(VALU_DEP_1)
	s_or_b32 exec_lo, exec_lo, s23
	v_lshrrev_b32_e32 v101, 16, v14
	s_mov_b32 s7, 0
	s_mov_b32 s24, exec_lo
                                        ; implicit-def: $sgpr23
	v_and_b32_e32 v102, 0xff, v101
	s_delay_alu instid0(VALU_DEP_1)
	v_cmpx_lt_i16_e32 0x7f, v102
	s_xor_b32 s24, exec_lo, s24
	s_cbranch_execnz .LBB2_1989
; %bb.1752:                             ;   in Loop: Header=BB2_1719 Depth=2
	s_or_saveexec_b32 s24, s24
	v_mov_b32_e32 v100, s23
	s_xor_b32 exec_lo, exec_lo, s24
	s_cbranch_execnz .LBB2_1992
.LBB2_1753:                             ;   in Loop: Header=BB2_1719 Depth=2
	s_or_b32 exec_lo, exec_lo, s24
	s_and_saveexec_b32 s23, s7
	s_cbranch_execz .LBB2_1755
.LBB2_1754:                             ;   in Loop: Header=BB2_1719 Depth=2
	v_bfe_u32 v100, v14, 16, 2
	v_lshlrev_b32_e32 v112, 8, v14
	s_delay_alu instid0(VALU_DEP_2) | instskip(NEXT) | instid1(VALU_DEP_1)
	v_clz_i32_u32_e32 v102, v100
	v_min_u32_e32 v102, 32, v102
	s_delay_alu instid0(VALU_DEP_1) | instskip(SKIP_1) | instid1(VALU_DEP_2)
	v_subrev_nc_u32_e32 v103, 29, v102
	v_sub_nc_u32_e32 v102, 30, v102
	v_lshlrev_b32_e32 v101, v103, v101
	v_bfe_u32 v103, v14, 18, 5
	s_delay_alu instid0(VALU_DEP_1) | instskip(NEXT) | instid1(VALU_DEP_3)
	v_cmp_eq_u32_e32 vcc_lo, 0, v103
	v_dual_cndmask_b32 v102, v103, v102 :: v_dual_and_b32 v101, 3, v101
	s_delay_alu instid0(VALU_DEP_1) | instskip(NEXT) | instid1(VALU_DEP_2)
	v_dual_cndmask_b32 v100, v100, v101 :: v_dual_and_b32 v101, 0x80000000, v112
	v_lshl_add_u32 v102, v102, 23, 0x37800000
	s_delay_alu instid0(VALU_DEP_2) | instskip(NEXT) | instid1(VALU_DEP_1)
	v_lshlrev_b32_e32 v100, 21, v100
	v_or3_b32 v100, v101, v102, v100
.LBB2_1755:                             ;   in Loop: Header=BB2_1719 Depth=2
	s_or_b32 exec_lo, exec_lo, s23
	v_lshrrev_b32_e32 v101, 16, v10
	s_mov_b32 s7, 0
	s_mov_b32 s24, exec_lo
                                        ; implicit-def: $sgpr23
	s_delay_alu instid0(VALU_DEP_1) | instskip(NEXT) | instid1(VALU_DEP_1)
	v_and_b32_e32 v103, 0xff, v101
	v_cmpx_lt_i16_e32 0x7f, v103
	s_xor_b32 s24, exec_lo, s24
	s_cbranch_execnz .LBB2_1993
; %bb.1756:                             ;   in Loop: Header=BB2_1719 Depth=2
	s_or_saveexec_b32 s24, s24
	v_mov_b32_e32 v102, s23
	s_xor_b32 exec_lo, exec_lo, s24
	s_cbranch_execnz .LBB2_1996
.LBB2_1757:                             ;   in Loop: Header=BB2_1719 Depth=2
	s_or_b32 exec_lo, exec_lo, s24
	s_and_saveexec_b32 s23, s7
	s_cbranch_execz .LBB2_1759
.LBB2_1758:                             ;   in Loop: Header=BB2_1719 Depth=2
	v_bfe_u32 v102, v10, 16, 2
	v_lshlrev_b32_e32 v113, 8, v10
	s_delay_alu instid0(VALU_DEP_2) | instskip(NEXT) | instid1(VALU_DEP_1)
	v_clz_i32_u32_e32 v103, v102
	v_min_u32_e32 v103, 32, v103
	s_delay_alu instid0(VALU_DEP_1) | instskip(SKIP_1) | instid1(VALU_DEP_2)
	v_subrev_nc_u32_e32 v112, 29, v103
	v_sub_nc_u32_e32 v103, 30, v103
	v_lshlrev_b32_e32 v101, v112, v101
	v_bfe_u32 v112, v10, 18, 5
	s_delay_alu instid0(VALU_DEP_2) | instskip(NEXT) | instid1(VALU_DEP_2)
	v_and_b32_e32 v101, 3, v101
	v_cmp_eq_u32_e32 vcc_lo, 0, v112
	v_cndmask_b32_e32 v103, v112, v103, vcc_lo
	s_delay_alu instid0(VALU_DEP_3) | instskip(SKIP_1) | instid1(VALU_DEP_3)
	v_cndmask_b32_e32 v101, v102, v101, vcc_lo
	v_and_b32_e32 v102, 0x80000000, v113
	v_lshl_add_u32 v103, v103, 23, 0x37800000
	s_delay_alu instid0(VALU_DEP_3) | instskip(NEXT) | instid1(VALU_DEP_1)
	v_lshlrev_b32_e32 v101, 21, v101
	v_or3_b32 v102, v102, v103, v101
.LBB2_1759:                             ;   in Loop: Header=BB2_1719 Depth=2
	s_or_b32 exec_lo, exec_lo, s23
	s_delay_alu instid0(VALU_DEP_1) | instskip(NEXT) | instid1(VALU_DEP_1)
	v_mul_f32_e32 v101, v100, v102
	v_and_b32_e32 v100, 0x7f800000, v101
	s_delay_alu instid0(VALU_DEP_1)
	v_cmp_ne_u32_e32 vcc_lo, 0x7f800000, v100
	v_mov_b32_e32 v100, 0x80
	s_and_saveexec_b32 s23, vcc_lo
	s_cbranch_execz .LBB2_1767
; %bb.1760:                             ;   in Loop: Header=BB2_1719 Depth=2
	v_mov_b32_e32 v100, 0
	s_mov_b32 s24, exec_lo
	v_cmpx_ne_u32_e32 0, v101
	s_cbranch_execz .LBB2_1766
; %bb.1761:                             ;   in Loop: Header=BB2_1719 Depth=2
	v_bfe_u32 v100, v101, 23, 8
	s_delay_alu instid0(VALU_DEP_1) | instskip(SKIP_1) | instid1(VALU_DEP_2)
	v_sub_nc_u32_e32 v103, 0x70, v100
	v_cmp_gt_u32_e32 vcc_lo, 0x71, v100
	v_dual_cndmask_b32 v103, 0, v103 :: v_dual_and_b32 v102, 0x7fffff, v101
	s_delay_alu instid0(VALU_DEP_1) | instskip(SKIP_2) | instid1(VALU_DEP_4)
	v_or_b32_e32 v112, 0x800000, v102
	v_cmp_eq_u32_e32 vcc_lo, 0, v100
	v_add_nc_u32_e32 v100, 0xffffff91, v100
	v_cndmask_b32_e64 v103, v103, 0x6f, vcc_lo
	s_delay_alu instid0(VALU_DEP_2) | instskip(SKIP_1) | instid1(VALU_DEP_3)
	v_cndmask_b32_e64 v100, v100, 0xffffff92, vcc_lo
	v_cndmask_b32_e32 v102, v112, v102, vcc_lo
	v_lshl_add_u32 v112, 0x200000, v103, -1
	v_lshlrev_b32_e64 v115, v103, 0x100000
	s_delay_alu instid0(VALU_DEP_3) | instskip(SKIP_1) | instid1(VALU_DEP_4)
	v_lshrrev_b32_e32 v113, v103, v102
	v_add_nc_u32_e32 v103, v103, v100
	v_and_b32_e32 v102, v112, v102
	s_delay_alu instid0(VALU_DEP_3) | instskip(NEXT) | instid1(VALU_DEP_2)
	v_bfe_u32 v114, v113, 21, 1
	v_cmp_eq_u32_e64 s7, v102, v115
	s_delay_alu instid0(VALU_DEP_2) | instskip(NEXT) | instid1(VALU_DEP_1)
	v_add_nc_u32_e32 v112, -1, v114
	v_cndmask_b32_e64 v102, 0, v112, s7
	v_lshrrev_b32_e32 v112, 23, v113
	s_mov_b32 s7, exec_lo
	s_delay_alu instid0(VALU_DEP_2) | instskip(NEXT) | instid1(VALU_DEP_2)
	v_add_nc_u32_e32 v102, v102, v113
	v_xor_b32_e32 v112, 1, v112
	s_delay_alu instid0(VALU_DEP_2) | instskip(NEXT) | instid1(VALU_DEP_1)
	v_and_b32_e32 v100, 0x1fffff, v102
	v_add_nc_u32_e32 v102, v100, v113
                                        ; implicit-def: $vgpr100
	s_delay_alu instid0(VALU_DEP_3)
	v_cmpx_ne_u32_e64 v103, v112
	s_xor_b32 s7, exec_lo, s7
; %bb.1762:                             ;   in Loop: Header=BB2_1719 Depth=2
	s_delay_alu instid0(VALU_DEP_2) | instskip(SKIP_2) | instid1(VALU_DEP_2)
	v_cmp_lt_u32_e32 vcc_lo, 0xffffff, v102
	v_sub_nc_u32_e32 v100, v103, v112
	v_cndmask_b32_e64 v103, 0, 1, vcc_lo
	v_add_co_ci_u32_e32 v100, vcc_lo, 0, v100, vcc_lo
	s_delay_alu instid0(VALU_DEP_2)
	v_lshrrev_b32_e32 v102, v103, v102
; %bb.1763:                             ;   in Loop: Header=BB2_1719 Depth=2
	s_and_not1_saveexec_b32 s7, s7
; %bb.1764:                             ;   in Loop: Header=BB2_1719 Depth=2
	s_delay_alu instid0(VALU_DEP_1)
	v_bfe_u32 v100, v102, 23, 1
; %bb.1765:                             ;   in Loop: Header=BB2_1719 Depth=2
	s_or_b32 exec_lo, exec_lo, s7
	v_lshrrev_b32_e32 v102, 21, v102
	s_delay_alu instid0(VALU_DEP_2) | instskip(SKIP_2) | instid1(VALU_DEP_2)
	v_cmp_gt_i32_e32 vcc_lo, 32, v100
	v_lshrrev_b32_e32 v101, 24, v101
	v_min_i32_e32 v103, 31, v100
	v_dual_cndmask_b32 v102, 3, v102 :: v_dual_and_b32 v101, 0x80, v101
	s_delay_alu instid0(VALU_DEP_1) | instskip(SKIP_1) | instid1(VALU_DEP_2)
	v_or_b32_e32 v100, v100, v102
	v_and_b32_e32 v112, 3, v102
	v_cmp_ne_u32_e32 vcc_lo, 0, v100
	v_lshlrev_b32_e32 v103, 2, v103
	s_delay_alu instid0(VALU_DEP_1) | instskip(NEXT) | instid1(VALU_DEP_1)
	v_or3_b32 v101, v103, v101, v112
	v_cndmask_b32_e32 v100, 0, v101, vcc_lo
.LBB2_1766:                             ;   in Loop: Header=BB2_1719 Depth=2
	s_or_b32 exec_lo, exec_lo, s24
.LBB2_1767:                             ;   in Loop: Header=BB2_1719 Depth=2
	s_delay_alu instid0(SALU_CYCLE_1) | instskip(SKIP_3) | instid1(VALU_DEP_1)
	s_or_b32 exec_lo, exec_lo, s23
	v_lshrrev_b32_e32 v102, 24, v14
	s_mov_b32 s7, 0
	s_mov_b32 s24, exec_lo
                                        ; implicit-def: $sgpr23
	v_cmpx_lt_i16_e32 0x7f, v102
	s_xor_b32 s24, exec_lo, s24
	s_cbranch_execnz .LBB2_1997
; %bb.1768:                             ;   in Loop: Header=BB2_1719 Depth=2
	s_or_saveexec_b32 s24, s24
	v_mov_b32_e32 v101, s23
	s_xor_b32 exec_lo, exec_lo, s24
	s_cbranch_execnz .LBB2_2000
.LBB2_1769:                             ;   in Loop: Header=BB2_1719 Depth=2
	s_or_b32 exec_lo, exec_lo, s24
	s_and_saveexec_b32 s23, s7
	s_cbranch_execz .LBB2_1771
.LBB2_1770:                             ;   in Loop: Header=BB2_1719 Depth=2
	v_bfe_u32 v101, v14, 24, 2
	s_delay_alu instid0(VALU_DEP_1) | instskip(NEXT) | instid1(VALU_DEP_1)
	v_clz_i32_u32_e32 v103, v101
	v_min_u32_e32 v103, 32, v103
	s_delay_alu instid0(VALU_DEP_1) | instskip(SKIP_1) | instid1(VALU_DEP_2)
	v_subrev_nc_u32_e32 v112, 29, v103
	v_sub_nc_u32_e32 v103, 30, v103
	v_lshlrev_b32_e32 v102, v112, v102
	v_bfe_u32 v112, v14, 26, 5
	v_and_b32_e32 v14, 0x80000000, v14
	s_delay_alu instid0(VALU_DEP_2) | instskip(NEXT) | instid1(VALU_DEP_4)
	v_cmp_eq_u32_e32 vcc_lo, 0, v112
	v_dual_cndmask_b32 v103, v112, v103 :: v_dual_and_b32 v102, 3, v102
	s_delay_alu instid0(VALU_DEP_1) | instskip(NEXT) | instid1(VALU_DEP_2)
	v_cndmask_b32_e32 v101, v101, v102, vcc_lo
	v_lshl_add_u32 v102, v103, 23, 0x37800000
	s_delay_alu instid0(VALU_DEP_2) | instskip(NEXT) | instid1(VALU_DEP_1)
	v_lshlrev_b32_e32 v101, 21, v101
	v_or3_b32 v101, v14, v102, v101
.LBB2_1771:                             ;   in Loop: Header=BB2_1719 Depth=2
	s_or_b32 exec_lo, exec_lo, s23
	v_lshrrev_b32_e32 v14, 24, v10
	s_mov_b32 s7, 0
	s_mov_b32 s24, exec_lo
                                        ; implicit-def: $sgpr23
	s_delay_alu instid0(VALU_DEP_1)
	v_cmpx_lt_i16_e32 0x7f, v14
	s_xor_b32 s24, exec_lo, s24
	s_cbranch_execnz .LBB2_2001
; %bb.1772:                             ;   in Loop: Header=BB2_1719 Depth=2
	s_or_saveexec_b32 s24, s24
	v_mov_b32_e32 v102, s23
	s_xor_b32 exec_lo, exec_lo, s24
	s_cbranch_execnz .LBB2_2004
.LBB2_1773:                             ;   in Loop: Header=BB2_1719 Depth=2
	s_or_b32 exec_lo, exec_lo, s24
	s_and_saveexec_b32 s23, s7
	s_cbranch_execz .LBB2_1775
.LBB2_1774:                             ;   in Loop: Header=BB2_1719 Depth=2
	v_bfe_u32 v102, v10, 24, 2
	s_delay_alu instid0(VALU_DEP_1) | instskip(NEXT) | instid1(VALU_DEP_1)
	v_clz_i32_u32_e32 v103, v102
	v_min_u32_e32 v103, 32, v103
	s_delay_alu instid0(VALU_DEP_1) | instskip(SKIP_1) | instid1(VALU_DEP_2)
	v_subrev_nc_u32_e32 v112, 29, v103
	v_sub_nc_u32_e32 v103, 30, v103
	v_lshlrev_b32_e32 v14, v112, v14
	v_bfe_u32 v112, v10, 26, 5
	v_and_b32_e32 v10, 0x80000000, v10
	s_delay_alu instid0(VALU_DEP_2) | instskip(NEXT) | instid1(VALU_DEP_4)
	v_cmp_eq_u32_e32 vcc_lo, 0, v112
	v_dual_cndmask_b32 v103, v112, v103 :: v_dual_and_b32 v14, 3, v14
	s_delay_alu instid0(VALU_DEP_1) | instskip(NEXT) | instid1(VALU_DEP_2)
	v_cndmask_b32_e32 v14, v102, v14, vcc_lo
	v_lshl_add_u32 v102, v103, 23, 0x37800000
	s_delay_alu instid0(VALU_DEP_2) | instskip(NEXT) | instid1(VALU_DEP_1)
	v_lshlrev_b32_e32 v14, 21, v14
	v_or3_b32 v102, v10, v102, v14
.LBB2_1775:                             ;   in Loop: Header=BB2_1719 Depth=2
	s_or_b32 exec_lo, exec_lo, s23
	s_delay_alu instid0(VALU_DEP_1) | instskip(NEXT) | instid1(VALU_DEP_1)
	v_mul_f32_e32 v14, v101, v102
	v_and_b32_e32 v10, 0x7f800000, v14
	s_delay_alu instid0(VALU_DEP_1)
	v_cmp_ne_u32_e32 vcc_lo, 0x7f800000, v10
	v_mov_b32_e32 v10, 0x80
	s_and_saveexec_b32 s23, vcc_lo
	s_cbranch_execz .LBB2_1783
; %bb.1776:                             ;   in Loop: Header=BB2_1719 Depth=2
	v_mov_b32_e32 v10, 0
	s_mov_b32 s24, exec_lo
	v_cmpx_ne_u32_e32 0, v14
	s_cbranch_execz .LBB2_1782
; %bb.1777:                             ;   in Loop: Header=BB2_1719 Depth=2
	v_bfe_u32 v10, v14, 23, 8
	v_and_b32_e32 v101, 0x7fffff, v14
	s_delay_alu instid0(VALU_DEP_2) | instskip(SKIP_1) | instid1(VALU_DEP_3)
	v_sub_nc_u32_e32 v102, 0x70, v10
	v_cmp_gt_u32_e32 vcc_lo, 0x71, v10
	v_or_b32_e32 v103, 0x800000, v101
	s_delay_alu instid0(VALU_DEP_3) | instskip(SKIP_1) | instid1(VALU_DEP_3)
	v_cndmask_b32_e32 v102, 0, v102, vcc_lo
	v_cmp_eq_u32_e32 vcc_lo, 0, v10
	v_dual_cndmask_b32 v101, v103, v101 :: v_dual_add_nc_u32 v10, 0xffffff91, v10
	s_delay_alu instid0(VALU_DEP_3) | instskip(NEXT) | instid1(VALU_DEP_2)
	v_cndmask_b32_e64 v102, v102, 0x6f, vcc_lo
	v_cndmask_b32_e64 v10, v10, 0xffffff92, vcc_lo
	s_delay_alu instid0(VALU_DEP_2) | instskip(SKIP_2) | instid1(VALU_DEP_4)
	v_lshrrev_b32_e32 v112, v102, v101
	v_lshl_add_u32 v103, 0x200000, v102, -1
	v_lshlrev_b32_e64 v114, v102, 0x100000
	v_add_nc_u32_e32 v102, v102, v10
	s_delay_alu instid0(VALU_DEP_4) | instskip(NEXT) | instid1(VALU_DEP_4)
	v_bfe_u32 v113, v112, 21, 1
	v_and_b32_e32 v101, v103, v101
	s_delay_alu instid0(VALU_DEP_2) | instskip(NEXT) | instid1(VALU_DEP_2)
	v_add_nc_u32_e32 v103, -1, v113
	v_cmp_eq_u32_e64 s7, v101, v114
	s_delay_alu instid0(VALU_DEP_1) | instskip(SKIP_2) | instid1(VALU_DEP_2)
	v_cndmask_b32_e64 v101, 0, v103, s7
	v_lshrrev_b32_e32 v103, 23, v112
	s_mov_b32 s7, exec_lo
	v_add_nc_u32_e32 v101, v101, v112
	s_delay_alu instid0(VALU_DEP_2) | instskip(NEXT) | instid1(VALU_DEP_2)
	v_xor_b32_e32 v103, 1, v103
	v_and_b32_e32 v10, 0x1fffff, v101
	s_delay_alu instid0(VALU_DEP_1) | instskip(NEXT) | instid1(VALU_DEP_3)
	v_add_nc_u32_e32 v101, v10, v112
                                        ; implicit-def: $vgpr10
	v_cmpx_ne_u32_e64 v102, v103
	s_xor_b32 s7, exec_lo, s7
; %bb.1778:                             ;   in Loop: Header=BB2_1719 Depth=2
	s_delay_alu instid0(VALU_DEP_2) | instskip(SKIP_2) | instid1(VALU_DEP_2)
	v_cmp_lt_u32_e32 vcc_lo, 0xffffff, v101
	v_sub_nc_u32_e32 v10, v102, v103
	v_cndmask_b32_e64 v102, 0, 1, vcc_lo
	v_add_co_ci_u32_e32 v10, vcc_lo, 0, v10, vcc_lo
	s_delay_alu instid0(VALU_DEP_2)
	v_lshrrev_b32_e32 v101, v102, v101
; %bb.1779:                             ;   in Loop: Header=BB2_1719 Depth=2
	s_and_not1_saveexec_b32 s7, s7
; %bb.1780:                             ;   in Loop: Header=BB2_1719 Depth=2
	s_delay_alu instid0(VALU_DEP_1)
	v_bfe_u32 v10, v101, 23, 1
; %bb.1781:                             ;   in Loop: Header=BB2_1719 Depth=2
	s_or_b32 exec_lo, exec_lo, s7
	v_lshrrev_b32_e32 v101, 21, v101
	s_delay_alu instid0(VALU_DEP_2) | instskip(SKIP_2) | instid1(VALU_DEP_2)
	v_cmp_gt_i32_e32 vcc_lo, 32, v10
	v_lshrrev_b32_e32 v14, 24, v14
	v_min_i32_e32 v102, 31, v10
	v_dual_cndmask_b32 v101, 3, v101 :: v_dual_and_b32 v14, 0x80, v14
	s_delay_alu instid0(VALU_DEP_2) | instskip(NEXT) | instid1(VALU_DEP_2)
	v_lshlrev_b32_e32 v102, 2, v102
	v_or_b32_e32 v10, v10, v101
	s_delay_alu instid0(VALU_DEP_1) | instskip(SKIP_1) | instid1(VALU_DEP_1)
	v_cmp_ne_u32_e32 vcc_lo, 0, v10
	v_and_b32_e32 v103, 3, v101
	v_or3_b32 v14, v102, v14, v103
	s_delay_alu instid0(VALU_DEP_1)
	v_cndmask_b32_e32 v10, 0, v14, vcc_lo
.LBB2_1782:                             ;   in Loop: Header=BB2_1719 Depth=2
	s_or_b32 exec_lo, exec_lo, s24
.LBB2_1783:                             ;   in Loop: Header=BB2_1719 Depth=2
	s_delay_alu instid0(SALU_CYCLE_1) | instskip(SKIP_3) | instid1(VALU_DEP_1)
	s_or_b32 exec_lo, exec_lo, s23
	v_and_b32_e32 v101, 0xff, v15
	s_mov_b32 s7, 0
	s_mov_b32 s24, exec_lo
                                        ; implicit-def: $sgpr23
	v_cmpx_lt_i16_e32 0x7f, v101
	s_xor_b32 s24, exec_lo, s24
	s_cbranch_execnz .LBB2_2005
; %bb.1784:                             ;   in Loop: Header=BB2_1719 Depth=2
	s_or_saveexec_b32 s24, s24
	v_mov_b32_e32 v14, s23
	s_xor_b32 exec_lo, exec_lo, s24
	s_cbranch_execnz .LBB2_2008
.LBB2_1785:                             ;   in Loop: Header=BB2_1719 Depth=2
	s_or_b32 exec_lo, exec_lo, s24
	s_and_saveexec_b32 s23, s7
	s_cbranch_execz .LBB2_1787
.LBB2_1786:                             ;   in Loop: Header=BB2_1719 Depth=2
	v_bfe_u32 v103, v15, 2, 5
	v_lshlrev_b32_e32 v112, 24, v15
	s_delay_alu instid0(VALU_DEP_2) | instskip(SKIP_1) | instid1(VALU_DEP_1)
	v_cmp_eq_u32_e32 vcc_lo, 0, v103
	v_and_b32_e32 v14, 3, v15
	v_clz_i32_u32_e32 v101, v14
	s_delay_alu instid0(VALU_DEP_1) | instskip(NEXT) | instid1(VALU_DEP_1)
	v_min_u32_e32 v101, 32, v101
	v_subrev_nc_u32_e32 v102, 29, v101
	v_sub_nc_u32_e32 v101, 30, v101
	s_delay_alu instid0(VALU_DEP_1) | instskip(NEXT) | instid1(VALU_DEP_1)
	v_dual_cndmask_b32 v101, v103, v101 :: v_dual_lshlrev_b32 v102, v102, v15
	v_and_b32_e32 v102, 3, v102
	s_delay_alu instid0(VALU_DEP_2) | instskip(NEXT) | instid1(VALU_DEP_2)
	v_lshl_add_u32 v101, v101, 23, 0x37800000
	v_cndmask_b32_e32 v14, v14, v102, vcc_lo
	v_and_b32_e32 v102, 0x80000000, v112
	s_delay_alu instid0(VALU_DEP_2) | instskip(NEXT) | instid1(VALU_DEP_1)
	v_lshlrev_b32_e32 v14, 21, v14
	v_or3_b32 v14, v102, v101, v14
.LBB2_1787:                             ;   in Loop: Header=BB2_1719 Depth=2
	s_or_b32 exec_lo, exec_lo, s23
	v_and_b32_e32 v102, 0xff, v11
	s_mov_b32 s7, 0
	s_mov_b32 s24, exec_lo
                                        ; implicit-def: $sgpr23
	s_delay_alu instid0(VALU_DEP_1)
	v_cmpx_lt_i16_e32 0x7f, v102
	s_xor_b32 s24, exec_lo, s24
	s_cbranch_execnz .LBB2_2009
; %bb.1788:                             ;   in Loop: Header=BB2_1719 Depth=2
	s_or_saveexec_b32 s24, s24
	v_mov_b32_e32 v101, s23
	s_xor_b32 exec_lo, exec_lo, s24
	s_cbranch_execnz .LBB2_2012
.LBB2_1789:                             ;   in Loop: Header=BB2_1719 Depth=2
	s_or_b32 exec_lo, exec_lo, s24
	s_and_saveexec_b32 s23, s7
	s_cbranch_execz .LBB2_1791
.LBB2_1790:                             ;   in Loop: Header=BB2_1719 Depth=2
	v_bfe_u32 v112, v11, 2, 5
	v_lshlrev_b32_e32 v113, 24, v11
	s_delay_alu instid0(VALU_DEP_2) | instskip(SKIP_1) | instid1(VALU_DEP_1)
	v_cmp_eq_u32_e32 vcc_lo, 0, v112
	v_and_b32_e32 v101, 3, v11
	v_clz_i32_u32_e32 v102, v101
	s_delay_alu instid0(VALU_DEP_1) | instskip(NEXT) | instid1(VALU_DEP_1)
	v_min_u32_e32 v102, 32, v102
	v_subrev_nc_u32_e32 v103, 29, v102
	v_sub_nc_u32_e32 v102, 30, v102
	s_delay_alu instid0(VALU_DEP_1) | instskip(NEXT) | instid1(VALU_DEP_1)
	v_dual_cndmask_b32 v102, v112, v102 :: v_dual_lshlrev_b32 v103, v103, v11
	v_and_b32_e32 v103, 3, v103
	s_delay_alu instid0(VALU_DEP_2) | instskip(NEXT) | instid1(VALU_DEP_2)
	v_lshl_add_u32 v102, v102, 23, 0x37800000
	v_cndmask_b32_e32 v101, v101, v103, vcc_lo
	v_and_b32_e32 v103, 0x80000000, v113
	s_delay_alu instid0(VALU_DEP_2) | instskip(NEXT) | instid1(VALU_DEP_1)
	v_lshlrev_b32_e32 v101, 21, v101
	v_or3_b32 v101, v103, v102, v101
.LBB2_1791:                             ;   in Loop: Header=BB2_1719 Depth=2
	s_or_b32 exec_lo, exec_lo, s23
	s_delay_alu instid0(VALU_DEP_1) | instskip(NEXT) | instid1(VALU_DEP_1)
	v_mul_f32_e32 v101, v14, v101
	v_and_b32_e32 v14, 0x7f800000, v101
	s_delay_alu instid0(VALU_DEP_1)
	v_cmp_ne_u32_e32 vcc_lo, 0x7f800000, v14
	v_mov_b32_e32 v14, 0x80
	s_and_saveexec_b32 s23, vcc_lo
	s_cbranch_execz .LBB2_1799
; %bb.1792:                             ;   in Loop: Header=BB2_1719 Depth=2
	v_mov_b32_e32 v14, 0
	s_mov_b32 s24, exec_lo
	v_cmpx_ne_u32_e32 0, v101
	s_cbranch_execz .LBB2_1798
; %bb.1793:                             ;   in Loop: Header=BB2_1719 Depth=2
	v_bfe_u32 v14, v101, 23, 8
	s_delay_alu instid0(VALU_DEP_1) | instskip(SKIP_1) | instid1(VALU_DEP_2)
	v_sub_nc_u32_e32 v103, 0x70, v14
	v_cmp_gt_u32_e32 vcc_lo, 0x71, v14
	v_dual_cndmask_b32 v103, 0, v103 :: v_dual_and_b32 v102, 0x7fffff, v101
	s_delay_alu instid0(VALU_DEP_1) | instskip(SKIP_2) | instid1(VALU_DEP_4)
	v_or_b32_e32 v112, 0x800000, v102
	v_cmp_eq_u32_e32 vcc_lo, 0, v14
	v_add_nc_u32_e32 v14, 0xffffff91, v14
	v_cndmask_b32_e64 v103, v103, 0x6f, vcc_lo
	s_delay_alu instid0(VALU_DEP_4) | instskip(NEXT) | instid1(VALU_DEP_3)
	v_cndmask_b32_e32 v102, v112, v102, vcc_lo
	v_cndmask_b32_e64 v14, v14, 0xffffff92, vcc_lo
	s_delay_alu instid0(VALU_DEP_3) | instskip(NEXT) | instid1(VALU_DEP_3)
	v_lshl_add_u32 v112, 0x200000, v103, -1
	v_lshrrev_b32_e32 v113, v103, v102
	v_lshlrev_b32_e64 v115, v103, 0x100000
	s_delay_alu instid0(VALU_DEP_4) | instskip(NEXT) | instid1(VALU_DEP_4)
	v_add_nc_u32_e32 v103, v103, v14
	v_and_b32_e32 v102, v112, v102
	s_delay_alu instid0(VALU_DEP_4) | instskip(NEXT) | instid1(VALU_DEP_2)
	v_bfe_u32 v114, v113, 21, 1
	v_cmp_eq_u32_e64 s7, v102, v115
	s_delay_alu instid0(VALU_DEP_2) | instskip(NEXT) | instid1(VALU_DEP_1)
	v_add_nc_u32_e32 v112, -1, v114
	v_cndmask_b32_e64 v102, 0, v112, s7
	v_lshrrev_b32_e32 v112, 23, v113
	s_mov_b32 s7, exec_lo
	s_delay_alu instid0(VALU_DEP_2) | instskip(NEXT) | instid1(VALU_DEP_2)
	v_add_nc_u32_e32 v102, v102, v113
	v_xor_b32_e32 v112, 1, v112
	s_delay_alu instid0(VALU_DEP_2) | instskip(NEXT) | instid1(VALU_DEP_1)
	v_and_b32_e32 v14, 0x1fffff, v102
	v_add_nc_u32_e32 v102, v14, v113
                                        ; implicit-def: $vgpr14
	s_delay_alu instid0(VALU_DEP_3)
	v_cmpx_ne_u32_e64 v103, v112
	s_xor_b32 s7, exec_lo, s7
; %bb.1794:                             ;   in Loop: Header=BB2_1719 Depth=2
	s_delay_alu instid0(VALU_DEP_2) | instskip(SKIP_2) | instid1(VALU_DEP_2)
	v_cmp_lt_u32_e32 vcc_lo, 0xffffff, v102
	v_sub_nc_u32_e32 v14, v103, v112
	v_cndmask_b32_e64 v103, 0, 1, vcc_lo
	v_add_co_ci_u32_e32 v14, vcc_lo, 0, v14, vcc_lo
	s_delay_alu instid0(VALU_DEP_2)
	v_lshrrev_b32_e32 v102, v103, v102
; %bb.1795:                             ;   in Loop: Header=BB2_1719 Depth=2
	s_and_not1_saveexec_b32 s7, s7
; %bb.1796:                             ;   in Loop: Header=BB2_1719 Depth=2
	s_delay_alu instid0(VALU_DEP_1)
	v_bfe_u32 v14, v102, 23, 1
; %bb.1797:                             ;   in Loop: Header=BB2_1719 Depth=2
	s_or_b32 exec_lo, exec_lo, s7
	v_lshrrev_b32_e32 v102, 21, v102
	s_delay_alu instid0(VALU_DEP_2) | instskip(SKIP_2) | instid1(VALU_DEP_2)
	v_cmp_gt_i32_e32 vcc_lo, 32, v14
	v_lshrrev_b32_e32 v101, 24, v101
	v_min_i32_e32 v103, 31, v14
	v_dual_cndmask_b32 v102, 3, v102 :: v_dual_and_b32 v101, 0x80, v101
	s_delay_alu instid0(VALU_DEP_1) | instskip(SKIP_1) | instid1(VALU_DEP_2)
	v_or_b32_e32 v14, v14, v102
	v_and_b32_e32 v112, 3, v102
	v_cmp_ne_u32_e32 vcc_lo, 0, v14
	v_lshlrev_b32_e32 v103, 2, v103
	s_delay_alu instid0(VALU_DEP_1) | instskip(NEXT) | instid1(VALU_DEP_1)
	v_or3_b32 v101, v103, v101, v112
	v_cndmask_b32_e32 v14, 0, v101, vcc_lo
.LBB2_1798:                             ;   in Loop: Header=BB2_1719 Depth=2
	s_or_b32 exec_lo, exec_lo, s24
.LBB2_1799:                             ;   in Loop: Header=BB2_1719 Depth=2
	s_delay_alu instid0(SALU_CYCLE_1) | instskip(SKIP_3) | instid1(VALU_DEP_1)
	s_or_b32 exec_lo, exec_lo, s23
	v_lshrrev_b16 v102, 8, v15
	s_mov_b32 s7, 0
	s_mov_b32 s24, exec_lo
                                        ; implicit-def: $sgpr23
	v_cmpx_lt_i16_e32 0x7f, v102
	s_xor_b32 s24, exec_lo, s24
	s_cbranch_execnz .LBB2_2013
; %bb.1800:                             ;   in Loop: Header=BB2_1719 Depth=2
	s_or_saveexec_b32 s24, s24
	v_mov_b32_e32 v101, s23
	s_xor_b32 exec_lo, exec_lo, s24
	s_cbranch_execnz .LBB2_2016
.LBB2_1801:                             ;   in Loop: Header=BB2_1719 Depth=2
	s_or_b32 exec_lo, exec_lo, s24
	s_and_saveexec_b32 s23, s7
	s_cbranch_execz .LBB2_1803
.LBB2_1802:                             ;   in Loop: Header=BB2_1719 Depth=2
	v_and_b32_e32 v101, 0xffff, v102
	s_delay_alu instid0(VALU_DEP_1) | instskip(NEXT) | instid1(VALU_DEP_1)
	v_and_b32_e32 v103, 3, v101
	v_clz_i32_u32_e32 v112, v103
	s_delay_alu instid0(VALU_DEP_1) | instskip(NEXT) | instid1(VALU_DEP_1)
	v_min_u32_e32 v112, 32, v112
	v_subrev_nc_u32_e32 v113, 29, v112
	v_sub_nc_u32_e32 v112, 30, v112
	s_delay_alu instid0(VALU_DEP_2) | instskip(SKIP_1) | instid1(VALU_DEP_2)
	v_lshlrev_b32_e32 v113, v113, v101
	v_bfe_u32 v101, v101, 2, 5
	v_and_b32_e32 v113, 3, v113
	s_delay_alu instid0(VALU_DEP_2) | instskip(SKIP_1) | instid1(VALU_DEP_1)
	v_cmp_eq_u32_e32 vcc_lo, 0, v101
	v_dual_cndmask_b32 v101, v101, v112 :: v_dual_lshlrev_b32 v102, 24, v102
	v_dual_cndmask_b32 v103, v103, v113 :: v_dual_and_b32 v102, 0x80000000, v102
	s_delay_alu instid0(VALU_DEP_2) | instskip(NEXT) | instid1(VALU_DEP_2)
	v_lshl_add_u32 v101, v101, 23, 0x37800000
	v_lshlrev_b32_e32 v103, 21, v103
	s_delay_alu instid0(VALU_DEP_1)
	v_or3_b32 v101, v102, v101, v103
.LBB2_1803:                             ;   in Loop: Header=BB2_1719 Depth=2
	s_or_b32 exec_lo, exec_lo, s23
	v_lshrrev_b16 v102, 8, v11
	s_mov_b32 s7, 0
	s_mov_b32 s24, exec_lo
                                        ; implicit-def: $sgpr23
	s_delay_alu instid0(VALU_DEP_1)
	v_cmpx_lt_i16_e32 0x7f, v102
	s_xor_b32 s24, exec_lo, s24
	s_cbranch_execnz .LBB2_2017
; %bb.1804:                             ;   in Loop: Header=BB2_1719 Depth=2
	s_or_saveexec_b32 s24, s24
	v_mov_b32_e32 v103, s23
	s_xor_b32 exec_lo, exec_lo, s24
	s_cbranch_execnz .LBB2_2020
.LBB2_1805:                             ;   in Loop: Header=BB2_1719 Depth=2
	s_or_b32 exec_lo, exec_lo, s24
	s_and_saveexec_b32 s23, s7
	s_cbranch_execz .LBB2_1807
.LBB2_1806:                             ;   in Loop: Header=BB2_1719 Depth=2
	v_and_b32_e32 v103, 0xffff, v102
	v_lshlrev_b32_e32 v102, 24, v102
	s_delay_alu instid0(VALU_DEP_2) | instskip(NEXT) | instid1(VALU_DEP_2)
	v_and_b32_e32 v112, 3, v103
	v_and_b32_e32 v102, 0x80000000, v102
	s_delay_alu instid0(VALU_DEP_2) | instskip(NEXT) | instid1(VALU_DEP_1)
	v_clz_i32_u32_e32 v113, v112
	v_min_u32_e32 v113, 32, v113
	s_delay_alu instid0(VALU_DEP_1) | instskip(SKIP_1) | instid1(VALU_DEP_2)
	v_subrev_nc_u32_e32 v114, 29, v113
	v_sub_nc_u32_e32 v113, 30, v113
	v_lshlrev_b32_e32 v114, v114, v103
	v_bfe_u32 v103, v103, 2, 5
	s_delay_alu instid0(VALU_DEP_2) | instskip(NEXT) | instid1(VALU_DEP_2)
	v_and_b32_e32 v114, 3, v114
	v_cmp_eq_u32_e32 vcc_lo, 0, v103
	s_delay_alu instid0(VALU_DEP_2) | instskip(NEXT) | instid1(VALU_DEP_1)
	v_dual_cndmask_b32 v103, v103, v113 :: v_dual_cndmask_b32 v112, v112, v114
	v_lshl_add_u32 v103, v103, 23, 0x37800000
	s_delay_alu instid0(VALU_DEP_2) | instskip(NEXT) | instid1(VALU_DEP_1)
	v_lshlrev_b32_e32 v112, 21, v112
	v_or3_b32 v103, v102, v103, v112
.LBB2_1807:                             ;   in Loop: Header=BB2_1719 Depth=2
	s_or_b32 exec_lo, exec_lo, s23
	s_delay_alu instid0(VALU_DEP_1) | instskip(NEXT) | instid1(VALU_DEP_1)
	v_mul_f32_e32 v102, v101, v103
	v_and_b32_e32 v101, 0x7f800000, v102
	s_delay_alu instid0(VALU_DEP_1)
	v_cmp_ne_u32_e32 vcc_lo, 0x7f800000, v101
	v_mov_b32_e32 v101, 0x8000
	s_and_saveexec_b32 s23, vcc_lo
	s_cbranch_execz .LBB2_1815
; %bb.1808:                             ;   in Loop: Header=BB2_1719 Depth=2
	v_mov_b32_e32 v101, 0
	s_mov_b32 s24, exec_lo
	v_cmpx_ne_u32_e32 0, v102
	s_cbranch_execz .LBB2_1814
; %bb.1809:                             ;   in Loop: Header=BB2_1719 Depth=2
	v_bfe_u32 v101, v102, 23, 8
	s_delay_alu instid0(VALU_DEP_1) | instskip(SKIP_1) | instid1(VALU_DEP_2)
	v_sub_nc_u32_e32 v112, 0x70, v101
	v_cmp_gt_u32_e32 vcc_lo, 0x71, v101
	v_dual_cndmask_b32 v112, 0, v112 :: v_dual_and_b32 v103, 0x7fffff, v102
	s_delay_alu instid0(VALU_DEP_1) | instskip(SKIP_2) | instid1(VALU_DEP_4)
	v_or_b32_e32 v113, 0x800000, v103
	v_cmp_eq_u32_e32 vcc_lo, 0, v101
	v_add_nc_u32_e32 v101, 0xffffff91, v101
	v_cndmask_b32_e64 v112, v112, 0x6f, vcc_lo
	s_delay_alu instid0(VALU_DEP_2) | instskip(SKIP_1) | instid1(VALU_DEP_3)
	v_cndmask_b32_e64 v101, v101, 0xffffff92, vcc_lo
	v_cndmask_b32_e32 v103, v113, v103, vcc_lo
	v_lshl_add_u32 v113, 0x200000, v112, -1
	v_lshlrev_b32_e64 v116, v112, 0x100000
	s_delay_alu instid0(VALU_DEP_3) | instskip(SKIP_1) | instid1(VALU_DEP_4)
	v_lshrrev_b32_e32 v114, v112, v103
	v_add_nc_u32_e32 v112, v112, v101
	v_and_b32_e32 v103, v113, v103
	s_delay_alu instid0(VALU_DEP_3) | instskip(NEXT) | instid1(VALU_DEP_2)
	v_bfe_u32 v115, v114, 21, 1
	v_cmp_eq_u32_e64 s7, v103, v116
	s_delay_alu instid0(VALU_DEP_2) | instskip(NEXT) | instid1(VALU_DEP_1)
	v_add_nc_u32_e32 v113, -1, v115
	v_cndmask_b32_e64 v103, 0, v113, s7
	v_lshrrev_b32_e32 v113, 23, v114
	s_mov_b32 s7, exec_lo
	s_delay_alu instid0(VALU_DEP_2) | instskip(NEXT) | instid1(VALU_DEP_2)
	v_add_nc_u32_e32 v103, v103, v114
	v_xor_b32_e32 v113, 1, v113
	s_delay_alu instid0(VALU_DEP_2) | instskip(NEXT) | instid1(VALU_DEP_1)
	v_and_b32_e32 v101, 0x1fffff, v103
	v_add_nc_u32_e32 v103, v101, v114
                                        ; implicit-def: $vgpr101
	s_delay_alu instid0(VALU_DEP_3)
	v_cmpx_ne_u32_e64 v112, v113
	s_xor_b32 s7, exec_lo, s7
; %bb.1810:                             ;   in Loop: Header=BB2_1719 Depth=2
	s_delay_alu instid0(VALU_DEP_2) | instskip(SKIP_2) | instid1(VALU_DEP_2)
	v_cmp_lt_u32_e32 vcc_lo, 0xffffff, v103
	v_sub_nc_u32_e32 v101, v112, v113
	v_cndmask_b32_e64 v112, 0, 1, vcc_lo
	v_add_co_ci_u32_e32 v101, vcc_lo, 0, v101, vcc_lo
	s_delay_alu instid0(VALU_DEP_2)
	v_lshrrev_b32_e32 v103, v112, v103
; %bb.1811:                             ;   in Loop: Header=BB2_1719 Depth=2
	s_and_not1_saveexec_b32 s7, s7
; %bb.1812:                             ;   in Loop: Header=BB2_1719 Depth=2
	s_delay_alu instid0(VALU_DEP_1)
	v_bfe_u32 v101, v103, 23, 1
; %bb.1813:                             ;   in Loop: Header=BB2_1719 Depth=2
	s_or_b32 exec_lo, exec_lo, s7
	v_lshrrev_b32_e32 v103, 21, v103
	s_delay_alu instid0(VALU_DEP_2) | instskip(SKIP_2) | instid1(VALU_DEP_2)
	v_cmp_gt_i32_e32 vcc_lo, 32, v101
	v_min_i32_e32 v112, 31, v101
	v_lshrrev_b32_e32 v102, 24, v102
	v_dual_cndmask_b32 v103, 3, v103 :: v_dual_lshlrev_b32 v112, 2, v112
	s_delay_alu instid0(VALU_DEP_2) | instskip(NEXT) | instid1(VALU_DEP_2)
	v_and_b32_e32 v102, 0x80, v102
	v_or_b32_e32 v101, v101, v103
	v_and_b32_e32 v113, 3, v103
	s_delay_alu instid0(VALU_DEP_2) | instskip(SKIP_1) | instid1(VALU_DEP_1)
	v_cmp_ne_u32_e32 vcc_lo, 0, v101
	v_and_b32_e32 v112, 0xfc, v112
	v_or3_b32 v102, v102, v112, v113
	s_delay_alu instid0(VALU_DEP_1) | instskip(NEXT) | instid1(VALU_DEP_1)
	v_lshlrev_b32_e32 v102, 8, v102
	v_cndmask_b32_e32 v101, 0, v102, vcc_lo
.LBB2_1814:                             ;   in Loop: Header=BB2_1719 Depth=2
	s_or_b32 exec_lo, exec_lo, s24
.LBB2_1815:                             ;   in Loop: Header=BB2_1719 Depth=2
	s_delay_alu instid0(SALU_CYCLE_1) | instskip(SKIP_3) | instid1(VALU_DEP_1)
	s_or_b32 exec_lo, exec_lo, s23
	v_lshrrev_b32_e32 v103, 16, v15
	s_mov_b32 s7, 0
	s_mov_b32 s24, exec_lo
                                        ; implicit-def: $sgpr23
	v_and_b32_e32 v112, 0xff, v103
	s_delay_alu instid0(VALU_DEP_1)
	v_cmpx_lt_i16_e32 0x7f, v112
	s_xor_b32 s24, exec_lo, s24
	s_cbranch_execnz .LBB2_2021
; %bb.1816:                             ;   in Loop: Header=BB2_1719 Depth=2
	s_or_saveexec_b32 s24, s24
	v_mov_b32_e32 v102, s23
	s_xor_b32 exec_lo, exec_lo, s24
	s_cbranch_execnz .LBB2_2024
.LBB2_1817:                             ;   in Loop: Header=BB2_1719 Depth=2
	s_or_b32 exec_lo, exec_lo, s24
	s_and_saveexec_b32 s23, s7
	s_cbranch_execz .LBB2_1819
.LBB2_1818:                             ;   in Loop: Header=BB2_1719 Depth=2
	v_bfe_u32 v102, v15, 16, 2
	v_lshlrev_b32_e32 v114, 8, v15
	s_delay_alu instid0(VALU_DEP_2) | instskip(NEXT) | instid1(VALU_DEP_1)
	v_clz_i32_u32_e32 v112, v102
	v_min_u32_e32 v112, 32, v112
	s_delay_alu instid0(VALU_DEP_1) | instskip(SKIP_1) | instid1(VALU_DEP_2)
	v_subrev_nc_u32_e32 v113, 29, v112
	v_sub_nc_u32_e32 v112, 30, v112
	v_lshlrev_b32_e32 v103, v113, v103
	v_bfe_u32 v113, v15, 18, 5
	s_delay_alu instid0(VALU_DEP_1) | instskip(NEXT) | instid1(VALU_DEP_3)
	v_cmp_eq_u32_e32 vcc_lo, 0, v113
	v_dual_cndmask_b32 v112, v113, v112 :: v_dual_and_b32 v103, 3, v103
	s_delay_alu instid0(VALU_DEP_1) | instskip(NEXT) | instid1(VALU_DEP_2)
	v_dual_cndmask_b32 v102, v102, v103 :: v_dual_and_b32 v103, 0x80000000, v114
	v_lshl_add_u32 v112, v112, 23, 0x37800000
	s_delay_alu instid0(VALU_DEP_2) | instskip(NEXT) | instid1(VALU_DEP_1)
	v_lshlrev_b32_e32 v102, 21, v102
	v_or3_b32 v102, v103, v112, v102
.LBB2_1819:                             ;   in Loop: Header=BB2_1719 Depth=2
	s_or_b32 exec_lo, exec_lo, s23
	v_lshrrev_b32_e32 v103, 16, v11
	s_mov_b32 s7, 0
	s_mov_b32 s24, exec_lo
                                        ; implicit-def: $sgpr23
	s_delay_alu instid0(VALU_DEP_1) | instskip(NEXT) | instid1(VALU_DEP_1)
	v_and_b32_e32 v113, 0xff, v103
	v_cmpx_lt_i16_e32 0x7f, v113
	s_xor_b32 s24, exec_lo, s24
	s_cbranch_execnz .LBB2_2025
; %bb.1820:                             ;   in Loop: Header=BB2_1719 Depth=2
	s_or_saveexec_b32 s24, s24
	v_mov_b32_e32 v112, s23
	s_xor_b32 exec_lo, exec_lo, s24
	s_cbranch_execnz .LBB2_2028
.LBB2_1821:                             ;   in Loop: Header=BB2_1719 Depth=2
	s_or_b32 exec_lo, exec_lo, s24
	s_and_saveexec_b32 s23, s7
	s_cbranch_execz .LBB2_1823
.LBB2_1822:                             ;   in Loop: Header=BB2_1719 Depth=2
	v_bfe_u32 v112, v11, 16, 2
	v_lshlrev_b32_e32 v115, 8, v11
	s_delay_alu instid0(VALU_DEP_2) | instskip(NEXT) | instid1(VALU_DEP_1)
	v_clz_i32_u32_e32 v113, v112
	v_min_u32_e32 v113, 32, v113
	s_delay_alu instid0(VALU_DEP_1) | instskip(SKIP_1) | instid1(VALU_DEP_2)
	v_subrev_nc_u32_e32 v114, 29, v113
	v_sub_nc_u32_e32 v113, 30, v113
	v_lshlrev_b32_e32 v103, v114, v103
	v_bfe_u32 v114, v11, 18, 5
	s_delay_alu instid0(VALU_DEP_2) | instskip(NEXT) | instid1(VALU_DEP_2)
	v_and_b32_e32 v103, 3, v103
	v_cmp_eq_u32_e32 vcc_lo, 0, v114
	v_cndmask_b32_e32 v113, v114, v113, vcc_lo
	s_delay_alu instid0(VALU_DEP_3) | instskip(SKIP_1) | instid1(VALU_DEP_3)
	v_cndmask_b32_e32 v103, v112, v103, vcc_lo
	v_and_b32_e32 v112, 0x80000000, v115
	v_lshl_add_u32 v113, v113, 23, 0x37800000
	s_delay_alu instid0(VALU_DEP_3) | instskip(NEXT) | instid1(VALU_DEP_1)
	v_lshlrev_b32_e32 v103, 21, v103
	v_or3_b32 v112, v112, v113, v103
.LBB2_1823:                             ;   in Loop: Header=BB2_1719 Depth=2
	s_or_b32 exec_lo, exec_lo, s23
	s_delay_alu instid0(VALU_DEP_1) | instskip(NEXT) | instid1(VALU_DEP_1)
	v_mul_f32_e32 v103, v102, v112
	v_and_b32_e32 v102, 0x7f800000, v103
	s_delay_alu instid0(VALU_DEP_1)
	v_cmp_ne_u32_e32 vcc_lo, 0x7f800000, v102
	v_mov_b32_e32 v102, 0x80
	s_and_saveexec_b32 s23, vcc_lo
	s_cbranch_execz .LBB2_1831
; %bb.1824:                             ;   in Loop: Header=BB2_1719 Depth=2
	v_mov_b32_e32 v102, 0
	s_mov_b32 s24, exec_lo
	v_cmpx_ne_u32_e32 0, v103
	s_cbranch_execz .LBB2_1830
; %bb.1825:                             ;   in Loop: Header=BB2_1719 Depth=2
	v_bfe_u32 v102, v103, 23, 8
	s_delay_alu instid0(VALU_DEP_1) | instskip(SKIP_1) | instid1(VALU_DEP_2)
	v_sub_nc_u32_e32 v113, 0x70, v102
	v_cmp_gt_u32_e32 vcc_lo, 0x71, v102
	v_dual_cndmask_b32 v113, 0, v113 :: v_dual_and_b32 v112, 0x7fffff, v103
	s_delay_alu instid0(VALU_DEP_1) | instskip(SKIP_2) | instid1(VALU_DEP_4)
	v_or_b32_e32 v114, 0x800000, v112
	v_cmp_eq_u32_e32 vcc_lo, 0, v102
	v_add_nc_u32_e32 v102, 0xffffff91, v102
	v_cndmask_b32_e64 v113, v113, 0x6f, vcc_lo
	s_delay_alu instid0(VALU_DEP_2) | instskip(SKIP_1) | instid1(VALU_DEP_3)
	v_cndmask_b32_e64 v102, v102, 0xffffff92, vcc_lo
	v_cndmask_b32_e32 v112, v114, v112, vcc_lo
	v_lshl_add_u32 v114, 0x200000, v113, -1
	v_lshlrev_b32_e64 v117, v113, 0x100000
	s_delay_alu instid0(VALU_DEP_3) | instskip(SKIP_1) | instid1(VALU_DEP_4)
	v_lshrrev_b32_e32 v115, v113, v112
	v_add_nc_u32_e32 v113, v113, v102
	v_and_b32_e32 v112, v114, v112
	s_delay_alu instid0(VALU_DEP_3) | instskip(NEXT) | instid1(VALU_DEP_2)
	v_bfe_u32 v116, v115, 21, 1
	v_cmp_eq_u32_e64 s7, v112, v117
	s_delay_alu instid0(VALU_DEP_2) | instskip(NEXT) | instid1(VALU_DEP_1)
	v_add_nc_u32_e32 v114, -1, v116
	v_cndmask_b32_e64 v112, 0, v114, s7
	v_lshrrev_b32_e32 v114, 23, v115
	s_mov_b32 s7, exec_lo
	s_delay_alu instid0(VALU_DEP_2) | instskip(NEXT) | instid1(VALU_DEP_2)
	v_add_nc_u32_e32 v112, v112, v115
	v_xor_b32_e32 v114, 1, v114
	s_delay_alu instid0(VALU_DEP_2) | instskip(NEXT) | instid1(VALU_DEP_1)
	v_and_b32_e32 v102, 0x1fffff, v112
	v_add_nc_u32_e32 v112, v102, v115
                                        ; implicit-def: $vgpr102
	s_delay_alu instid0(VALU_DEP_3)
	v_cmpx_ne_u32_e64 v113, v114
	s_xor_b32 s7, exec_lo, s7
; %bb.1826:                             ;   in Loop: Header=BB2_1719 Depth=2
	s_delay_alu instid0(VALU_DEP_2) | instskip(SKIP_2) | instid1(VALU_DEP_2)
	v_cmp_lt_u32_e32 vcc_lo, 0xffffff, v112
	v_sub_nc_u32_e32 v102, v113, v114
	v_cndmask_b32_e64 v113, 0, 1, vcc_lo
	v_add_co_ci_u32_e32 v102, vcc_lo, 0, v102, vcc_lo
	s_delay_alu instid0(VALU_DEP_2)
	v_lshrrev_b32_e32 v112, v113, v112
; %bb.1827:                             ;   in Loop: Header=BB2_1719 Depth=2
	s_and_not1_saveexec_b32 s7, s7
; %bb.1828:                             ;   in Loop: Header=BB2_1719 Depth=2
	s_delay_alu instid0(VALU_DEP_1)
	v_bfe_u32 v102, v112, 23, 1
; %bb.1829:                             ;   in Loop: Header=BB2_1719 Depth=2
	s_or_b32 exec_lo, exec_lo, s7
	v_lshrrev_b32_e32 v112, 21, v112
	s_delay_alu instid0(VALU_DEP_2) | instskip(SKIP_2) | instid1(VALU_DEP_2)
	v_cmp_gt_i32_e32 vcc_lo, 32, v102
	v_min_i32_e32 v113, 31, v102
	v_lshrrev_b32_e32 v103, 24, v103
	v_dual_cndmask_b32 v112, 3, v112 :: v_dual_lshlrev_b32 v113, 2, v113
	s_delay_alu instid0(VALU_DEP_2) | instskip(NEXT) | instid1(VALU_DEP_2)
	v_and_b32_e32 v103, 0x80, v103
	v_or_b32_e32 v102, v102, v112
	v_and_b32_e32 v114, 3, v112
	s_delay_alu instid0(VALU_DEP_2) | instskip(SKIP_1) | instid1(VALU_DEP_1)
	v_cmp_ne_u32_e32 vcc_lo, 0, v102
	v_and_b32_e32 v113, 0xfc, v113
	v_or3_b32 v103, v113, v103, v114
	s_delay_alu instid0(VALU_DEP_1)
	v_cndmask_b32_e32 v102, 0, v103, vcc_lo
.LBB2_1830:                             ;   in Loop: Header=BB2_1719 Depth=2
	s_or_b32 exec_lo, exec_lo, s24
.LBB2_1831:                             ;   in Loop: Header=BB2_1719 Depth=2
	s_delay_alu instid0(SALU_CYCLE_1) | instskip(SKIP_3) | instid1(VALU_DEP_1)
	s_or_b32 exec_lo, exec_lo, s23
	v_lshrrev_b32_e32 v112, 24, v15
	s_mov_b32 s7, 0
	s_mov_b32 s24, exec_lo
                                        ; implicit-def: $sgpr23
	v_cmpx_lt_i16_e32 0x7f, v112
	s_xor_b32 s24, exec_lo, s24
	s_cbranch_execnz .LBB2_2029
; %bb.1832:                             ;   in Loop: Header=BB2_1719 Depth=2
	s_or_saveexec_b32 s24, s24
	v_mov_b32_e32 v103, s23
	s_xor_b32 exec_lo, exec_lo, s24
	s_cbranch_execnz .LBB2_2032
.LBB2_1833:                             ;   in Loop: Header=BB2_1719 Depth=2
	s_or_b32 exec_lo, exec_lo, s24
	s_and_saveexec_b32 s23, s7
	s_cbranch_execz .LBB2_1835
.LBB2_1834:                             ;   in Loop: Header=BB2_1719 Depth=2
	v_bfe_u32 v103, v15, 24, 2
	s_delay_alu instid0(VALU_DEP_1) | instskip(NEXT) | instid1(VALU_DEP_1)
	v_clz_i32_u32_e32 v113, v103
	v_min_u32_e32 v113, 32, v113
	s_delay_alu instid0(VALU_DEP_1) | instskip(SKIP_1) | instid1(VALU_DEP_2)
	v_subrev_nc_u32_e32 v114, 29, v113
	v_sub_nc_u32_e32 v113, 30, v113
	v_lshlrev_b32_e32 v112, v114, v112
	v_bfe_u32 v114, v15, 26, 5
	v_and_b32_e32 v15, 0x80000000, v15
	s_delay_alu instid0(VALU_DEP_2) | instskip(NEXT) | instid1(VALU_DEP_4)
	v_cmp_eq_u32_e32 vcc_lo, 0, v114
	v_dual_cndmask_b32 v113, v114, v113 :: v_dual_and_b32 v112, 3, v112
	s_delay_alu instid0(VALU_DEP_1) | instskip(NEXT) | instid1(VALU_DEP_2)
	v_cndmask_b32_e32 v103, v103, v112, vcc_lo
	v_lshl_add_u32 v112, v113, 23, 0x37800000
	s_delay_alu instid0(VALU_DEP_2) | instskip(NEXT) | instid1(VALU_DEP_1)
	v_lshlrev_b32_e32 v103, 21, v103
	v_or3_b32 v103, v15, v112, v103
.LBB2_1835:                             ;   in Loop: Header=BB2_1719 Depth=2
	s_or_b32 exec_lo, exec_lo, s23
	v_lshrrev_b32_e32 v15, 24, v11
	s_mov_b32 s7, 0
	s_mov_b32 s24, exec_lo
                                        ; implicit-def: $sgpr23
	s_delay_alu instid0(VALU_DEP_1)
	v_cmpx_lt_i16_e32 0x7f, v15
	s_xor_b32 s24, exec_lo, s24
	s_cbranch_execnz .LBB2_2033
; %bb.1836:                             ;   in Loop: Header=BB2_1719 Depth=2
	s_or_saveexec_b32 s24, s24
	v_mov_b32_e32 v112, s23
	s_xor_b32 exec_lo, exec_lo, s24
	s_cbranch_execnz .LBB2_2036
.LBB2_1837:                             ;   in Loop: Header=BB2_1719 Depth=2
	s_or_b32 exec_lo, exec_lo, s24
	s_and_saveexec_b32 s23, s7
	s_cbranch_execz .LBB2_1839
.LBB2_1838:                             ;   in Loop: Header=BB2_1719 Depth=2
	v_bfe_u32 v112, v11, 24, 2
	s_delay_alu instid0(VALU_DEP_1) | instskip(NEXT) | instid1(VALU_DEP_1)
	v_clz_i32_u32_e32 v113, v112
	v_min_u32_e32 v113, 32, v113
	s_delay_alu instid0(VALU_DEP_1) | instskip(SKIP_1) | instid1(VALU_DEP_2)
	v_subrev_nc_u32_e32 v114, 29, v113
	v_sub_nc_u32_e32 v113, 30, v113
	v_lshlrev_b32_e32 v15, v114, v15
	v_bfe_u32 v114, v11, 26, 5
	v_and_b32_e32 v11, 0x80000000, v11
	s_delay_alu instid0(VALU_DEP_3) | instskip(NEXT) | instid1(VALU_DEP_3)
	v_and_b32_e32 v15, 3, v15
	v_cmp_eq_u32_e32 vcc_lo, 0, v114
	v_cndmask_b32_e32 v113, v114, v113, vcc_lo
	s_delay_alu instid0(VALU_DEP_3) | instskip(NEXT) | instid1(VALU_DEP_2)
	v_cndmask_b32_e32 v15, v112, v15, vcc_lo
	v_lshl_add_u32 v112, v113, 23, 0x37800000
	s_delay_alu instid0(VALU_DEP_2) | instskip(NEXT) | instid1(VALU_DEP_1)
	v_lshlrev_b32_e32 v15, 21, v15
	v_or3_b32 v112, v11, v112, v15
.LBB2_1839:                             ;   in Loop: Header=BB2_1719 Depth=2
	s_or_b32 exec_lo, exec_lo, s23
	s_delay_alu instid0(VALU_DEP_1) | instskip(NEXT) | instid1(VALU_DEP_1)
	v_mul_f32_e32 v15, v103, v112
	v_and_b32_e32 v11, 0x7f800000, v15
	s_delay_alu instid0(VALU_DEP_1)
	v_cmp_ne_u32_e32 vcc_lo, 0x7f800000, v11
	v_mov_b32_e32 v11, 0x8000
	s_and_saveexec_b32 s23, vcc_lo
	s_cbranch_execz .LBB2_1847
; %bb.1840:                             ;   in Loop: Header=BB2_1719 Depth=2
	v_mov_b32_e32 v11, 0
	s_mov_b32 s24, exec_lo
	v_cmpx_ne_u32_e32 0, v15
	s_cbranch_execz .LBB2_1846
; %bb.1841:                             ;   in Loop: Header=BB2_1719 Depth=2
	v_bfe_u32 v11, v15, 23, 8
	s_delay_alu instid0(VALU_DEP_1) | instskip(SKIP_1) | instid1(VALU_DEP_2)
	v_sub_nc_u32_e32 v112, 0x70, v11
	v_cmp_gt_u32_e32 vcc_lo, 0x71, v11
	v_dual_cndmask_b32 v112, 0, v112 :: v_dual_and_b32 v103, 0x7fffff, v15
	s_delay_alu instid0(VALU_DEP_1) | instskip(SKIP_2) | instid1(VALU_DEP_4)
	v_or_b32_e32 v113, 0x800000, v103
	v_cmp_eq_u32_e32 vcc_lo, 0, v11
	v_add_nc_u32_e32 v11, 0xffffff91, v11
	v_cndmask_b32_e64 v112, v112, 0x6f, vcc_lo
	s_delay_alu instid0(VALU_DEP_4) | instskip(NEXT) | instid1(VALU_DEP_3)
	v_cndmask_b32_e32 v103, v113, v103, vcc_lo
	v_cndmask_b32_e64 v11, v11, 0xffffff92, vcc_lo
	s_delay_alu instid0(VALU_DEP_3) | instskip(NEXT) | instid1(VALU_DEP_3)
	v_lshl_add_u32 v113, 0x200000, v112, -1
	v_lshrrev_b32_e32 v114, v112, v103
	v_lshlrev_b32_e64 v116, v112, 0x100000
	s_delay_alu instid0(VALU_DEP_4) | instskip(NEXT) | instid1(VALU_DEP_4)
	v_add_nc_u32_e32 v112, v112, v11
	v_and_b32_e32 v103, v113, v103
	s_delay_alu instid0(VALU_DEP_4) | instskip(NEXT) | instid1(VALU_DEP_2)
	v_bfe_u32 v115, v114, 21, 1
	v_cmp_eq_u32_e64 s7, v103, v116
	s_delay_alu instid0(VALU_DEP_2) | instskip(NEXT) | instid1(VALU_DEP_1)
	v_add_nc_u32_e32 v113, -1, v115
	v_cndmask_b32_e64 v103, 0, v113, s7
	v_lshrrev_b32_e32 v113, 23, v114
	s_mov_b32 s7, exec_lo
	s_delay_alu instid0(VALU_DEP_2) | instskip(NEXT) | instid1(VALU_DEP_2)
	v_add_nc_u32_e32 v103, v103, v114
	v_xor_b32_e32 v113, 1, v113
	s_delay_alu instid0(VALU_DEP_2) | instskip(NEXT) | instid1(VALU_DEP_1)
	v_and_b32_e32 v11, 0x1fffff, v103
	v_add_nc_u32_e32 v103, v11, v114
                                        ; implicit-def: $vgpr11
	s_delay_alu instid0(VALU_DEP_3)
	v_cmpx_ne_u32_e64 v112, v113
	s_xor_b32 s7, exec_lo, s7
; %bb.1842:                             ;   in Loop: Header=BB2_1719 Depth=2
	s_delay_alu instid0(VALU_DEP_2) | instskip(SKIP_2) | instid1(VALU_DEP_2)
	v_cmp_lt_u32_e32 vcc_lo, 0xffffff, v103
	v_sub_nc_u32_e32 v11, v112, v113
	v_cndmask_b32_e64 v112, 0, 1, vcc_lo
	v_add_co_ci_u32_e32 v11, vcc_lo, 0, v11, vcc_lo
	s_delay_alu instid0(VALU_DEP_2)
	v_lshrrev_b32_e32 v103, v112, v103
; %bb.1843:                             ;   in Loop: Header=BB2_1719 Depth=2
	s_and_not1_saveexec_b32 s7, s7
; %bb.1844:                             ;   in Loop: Header=BB2_1719 Depth=2
	s_delay_alu instid0(VALU_DEP_1)
	v_bfe_u32 v11, v103, 23, 1
; %bb.1845:                             ;   in Loop: Header=BB2_1719 Depth=2
	s_or_b32 exec_lo, exec_lo, s7
	v_lshrrev_b32_e32 v103, 21, v103
	s_delay_alu instid0(VALU_DEP_2) | instskip(SKIP_2) | instid1(VALU_DEP_2)
	v_cmp_gt_i32_e32 vcc_lo, 32, v11
	v_min_i32_e32 v112, 31, v11
	v_lshrrev_b32_e32 v15, 24, v15
	v_dual_cndmask_b32 v103, 3, v103 :: v_dual_lshlrev_b32 v112, 2, v112
	s_delay_alu instid0(VALU_DEP_2) | instskip(NEXT) | instid1(VALU_DEP_2)
	v_and_b32_e32 v15, 0x80, v15
	v_or_b32_e32 v11, v11, v103
	v_and_b32_e32 v113, 3, v103
	s_delay_alu instid0(VALU_DEP_2) | instskip(SKIP_1) | instid1(VALU_DEP_1)
	v_cmp_ne_u32_e32 vcc_lo, 0, v11
	v_and_b32_e32 v112, 0xfc, v112
	v_or3_b32 v15, v15, v112, v113
	s_delay_alu instid0(VALU_DEP_1) | instskip(NEXT) | instid1(VALU_DEP_1)
	v_lshlrev_b32_e32 v15, 8, v15
	v_cndmask_b32_e32 v11, 0, v15, vcc_lo
.LBB2_1846:                             ;   in Loop: Header=BB2_1719 Depth=2
	s_or_b32 exec_lo, exec_lo, s24
.LBB2_1847:                             ;   in Loop: Header=BB2_1719 Depth=2
	s_delay_alu instid0(SALU_CYCLE_1) | instskip(SKIP_3) | instid1(VALU_DEP_1)
	s_or_b32 exec_lo, exec_lo, s23
	v_and_b32_e32 v103, 0xff, v16
	s_mov_b32 s7, 0
	s_mov_b32 s24, exec_lo
                                        ; implicit-def: $sgpr23
	v_cmpx_lt_i16_e32 0x7f, v103
	s_xor_b32 s24, exec_lo, s24
	s_cbranch_execnz .LBB2_2037
; %bb.1848:                             ;   in Loop: Header=BB2_1719 Depth=2
	s_or_saveexec_b32 s24, s24
	v_mov_b32_e32 v15, s23
	s_xor_b32 exec_lo, exec_lo, s24
	s_cbranch_execnz .LBB2_2040
.LBB2_1849:                             ;   in Loop: Header=BB2_1719 Depth=2
	s_or_b32 exec_lo, exec_lo, s24
	s_and_saveexec_b32 s23, s7
	s_cbranch_execz .LBB2_1851
.LBB2_1850:                             ;   in Loop: Header=BB2_1719 Depth=2
	v_and_b32_e32 v15, 3, v16
	v_bfe_u32 v113, v16, 2, 5
	v_lshlrev_b32_e32 v114, 24, v16
	s_delay_alu instid0(VALU_DEP_3) | instskip(NEXT) | instid1(VALU_DEP_3)
	v_clz_i32_u32_e32 v103, v15
	v_cmp_eq_u32_e32 vcc_lo, 0, v113
	s_delay_alu instid0(VALU_DEP_2) | instskip(NEXT) | instid1(VALU_DEP_1)
	v_min_u32_e32 v103, 32, v103
	v_subrev_nc_u32_e32 v112, 29, v103
	v_sub_nc_u32_e32 v103, 30, v103
	s_delay_alu instid0(VALU_DEP_1) | instskip(NEXT) | instid1(VALU_DEP_1)
	v_dual_cndmask_b32 v103, v113, v103 :: v_dual_lshlrev_b32 v112, v112, v16
	v_and_b32_e32 v112, 3, v112
	s_delay_alu instid0(VALU_DEP_2) | instskip(NEXT) | instid1(VALU_DEP_2)
	v_lshl_add_u32 v103, v103, 23, 0x37800000
	v_dual_cndmask_b32 v15, v15, v112 :: v_dual_and_b32 v112, 0x80000000, v114
	s_delay_alu instid0(VALU_DEP_1) | instskip(NEXT) | instid1(VALU_DEP_1)
	v_lshlrev_b32_e32 v15, 21, v15
	v_or3_b32 v15, v112, v103, v15
.LBB2_1851:                             ;   in Loop: Header=BB2_1719 Depth=2
	s_or_b32 exec_lo, exec_lo, s23
	v_and_b32_e32 v112, 0xff, v12
	s_mov_b32 s7, 0
	s_mov_b32 s24, exec_lo
                                        ; implicit-def: $sgpr23
	s_delay_alu instid0(VALU_DEP_1)
	v_cmpx_lt_i16_e32 0x7f, v112
	s_xor_b32 s24, exec_lo, s24
	s_cbranch_execnz .LBB2_2041
; %bb.1852:                             ;   in Loop: Header=BB2_1719 Depth=2
	s_or_saveexec_b32 s24, s24
	v_mov_b32_e32 v103, s23
	s_xor_b32 exec_lo, exec_lo, s24
	s_cbranch_execnz .LBB2_2044
.LBB2_1853:                             ;   in Loop: Header=BB2_1719 Depth=2
	s_or_b32 exec_lo, exec_lo, s24
	s_and_saveexec_b32 s23, s7
	s_cbranch_execz .LBB2_1855
.LBB2_1854:                             ;   in Loop: Header=BB2_1719 Depth=2
	v_and_b32_e32 v103, 3, v12
	v_bfe_u32 v114, v12, 2, 5
	v_lshlrev_b32_e32 v115, 24, v12
	s_delay_alu instid0(VALU_DEP_3) | instskip(NEXT) | instid1(VALU_DEP_3)
	v_clz_i32_u32_e32 v112, v103
	v_cmp_eq_u32_e32 vcc_lo, 0, v114
	s_delay_alu instid0(VALU_DEP_2) | instskip(NEXT) | instid1(VALU_DEP_1)
	v_min_u32_e32 v112, 32, v112
	v_subrev_nc_u32_e32 v113, 29, v112
	v_sub_nc_u32_e32 v112, 30, v112
	s_delay_alu instid0(VALU_DEP_2) | instskip(NEXT) | instid1(VALU_DEP_1)
	v_lshlrev_b32_e32 v113, v113, v12
	v_dual_cndmask_b32 v112, v114, v112 :: v_dual_and_b32 v113, 3, v113
	s_delay_alu instid0(VALU_DEP_1) | instskip(NEXT) | instid1(VALU_DEP_2)
	v_lshl_add_u32 v112, v112, 23, 0x37800000
	v_cndmask_b32_e32 v103, v103, v113, vcc_lo
	v_and_b32_e32 v113, 0x80000000, v115
	s_delay_alu instid0(VALU_DEP_2) | instskip(NEXT) | instid1(VALU_DEP_1)
	v_lshlrev_b32_e32 v103, 21, v103
	v_or3_b32 v103, v113, v112, v103
.LBB2_1855:                             ;   in Loop: Header=BB2_1719 Depth=2
	s_or_b32 exec_lo, exec_lo, s23
	s_delay_alu instid0(VALU_DEP_1) | instskip(NEXT) | instid1(VALU_DEP_1)
	v_mul_f32_e32 v103, v15, v103
	v_and_b32_e32 v15, 0x7f800000, v103
	s_delay_alu instid0(VALU_DEP_1)
	v_cmp_ne_u32_e32 vcc_lo, 0x7f800000, v15
	v_mov_b32_e32 v15, 0x80
	s_and_saveexec_b32 s23, vcc_lo
	s_cbranch_execz .LBB2_1863
; %bb.1856:                             ;   in Loop: Header=BB2_1719 Depth=2
	v_mov_b32_e32 v15, 0
	s_mov_b32 s24, exec_lo
	v_cmpx_ne_u32_e32 0, v103
	s_cbranch_execz .LBB2_1862
; %bb.1857:                             ;   in Loop: Header=BB2_1719 Depth=2
	v_bfe_u32 v15, v103, 23, 8
	s_delay_alu instid0(VALU_DEP_1) | instskip(SKIP_1) | instid1(VALU_DEP_2)
	v_sub_nc_u32_e32 v113, 0x70, v15
	v_cmp_gt_u32_e32 vcc_lo, 0x71, v15
	v_dual_cndmask_b32 v113, 0, v113 :: v_dual_and_b32 v112, 0x7fffff, v103
	s_delay_alu instid0(VALU_DEP_1) | instskip(SKIP_2) | instid1(VALU_DEP_4)
	v_or_b32_e32 v114, 0x800000, v112
	v_cmp_eq_u32_e32 vcc_lo, 0, v15
	v_add_nc_u32_e32 v15, 0xffffff91, v15
	v_cndmask_b32_e64 v113, v113, 0x6f, vcc_lo
	s_delay_alu instid0(VALU_DEP_4) | instskip(NEXT) | instid1(VALU_DEP_3)
	v_cndmask_b32_e32 v112, v114, v112, vcc_lo
	v_cndmask_b32_e64 v15, v15, 0xffffff92, vcc_lo
	s_delay_alu instid0(VALU_DEP_3) | instskip(NEXT) | instid1(VALU_DEP_3)
	v_lshl_add_u32 v114, 0x200000, v113, -1
	v_lshrrev_b32_e32 v115, v113, v112
	v_lshlrev_b32_e64 v117, v113, 0x100000
	s_delay_alu instid0(VALU_DEP_4) | instskip(NEXT) | instid1(VALU_DEP_4)
	v_add_nc_u32_e32 v113, v113, v15
	v_and_b32_e32 v112, v114, v112
	s_delay_alu instid0(VALU_DEP_4) | instskip(NEXT) | instid1(VALU_DEP_2)
	v_bfe_u32 v116, v115, 21, 1
	v_cmp_eq_u32_e64 s7, v112, v117
	s_delay_alu instid0(VALU_DEP_2) | instskip(NEXT) | instid1(VALU_DEP_1)
	v_add_nc_u32_e32 v114, -1, v116
	v_cndmask_b32_e64 v112, 0, v114, s7
	v_lshrrev_b32_e32 v114, 23, v115
	s_mov_b32 s7, exec_lo
	s_delay_alu instid0(VALU_DEP_2) | instskip(NEXT) | instid1(VALU_DEP_2)
	v_add_nc_u32_e32 v112, v112, v115
	v_xor_b32_e32 v114, 1, v114
	s_delay_alu instid0(VALU_DEP_2) | instskip(NEXT) | instid1(VALU_DEP_1)
	v_and_b32_e32 v15, 0x1fffff, v112
	v_add_nc_u32_e32 v112, v15, v115
                                        ; implicit-def: $vgpr15
	s_delay_alu instid0(VALU_DEP_3)
	v_cmpx_ne_u32_e64 v113, v114
	s_xor_b32 s7, exec_lo, s7
; %bb.1858:                             ;   in Loop: Header=BB2_1719 Depth=2
	s_delay_alu instid0(VALU_DEP_2) | instskip(SKIP_2) | instid1(VALU_DEP_2)
	v_cmp_lt_u32_e32 vcc_lo, 0xffffff, v112
	v_sub_nc_u32_e32 v15, v113, v114
	v_cndmask_b32_e64 v113, 0, 1, vcc_lo
	v_add_co_ci_u32_e32 v15, vcc_lo, 0, v15, vcc_lo
	s_delay_alu instid0(VALU_DEP_2)
	v_lshrrev_b32_e32 v112, v113, v112
; %bb.1859:                             ;   in Loop: Header=BB2_1719 Depth=2
	s_and_not1_saveexec_b32 s7, s7
; %bb.1860:                             ;   in Loop: Header=BB2_1719 Depth=2
	s_delay_alu instid0(VALU_DEP_1)
	v_bfe_u32 v15, v112, 23, 1
; %bb.1861:                             ;   in Loop: Header=BB2_1719 Depth=2
	s_or_b32 exec_lo, exec_lo, s7
	v_lshrrev_b32_e32 v112, 21, v112
	s_delay_alu instid0(VALU_DEP_2) | instskip(SKIP_2) | instid1(VALU_DEP_2)
	v_cmp_gt_i32_e32 vcc_lo, 32, v15
	v_lshrrev_b32_e32 v103, 24, v103
	v_min_i32_e32 v113, 31, v15
	v_dual_cndmask_b32 v112, 3, v112 :: v_dual_and_b32 v103, 0x80, v103
	s_delay_alu instid0(VALU_DEP_2) | instskip(NEXT) | instid1(VALU_DEP_2)
	v_lshlrev_b32_e32 v113, 2, v113
	v_or_b32_e32 v15, v15, v112
	s_delay_alu instid0(VALU_DEP_1) | instskip(SKIP_1) | instid1(VALU_DEP_1)
	v_cmp_ne_u32_e32 vcc_lo, 0, v15
	v_and_b32_e32 v114, 3, v112
	v_or3_b32 v103, v113, v103, v114
	s_delay_alu instid0(VALU_DEP_1)
	v_cndmask_b32_e32 v15, 0, v103, vcc_lo
.LBB2_1862:                             ;   in Loop: Header=BB2_1719 Depth=2
	s_or_b32 exec_lo, exec_lo, s24
.LBB2_1863:                             ;   in Loop: Header=BB2_1719 Depth=2
	s_delay_alu instid0(SALU_CYCLE_1) | instskip(SKIP_3) | instid1(VALU_DEP_1)
	s_or_b32 exec_lo, exec_lo, s23
	v_lshrrev_b16 v112, 8, v16
	s_mov_b32 s7, 0
	s_mov_b32 s24, exec_lo
                                        ; implicit-def: $sgpr23
	v_cmpx_lt_i16_e32 0x7f, v112
	s_xor_b32 s24, exec_lo, s24
	s_cbranch_execnz .LBB2_2045
; %bb.1864:                             ;   in Loop: Header=BB2_1719 Depth=2
	s_or_saveexec_b32 s24, s24
	v_mov_b32_e32 v103, s23
	s_xor_b32 exec_lo, exec_lo, s24
	s_cbranch_execnz .LBB2_2048
.LBB2_1865:                             ;   in Loop: Header=BB2_1719 Depth=2
	s_or_b32 exec_lo, exec_lo, s24
	s_and_saveexec_b32 s23, s7
	s_cbranch_execz .LBB2_1867
.LBB2_1866:                             ;   in Loop: Header=BB2_1719 Depth=2
	v_and_b32_e32 v103, 0xffff, v112
	s_delay_alu instid0(VALU_DEP_1) | instskip(NEXT) | instid1(VALU_DEP_1)
	v_and_b32_e32 v113, 3, v103
	v_clz_i32_u32_e32 v114, v113
	s_delay_alu instid0(VALU_DEP_1) | instskip(NEXT) | instid1(VALU_DEP_1)
	v_min_u32_e32 v114, 32, v114
	v_subrev_nc_u32_e32 v115, 29, v114
	v_sub_nc_u32_e32 v114, 30, v114
	s_delay_alu instid0(VALU_DEP_2) | instskip(SKIP_1) | instid1(VALU_DEP_2)
	v_lshlrev_b32_e32 v115, v115, v103
	v_bfe_u32 v103, v103, 2, 5
	v_and_b32_e32 v115, 3, v115
	s_delay_alu instid0(VALU_DEP_2) | instskip(SKIP_1) | instid1(VALU_DEP_1)
	v_cmp_eq_u32_e32 vcc_lo, 0, v103
	v_dual_cndmask_b32 v103, v103, v114 :: v_dual_lshlrev_b32 v112, 24, v112
	v_dual_cndmask_b32 v113, v113, v115 :: v_dual_and_b32 v112, 0x80000000, v112
	s_delay_alu instid0(VALU_DEP_2) | instskip(NEXT) | instid1(VALU_DEP_2)
	v_lshl_add_u32 v103, v103, 23, 0x37800000
	v_lshlrev_b32_e32 v113, 21, v113
	s_delay_alu instid0(VALU_DEP_1)
	v_or3_b32 v103, v112, v103, v113
.LBB2_1867:                             ;   in Loop: Header=BB2_1719 Depth=2
	s_or_b32 exec_lo, exec_lo, s23
	v_lshrrev_b16 v112, 8, v12
	s_mov_b32 s7, 0
	s_mov_b32 s24, exec_lo
                                        ; implicit-def: $sgpr23
	s_delay_alu instid0(VALU_DEP_1)
	v_cmpx_lt_i16_e32 0x7f, v112
	s_xor_b32 s24, exec_lo, s24
	s_cbranch_execnz .LBB2_2049
; %bb.1868:                             ;   in Loop: Header=BB2_1719 Depth=2
	s_or_saveexec_b32 s24, s24
	v_mov_b32_e32 v113, s23
	s_xor_b32 exec_lo, exec_lo, s24
	s_cbranch_execnz .LBB2_2052
.LBB2_1869:                             ;   in Loop: Header=BB2_1719 Depth=2
	s_or_b32 exec_lo, exec_lo, s24
	s_and_saveexec_b32 s23, s7
	s_cbranch_execz .LBB2_1871
.LBB2_1870:                             ;   in Loop: Header=BB2_1719 Depth=2
	v_and_b32_e32 v113, 0xffff, v112
	v_lshlrev_b32_e32 v112, 24, v112
	s_delay_alu instid0(VALU_DEP_2) | instskip(NEXT) | instid1(VALU_DEP_2)
	v_and_b32_e32 v114, 3, v113
	v_and_b32_e32 v112, 0x80000000, v112
	s_delay_alu instid0(VALU_DEP_2) | instskip(NEXT) | instid1(VALU_DEP_1)
	v_clz_i32_u32_e32 v115, v114
	v_min_u32_e32 v115, 32, v115
	s_delay_alu instid0(VALU_DEP_1) | instskip(SKIP_1) | instid1(VALU_DEP_2)
	v_subrev_nc_u32_e32 v116, 29, v115
	v_sub_nc_u32_e32 v115, 30, v115
	v_lshlrev_b32_e32 v116, v116, v113
	v_bfe_u32 v113, v113, 2, 5
	s_delay_alu instid0(VALU_DEP_2) | instskip(NEXT) | instid1(VALU_DEP_2)
	v_and_b32_e32 v116, 3, v116
	v_cmp_eq_u32_e32 vcc_lo, 0, v113
	s_delay_alu instid0(VALU_DEP_2) | instskip(NEXT) | instid1(VALU_DEP_1)
	v_dual_cndmask_b32 v113, v113, v115 :: v_dual_cndmask_b32 v114, v114, v116
	v_lshl_add_u32 v113, v113, 23, 0x37800000
	s_delay_alu instid0(VALU_DEP_2) | instskip(NEXT) | instid1(VALU_DEP_1)
	v_lshlrev_b32_e32 v114, 21, v114
	v_or3_b32 v113, v112, v113, v114
.LBB2_1871:                             ;   in Loop: Header=BB2_1719 Depth=2
	s_or_b32 exec_lo, exec_lo, s23
	s_delay_alu instid0(VALU_DEP_1) | instskip(NEXT) | instid1(VALU_DEP_1)
	v_mul_f32_e32 v112, v103, v113
	v_and_b32_e32 v103, 0x7f800000, v112
	s_delay_alu instid0(VALU_DEP_1)
	v_cmp_ne_u32_e32 vcc_lo, 0x7f800000, v103
	v_mov_b32_e32 v103, 0x80
	s_and_saveexec_b32 s23, vcc_lo
	s_cbranch_execz .LBB2_1879
; %bb.1872:                             ;   in Loop: Header=BB2_1719 Depth=2
	v_mov_b32_e32 v103, 0
	s_mov_b32 s24, exec_lo
	v_cmpx_ne_u32_e32 0, v112
	s_cbranch_execz .LBB2_1878
; %bb.1873:                             ;   in Loop: Header=BB2_1719 Depth=2
	v_bfe_u32 v103, v112, 23, 8
	s_delay_alu instid0(VALU_DEP_1) | instskip(SKIP_1) | instid1(VALU_DEP_2)
	v_sub_nc_u32_e32 v114, 0x70, v103
	v_cmp_gt_u32_e32 vcc_lo, 0x71, v103
	v_dual_cndmask_b32 v114, 0, v114 :: v_dual_and_b32 v113, 0x7fffff, v112
	s_delay_alu instid0(VALU_DEP_1) | instskip(SKIP_2) | instid1(VALU_DEP_4)
	v_or_b32_e32 v115, 0x800000, v113
	v_cmp_eq_u32_e32 vcc_lo, 0, v103
	v_add_nc_u32_e32 v103, 0xffffff91, v103
	v_cndmask_b32_e64 v114, v114, 0x6f, vcc_lo
	s_delay_alu instid0(VALU_DEP_2) | instskip(SKIP_1) | instid1(VALU_DEP_3)
	v_cndmask_b32_e64 v103, v103, 0xffffff92, vcc_lo
	v_cndmask_b32_e32 v113, v115, v113, vcc_lo
	v_lshl_add_u32 v115, 0x200000, v114, -1
	v_lshlrev_b32_e64 v118, v114, 0x100000
	s_delay_alu instid0(VALU_DEP_3) | instskip(SKIP_1) | instid1(VALU_DEP_4)
	v_lshrrev_b32_e32 v116, v114, v113
	v_add_nc_u32_e32 v114, v114, v103
	v_and_b32_e32 v113, v115, v113
	s_delay_alu instid0(VALU_DEP_3) | instskip(NEXT) | instid1(VALU_DEP_2)
	v_bfe_u32 v117, v116, 21, 1
	v_cmp_eq_u32_e64 s7, v113, v118
	s_delay_alu instid0(VALU_DEP_2) | instskip(NEXT) | instid1(VALU_DEP_1)
	v_add_nc_u32_e32 v115, -1, v117
	v_cndmask_b32_e64 v113, 0, v115, s7
	v_lshrrev_b32_e32 v115, 23, v116
	s_mov_b32 s7, exec_lo
	s_delay_alu instid0(VALU_DEP_2) | instskip(NEXT) | instid1(VALU_DEP_2)
	v_add_nc_u32_e32 v113, v113, v116
	v_xor_b32_e32 v115, 1, v115
	s_delay_alu instid0(VALU_DEP_2) | instskip(NEXT) | instid1(VALU_DEP_1)
	v_and_b32_e32 v103, 0x1fffff, v113
	v_add_nc_u32_e32 v113, v103, v116
                                        ; implicit-def: $vgpr103
	s_delay_alu instid0(VALU_DEP_3)
	v_cmpx_ne_u32_e64 v114, v115
	s_xor_b32 s7, exec_lo, s7
; %bb.1874:                             ;   in Loop: Header=BB2_1719 Depth=2
	s_delay_alu instid0(VALU_DEP_2) | instskip(SKIP_2) | instid1(VALU_DEP_2)
	v_cmp_lt_u32_e32 vcc_lo, 0xffffff, v113
	v_sub_nc_u32_e32 v103, v114, v115
	v_cndmask_b32_e64 v114, 0, 1, vcc_lo
	v_add_co_ci_u32_e32 v103, vcc_lo, 0, v103, vcc_lo
	s_delay_alu instid0(VALU_DEP_2)
	v_lshrrev_b32_e32 v113, v114, v113
; %bb.1875:                             ;   in Loop: Header=BB2_1719 Depth=2
	s_and_not1_saveexec_b32 s7, s7
; %bb.1876:                             ;   in Loop: Header=BB2_1719 Depth=2
	s_delay_alu instid0(VALU_DEP_1)
	v_bfe_u32 v103, v113, 23, 1
; %bb.1877:                             ;   in Loop: Header=BB2_1719 Depth=2
	s_or_b32 exec_lo, exec_lo, s7
	v_lshrrev_b32_e32 v113, 21, v113
	s_delay_alu instid0(VALU_DEP_2) | instskip(SKIP_2) | instid1(VALU_DEP_2)
	v_cmp_gt_i32_e32 vcc_lo, 32, v103
	v_lshrrev_b32_e32 v112, 24, v112
	v_min_i32_e32 v114, 31, v103
	v_dual_cndmask_b32 v113, 3, v113 :: v_dual_and_b32 v112, 0x80, v112
	s_delay_alu instid0(VALU_DEP_1) | instskip(SKIP_1) | instid1(VALU_DEP_2)
	v_or_b32_e32 v103, v103, v113
	v_and_b32_e32 v115, 3, v113
	v_cmp_ne_u32_e32 vcc_lo, 0, v103
	v_lshlrev_b32_e32 v114, 2, v114
	s_delay_alu instid0(VALU_DEP_1) | instskip(NEXT) | instid1(VALU_DEP_1)
	v_or3_b32 v112, v114, v112, v115
	v_cndmask_b32_e32 v103, 0, v112, vcc_lo
.LBB2_1878:                             ;   in Loop: Header=BB2_1719 Depth=2
	s_or_b32 exec_lo, exec_lo, s24
.LBB2_1879:                             ;   in Loop: Header=BB2_1719 Depth=2
	s_delay_alu instid0(SALU_CYCLE_1) | instskip(SKIP_3) | instid1(VALU_DEP_1)
	s_or_b32 exec_lo, exec_lo, s23
	v_lshrrev_b32_e32 v113, 16, v16
	s_mov_b32 s7, 0
	s_mov_b32 s24, exec_lo
                                        ; implicit-def: $sgpr23
	v_and_b32_e32 v114, 0xff, v113
	s_delay_alu instid0(VALU_DEP_1)
	v_cmpx_lt_i16_e32 0x7f, v114
	s_xor_b32 s24, exec_lo, s24
	s_cbranch_execnz .LBB2_2053
; %bb.1880:                             ;   in Loop: Header=BB2_1719 Depth=2
	s_or_saveexec_b32 s24, s24
	v_mov_b32_e32 v112, s23
	s_xor_b32 exec_lo, exec_lo, s24
	s_cbranch_execnz .LBB2_2056
.LBB2_1881:                             ;   in Loop: Header=BB2_1719 Depth=2
	s_or_b32 exec_lo, exec_lo, s24
	s_and_saveexec_b32 s23, s7
	s_cbranch_execz .LBB2_1883
.LBB2_1882:                             ;   in Loop: Header=BB2_1719 Depth=2
	v_bfe_u32 v112, v16, 16, 2
	v_lshlrev_b32_e32 v116, 8, v16
	s_delay_alu instid0(VALU_DEP_2) | instskip(NEXT) | instid1(VALU_DEP_1)
	v_clz_i32_u32_e32 v114, v112
	v_min_u32_e32 v114, 32, v114
	s_delay_alu instid0(VALU_DEP_1) | instskip(SKIP_1) | instid1(VALU_DEP_2)
	v_subrev_nc_u32_e32 v115, 29, v114
	v_sub_nc_u32_e32 v114, 30, v114
	v_lshlrev_b32_e32 v113, v115, v113
	v_bfe_u32 v115, v16, 18, 5
	s_delay_alu instid0(VALU_DEP_1) | instskip(NEXT) | instid1(VALU_DEP_3)
	v_cmp_eq_u32_e32 vcc_lo, 0, v115
	v_dual_cndmask_b32 v114, v115, v114 :: v_dual_and_b32 v113, 3, v113
	s_delay_alu instid0(VALU_DEP_1) | instskip(NEXT) | instid1(VALU_DEP_2)
	v_dual_cndmask_b32 v112, v112, v113 :: v_dual_and_b32 v113, 0x80000000, v116
	v_lshl_add_u32 v114, v114, 23, 0x37800000
	s_delay_alu instid0(VALU_DEP_2) | instskip(NEXT) | instid1(VALU_DEP_1)
	v_lshlrev_b32_e32 v112, 21, v112
	v_or3_b32 v112, v113, v114, v112
.LBB2_1883:                             ;   in Loop: Header=BB2_1719 Depth=2
	s_or_b32 exec_lo, exec_lo, s23
	v_lshrrev_b32_e32 v113, 16, v12
	s_mov_b32 s7, 0
	s_mov_b32 s24, exec_lo
                                        ; implicit-def: $sgpr23
	s_delay_alu instid0(VALU_DEP_1) | instskip(NEXT) | instid1(VALU_DEP_1)
	v_and_b32_e32 v115, 0xff, v113
	v_cmpx_lt_i16_e32 0x7f, v115
	s_xor_b32 s24, exec_lo, s24
	s_cbranch_execnz .LBB2_2057
; %bb.1884:                             ;   in Loop: Header=BB2_1719 Depth=2
	s_or_saveexec_b32 s24, s24
	v_mov_b32_e32 v114, s23
	s_xor_b32 exec_lo, exec_lo, s24
	s_cbranch_execnz .LBB2_2060
.LBB2_1885:                             ;   in Loop: Header=BB2_1719 Depth=2
	s_or_b32 exec_lo, exec_lo, s24
	s_and_saveexec_b32 s23, s7
	s_cbranch_execz .LBB2_1887
.LBB2_1886:                             ;   in Loop: Header=BB2_1719 Depth=2
	v_bfe_u32 v114, v12, 16, 2
	v_lshlrev_b32_e32 v117, 8, v12
	s_delay_alu instid0(VALU_DEP_2) | instskip(NEXT) | instid1(VALU_DEP_1)
	v_clz_i32_u32_e32 v115, v114
	v_min_u32_e32 v115, 32, v115
	s_delay_alu instid0(VALU_DEP_1) | instskip(SKIP_1) | instid1(VALU_DEP_2)
	v_subrev_nc_u32_e32 v116, 29, v115
	v_sub_nc_u32_e32 v115, 30, v115
	v_lshlrev_b32_e32 v113, v116, v113
	v_bfe_u32 v116, v12, 18, 5
	s_delay_alu instid0(VALU_DEP_2) | instskip(NEXT) | instid1(VALU_DEP_2)
	v_and_b32_e32 v113, 3, v113
	v_cmp_eq_u32_e32 vcc_lo, 0, v116
	v_cndmask_b32_e32 v115, v116, v115, vcc_lo
	s_delay_alu instid0(VALU_DEP_3) | instskip(SKIP_1) | instid1(VALU_DEP_3)
	v_cndmask_b32_e32 v113, v114, v113, vcc_lo
	v_and_b32_e32 v114, 0x80000000, v117
	v_lshl_add_u32 v115, v115, 23, 0x37800000
	s_delay_alu instid0(VALU_DEP_3) | instskip(NEXT) | instid1(VALU_DEP_1)
	v_lshlrev_b32_e32 v113, 21, v113
	v_or3_b32 v114, v114, v115, v113
.LBB2_1887:                             ;   in Loop: Header=BB2_1719 Depth=2
	s_or_b32 exec_lo, exec_lo, s23
	s_delay_alu instid0(VALU_DEP_1) | instskip(NEXT) | instid1(VALU_DEP_1)
	v_mul_f32_e32 v113, v112, v114
	v_and_b32_e32 v112, 0x7f800000, v113
	s_delay_alu instid0(VALU_DEP_1)
	v_cmp_ne_u32_e32 vcc_lo, 0x7f800000, v112
	v_mov_b32_e32 v112, 0x80
	s_and_saveexec_b32 s23, vcc_lo
	s_cbranch_execz .LBB2_1895
; %bb.1888:                             ;   in Loop: Header=BB2_1719 Depth=2
	v_mov_b32_e32 v112, 0
	s_mov_b32 s24, exec_lo
	v_cmpx_ne_u32_e32 0, v113
	s_cbranch_execz .LBB2_1894
; %bb.1889:                             ;   in Loop: Header=BB2_1719 Depth=2
	v_bfe_u32 v112, v113, 23, 8
	s_delay_alu instid0(VALU_DEP_1) | instskip(SKIP_1) | instid1(VALU_DEP_2)
	v_sub_nc_u32_e32 v115, 0x70, v112
	v_cmp_gt_u32_e32 vcc_lo, 0x71, v112
	v_dual_cndmask_b32 v115, 0, v115 :: v_dual_and_b32 v114, 0x7fffff, v113
	s_delay_alu instid0(VALU_DEP_1) | instskip(SKIP_2) | instid1(VALU_DEP_4)
	v_or_b32_e32 v116, 0x800000, v114
	v_cmp_eq_u32_e32 vcc_lo, 0, v112
	v_add_nc_u32_e32 v112, 0xffffff91, v112
	v_cndmask_b32_e64 v115, v115, 0x6f, vcc_lo
	s_delay_alu instid0(VALU_DEP_2) | instskip(SKIP_1) | instid1(VALU_DEP_3)
	v_cndmask_b32_e64 v112, v112, 0xffffff92, vcc_lo
	v_cndmask_b32_e32 v114, v116, v114, vcc_lo
	v_lshl_add_u32 v116, 0x200000, v115, -1
	v_lshlrev_b32_e64 v119, v115, 0x100000
	s_delay_alu instid0(VALU_DEP_3) | instskip(SKIP_1) | instid1(VALU_DEP_4)
	v_lshrrev_b32_e32 v117, v115, v114
	v_add_nc_u32_e32 v115, v115, v112
	v_and_b32_e32 v114, v116, v114
	s_delay_alu instid0(VALU_DEP_3) | instskip(NEXT) | instid1(VALU_DEP_2)
	v_bfe_u32 v118, v117, 21, 1
	v_cmp_eq_u32_e64 s7, v114, v119
	s_delay_alu instid0(VALU_DEP_2) | instskip(NEXT) | instid1(VALU_DEP_1)
	v_add_nc_u32_e32 v116, -1, v118
	v_cndmask_b32_e64 v114, 0, v116, s7
	v_lshrrev_b32_e32 v116, 23, v117
	s_mov_b32 s7, exec_lo
	s_delay_alu instid0(VALU_DEP_2) | instskip(NEXT) | instid1(VALU_DEP_2)
	v_add_nc_u32_e32 v114, v114, v117
	v_xor_b32_e32 v116, 1, v116
	s_delay_alu instid0(VALU_DEP_2) | instskip(NEXT) | instid1(VALU_DEP_1)
	v_and_b32_e32 v112, 0x1fffff, v114
	v_add_nc_u32_e32 v114, v112, v117
                                        ; implicit-def: $vgpr112
	s_delay_alu instid0(VALU_DEP_3)
	v_cmpx_ne_u32_e64 v115, v116
	s_xor_b32 s7, exec_lo, s7
; %bb.1890:                             ;   in Loop: Header=BB2_1719 Depth=2
	s_delay_alu instid0(VALU_DEP_2) | instskip(SKIP_2) | instid1(VALU_DEP_2)
	v_cmp_lt_u32_e32 vcc_lo, 0xffffff, v114
	v_sub_nc_u32_e32 v112, v115, v116
	v_cndmask_b32_e64 v115, 0, 1, vcc_lo
	v_add_co_ci_u32_e32 v112, vcc_lo, 0, v112, vcc_lo
	s_delay_alu instid0(VALU_DEP_2)
	v_lshrrev_b32_e32 v114, v115, v114
; %bb.1891:                             ;   in Loop: Header=BB2_1719 Depth=2
	s_and_not1_saveexec_b32 s7, s7
; %bb.1892:                             ;   in Loop: Header=BB2_1719 Depth=2
	s_delay_alu instid0(VALU_DEP_1)
	v_bfe_u32 v112, v114, 23, 1
; %bb.1893:                             ;   in Loop: Header=BB2_1719 Depth=2
	s_or_b32 exec_lo, exec_lo, s7
	v_lshrrev_b32_e32 v114, 21, v114
	s_delay_alu instid0(VALU_DEP_2) | instskip(SKIP_2) | instid1(VALU_DEP_2)
	v_cmp_gt_i32_e32 vcc_lo, 32, v112
	v_lshrrev_b32_e32 v113, 24, v113
	v_min_i32_e32 v115, 31, v112
	v_dual_cndmask_b32 v114, 3, v114 :: v_dual_and_b32 v113, 0x80, v113
	s_delay_alu instid0(VALU_DEP_1) | instskip(SKIP_1) | instid1(VALU_DEP_2)
	v_or_b32_e32 v112, v112, v114
	v_and_b32_e32 v116, 3, v114
	v_cmp_ne_u32_e32 vcc_lo, 0, v112
	v_lshlrev_b32_e32 v115, 2, v115
	s_delay_alu instid0(VALU_DEP_1) | instskip(NEXT) | instid1(VALU_DEP_1)
	v_or3_b32 v113, v115, v113, v116
	v_cndmask_b32_e32 v112, 0, v113, vcc_lo
.LBB2_1894:                             ;   in Loop: Header=BB2_1719 Depth=2
	s_or_b32 exec_lo, exec_lo, s24
.LBB2_1895:                             ;   in Loop: Header=BB2_1719 Depth=2
	s_delay_alu instid0(SALU_CYCLE_1) | instskip(SKIP_3) | instid1(VALU_DEP_1)
	s_or_b32 exec_lo, exec_lo, s23
	v_lshrrev_b32_e32 v114, 24, v16
	s_mov_b32 s7, 0
	s_mov_b32 s24, exec_lo
                                        ; implicit-def: $sgpr23
	v_cmpx_lt_i16_e32 0x7f, v114
	s_xor_b32 s24, exec_lo, s24
	s_cbranch_execnz .LBB2_2061
; %bb.1896:                             ;   in Loop: Header=BB2_1719 Depth=2
	s_or_saveexec_b32 s24, s24
	v_mov_b32_e32 v113, s23
	s_xor_b32 exec_lo, exec_lo, s24
	s_cbranch_execnz .LBB2_2064
.LBB2_1897:                             ;   in Loop: Header=BB2_1719 Depth=2
	s_or_b32 exec_lo, exec_lo, s24
	s_and_saveexec_b32 s23, s7
	s_cbranch_execz .LBB2_1899
.LBB2_1898:                             ;   in Loop: Header=BB2_1719 Depth=2
	v_bfe_u32 v113, v16, 24, 2
	s_delay_alu instid0(VALU_DEP_1) | instskip(NEXT) | instid1(VALU_DEP_1)
	v_clz_i32_u32_e32 v115, v113
	v_min_u32_e32 v115, 32, v115
	s_delay_alu instid0(VALU_DEP_1) | instskip(SKIP_1) | instid1(VALU_DEP_2)
	v_subrev_nc_u32_e32 v116, 29, v115
	v_sub_nc_u32_e32 v115, 30, v115
	v_lshlrev_b32_e32 v114, v116, v114
	v_bfe_u32 v116, v16, 26, 5
	v_and_b32_e32 v16, 0x80000000, v16
	s_delay_alu instid0(VALU_DEP_2) | instskip(NEXT) | instid1(VALU_DEP_4)
	v_cmp_eq_u32_e32 vcc_lo, 0, v116
	v_dual_cndmask_b32 v115, v116, v115 :: v_dual_and_b32 v114, 3, v114
	s_delay_alu instid0(VALU_DEP_1) | instskip(NEXT) | instid1(VALU_DEP_2)
	v_cndmask_b32_e32 v113, v113, v114, vcc_lo
	v_lshl_add_u32 v114, v115, 23, 0x37800000
	s_delay_alu instid0(VALU_DEP_2) | instskip(NEXT) | instid1(VALU_DEP_1)
	v_lshlrev_b32_e32 v113, 21, v113
	v_or3_b32 v113, v16, v114, v113
.LBB2_1899:                             ;   in Loop: Header=BB2_1719 Depth=2
	s_or_b32 exec_lo, exec_lo, s23
	v_lshrrev_b32_e32 v16, 24, v12
	s_mov_b32 s7, 0
	s_mov_b32 s24, exec_lo
                                        ; implicit-def: $sgpr23
	s_delay_alu instid0(VALU_DEP_1)
	v_cmpx_lt_i16_e32 0x7f, v16
	s_xor_b32 s24, exec_lo, s24
	s_cbranch_execnz .LBB2_2065
; %bb.1900:                             ;   in Loop: Header=BB2_1719 Depth=2
	s_or_saveexec_b32 s24, s24
	v_mov_b32_e32 v114, s23
	s_xor_b32 exec_lo, exec_lo, s24
	s_cbranch_execnz .LBB2_2068
.LBB2_1901:                             ;   in Loop: Header=BB2_1719 Depth=2
	s_or_b32 exec_lo, exec_lo, s24
	s_and_saveexec_b32 s23, s7
	s_cbranch_execz .LBB2_1903
.LBB2_1902:                             ;   in Loop: Header=BB2_1719 Depth=2
	v_bfe_u32 v114, v12, 24, 2
	s_delay_alu instid0(VALU_DEP_1) | instskip(NEXT) | instid1(VALU_DEP_1)
	v_clz_i32_u32_e32 v115, v114
	v_min_u32_e32 v115, 32, v115
	s_delay_alu instid0(VALU_DEP_1) | instskip(SKIP_1) | instid1(VALU_DEP_2)
	v_subrev_nc_u32_e32 v116, 29, v115
	v_sub_nc_u32_e32 v115, 30, v115
	v_lshlrev_b32_e32 v16, v116, v16
	v_bfe_u32 v116, v12, 26, 5
	v_and_b32_e32 v12, 0x80000000, v12
	s_delay_alu instid0(VALU_DEP_2) | instskip(NEXT) | instid1(VALU_DEP_4)
	v_cmp_eq_u32_e32 vcc_lo, 0, v116
	v_dual_cndmask_b32 v115, v116, v115 :: v_dual_and_b32 v16, 3, v16
	s_delay_alu instid0(VALU_DEP_1) | instskip(NEXT) | instid1(VALU_DEP_2)
	v_cndmask_b32_e32 v16, v114, v16, vcc_lo
	v_lshl_add_u32 v114, v115, 23, 0x37800000
	s_delay_alu instid0(VALU_DEP_2) | instskip(NEXT) | instid1(VALU_DEP_1)
	v_lshlrev_b32_e32 v16, 21, v16
	v_or3_b32 v114, v12, v114, v16
.LBB2_1903:                             ;   in Loop: Header=BB2_1719 Depth=2
	s_or_b32 exec_lo, exec_lo, s23
	s_delay_alu instid0(VALU_DEP_1) | instskip(NEXT) | instid1(VALU_DEP_1)
	v_mul_f32_e32 v16, v113, v114
	v_and_b32_e32 v12, 0x7f800000, v16
	s_delay_alu instid0(VALU_DEP_1)
	v_cmp_ne_u32_e32 vcc_lo, 0x7f800000, v12
	v_mov_b32_e32 v12, 0x80
	s_and_saveexec_b32 s23, vcc_lo
	s_cbranch_execz .LBB2_1911
; %bb.1904:                             ;   in Loop: Header=BB2_1719 Depth=2
	v_mov_b32_e32 v12, 0
	s_mov_b32 s24, exec_lo
	v_cmpx_ne_u32_e32 0, v16
	s_cbranch_execz .LBB2_1910
; %bb.1905:                             ;   in Loop: Header=BB2_1719 Depth=2
	v_bfe_u32 v12, v16, 23, 8
	s_delay_alu instid0(VALU_DEP_1) | instskip(SKIP_1) | instid1(VALU_DEP_2)
	v_sub_nc_u32_e32 v114, 0x70, v12
	v_cmp_gt_u32_e32 vcc_lo, 0x71, v12
	v_dual_cndmask_b32 v114, 0, v114 :: v_dual_and_b32 v113, 0x7fffff, v16
	s_delay_alu instid0(VALU_DEP_1) | instskip(SKIP_2) | instid1(VALU_DEP_4)
	v_or_b32_e32 v115, 0x800000, v113
	v_cmp_eq_u32_e32 vcc_lo, 0, v12
	v_add_nc_u32_e32 v12, 0xffffff91, v12
	v_cndmask_b32_e64 v114, v114, 0x6f, vcc_lo
	s_delay_alu instid0(VALU_DEP_4) | instskip(NEXT) | instid1(VALU_DEP_3)
	v_cndmask_b32_e32 v113, v115, v113, vcc_lo
	v_cndmask_b32_e64 v12, v12, 0xffffff92, vcc_lo
	s_delay_alu instid0(VALU_DEP_3) | instskip(NEXT) | instid1(VALU_DEP_3)
	v_lshl_add_u32 v115, 0x200000, v114, -1
	v_lshrrev_b32_e32 v116, v114, v113
	v_lshlrev_b32_e64 v118, v114, 0x100000
	s_delay_alu instid0(VALU_DEP_4) | instskip(NEXT) | instid1(VALU_DEP_4)
	v_add_nc_u32_e32 v114, v114, v12
	v_and_b32_e32 v113, v115, v113
	s_delay_alu instid0(VALU_DEP_4) | instskip(NEXT) | instid1(VALU_DEP_2)
	v_bfe_u32 v117, v116, 21, 1
	v_cmp_eq_u32_e64 s7, v113, v118
	s_delay_alu instid0(VALU_DEP_2) | instskip(NEXT) | instid1(VALU_DEP_1)
	v_add_nc_u32_e32 v115, -1, v117
	v_cndmask_b32_e64 v113, 0, v115, s7
	v_lshrrev_b32_e32 v115, 23, v116
	s_mov_b32 s7, exec_lo
	s_delay_alu instid0(VALU_DEP_2) | instskip(NEXT) | instid1(VALU_DEP_2)
	v_add_nc_u32_e32 v113, v113, v116
	v_xor_b32_e32 v115, 1, v115
	s_delay_alu instid0(VALU_DEP_2) | instskip(NEXT) | instid1(VALU_DEP_1)
	v_and_b32_e32 v12, 0x1fffff, v113
	v_add_nc_u32_e32 v113, v12, v116
                                        ; implicit-def: $vgpr12
	s_delay_alu instid0(VALU_DEP_3)
	v_cmpx_ne_u32_e64 v114, v115
	s_xor_b32 s7, exec_lo, s7
; %bb.1906:                             ;   in Loop: Header=BB2_1719 Depth=2
	s_delay_alu instid0(VALU_DEP_2) | instskip(SKIP_2) | instid1(VALU_DEP_2)
	v_cmp_lt_u32_e32 vcc_lo, 0xffffff, v113
	v_sub_nc_u32_e32 v12, v114, v115
	v_cndmask_b32_e64 v114, 0, 1, vcc_lo
	v_add_co_ci_u32_e32 v12, vcc_lo, 0, v12, vcc_lo
	s_delay_alu instid0(VALU_DEP_2)
	v_lshrrev_b32_e32 v113, v114, v113
; %bb.1907:                             ;   in Loop: Header=BB2_1719 Depth=2
	s_and_not1_saveexec_b32 s7, s7
; %bb.1908:                             ;   in Loop: Header=BB2_1719 Depth=2
	s_delay_alu instid0(VALU_DEP_1)
	v_bfe_u32 v12, v113, 23, 1
; %bb.1909:                             ;   in Loop: Header=BB2_1719 Depth=2
	s_or_b32 exec_lo, exec_lo, s7
	v_lshrrev_b32_e32 v113, 21, v113
	s_delay_alu instid0(VALU_DEP_2) | instskip(SKIP_2) | instid1(VALU_DEP_2)
	v_cmp_gt_i32_e32 vcc_lo, 32, v12
	v_lshrrev_b32_e32 v16, 24, v16
	v_min_i32_e32 v114, 31, v12
	v_dual_cndmask_b32 v113, 3, v113 :: v_dual_and_b32 v16, 0x80, v16
	s_delay_alu instid0(VALU_DEP_2) | instskip(NEXT) | instid1(VALU_DEP_2)
	v_lshlrev_b32_e32 v114, 2, v114
	v_or_b32_e32 v12, v12, v113
	s_delay_alu instid0(VALU_DEP_1) | instskip(SKIP_1) | instid1(VALU_DEP_1)
	v_cmp_ne_u32_e32 vcc_lo, 0, v12
	v_and_b32_e32 v115, 3, v113
	v_or3_b32 v16, v114, v16, v115
	s_delay_alu instid0(VALU_DEP_1)
	v_cndmask_b32_e32 v12, 0, v16, vcc_lo
.LBB2_1910:                             ;   in Loop: Header=BB2_1719 Depth=2
	s_or_b32 exec_lo, exec_lo, s24
.LBB2_1911:                             ;   in Loop: Header=BB2_1719 Depth=2
	s_delay_alu instid0(SALU_CYCLE_1) | instskip(SKIP_3) | instid1(VALU_DEP_1)
	s_or_b32 exec_lo, exec_lo, s23
	v_and_b32_e32 v113, 0xff, v17
	s_mov_b32 s7, 0
	s_mov_b32 s24, exec_lo
                                        ; implicit-def: $sgpr23
	v_cmpx_lt_i16_e32 0x7f, v113
	s_xor_b32 s24, exec_lo, s24
	s_cbranch_execnz .LBB2_2069
; %bb.1912:                             ;   in Loop: Header=BB2_1719 Depth=2
	s_or_saveexec_b32 s24, s24
	v_mov_b32_e32 v16, s23
	s_xor_b32 exec_lo, exec_lo, s24
	s_cbranch_execnz .LBB2_2072
.LBB2_1913:                             ;   in Loop: Header=BB2_1719 Depth=2
	s_or_b32 exec_lo, exec_lo, s24
	s_and_saveexec_b32 s23, s7
	s_cbranch_execz .LBB2_1915
.LBB2_1914:                             ;   in Loop: Header=BB2_1719 Depth=2
	v_and_b32_e32 v16, 3, v17
	v_bfe_u32 v115, v17, 2, 5
	v_lshlrev_b32_e32 v116, 24, v17
	s_delay_alu instid0(VALU_DEP_3) | instskip(NEXT) | instid1(VALU_DEP_3)
	v_clz_i32_u32_e32 v113, v16
	v_cmp_eq_u32_e32 vcc_lo, 0, v115
	s_delay_alu instid0(VALU_DEP_2) | instskip(NEXT) | instid1(VALU_DEP_1)
	v_min_u32_e32 v113, 32, v113
	v_subrev_nc_u32_e32 v114, 29, v113
	v_sub_nc_u32_e32 v113, 30, v113
	s_delay_alu instid0(VALU_DEP_2) | instskip(NEXT) | instid1(VALU_DEP_1)
	v_lshlrev_b32_e32 v114, v114, v17
	v_dual_cndmask_b32 v113, v115, v113 :: v_dual_and_b32 v114, 3, v114
	s_delay_alu instid0(VALU_DEP_1) | instskip(NEXT) | instid1(VALU_DEP_2)
	v_lshl_add_u32 v113, v113, 23, 0x37800000
	v_cndmask_b32_e32 v16, v16, v114, vcc_lo
	v_and_b32_e32 v114, 0x80000000, v116
	s_delay_alu instid0(VALU_DEP_2) | instskip(NEXT) | instid1(VALU_DEP_1)
	v_lshlrev_b32_e32 v16, 21, v16
	v_or3_b32 v16, v114, v113, v16
.LBB2_1915:                             ;   in Loop: Header=BB2_1719 Depth=2
	s_or_b32 exec_lo, exec_lo, s23
	v_and_b32_e32 v114, 0xff, v13
	s_mov_b32 s7, 0
	s_mov_b32 s24, exec_lo
                                        ; implicit-def: $sgpr23
	s_delay_alu instid0(VALU_DEP_1)
	v_cmpx_lt_i16_e32 0x7f, v114
	s_xor_b32 s24, exec_lo, s24
	s_cbranch_execnz .LBB2_2073
; %bb.1916:                             ;   in Loop: Header=BB2_1719 Depth=2
	s_or_saveexec_b32 s24, s24
	v_mov_b32_e32 v113, s23
	s_xor_b32 exec_lo, exec_lo, s24
	s_cbranch_execnz .LBB2_2076
.LBB2_1917:                             ;   in Loop: Header=BB2_1719 Depth=2
	s_or_b32 exec_lo, exec_lo, s24
	s_and_saveexec_b32 s23, s7
	s_cbranch_execz .LBB2_1919
.LBB2_1918:                             ;   in Loop: Header=BB2_1719 Depth=2
	v_bfe_u32 v116, v13, 2, 5
	v_lshlrev_b32_e32 v117, 24, v13
	s_delay_alu instid0(VALU_DEP_2) | instskip(SKIP_1) | instid1(VALU_DEP_1)
	v_cmp_eq_u32_e32 vcc_lo, 0, v116
	v_and_b32_e32 v113, 3, v13
	v_clz_i32_u32_e32 v114, v113
	s_delay_alu instid0(VALU_DEP_1) | instskip(NEXT) | instid1(VALU_DEP_1)
	v_min_u32_e32 v114, 32, v114
	v_subrev_nc_u32_e32 v115, 29, v114
	v_sub_nc_u32_e32 v114, 30, v114
	s_delay_alu instid0(VALU_DEP_1) | instskip(NEXT) | instid1(VALU_DEP_1)
	v_dual_cndmask_b32 v114, v116, v114 :: v_dual_lshlrev_b32 v115, v115, v13
	v_and_b32_e32 v115, 3, v115
	s_delay_alu instid0(VALU_DEP_2) | instskip(NEXT) | instid1(VALU_DEP_2)
	v_lshl_add_u32 v114, v114, 23, 0x37800000
	v_cndmask_b32_e32 v113, v113, v115, vcc_lo
	v_and_b32_e32 v115, 0x80000000, v117
	s_delay_alu instid0(VALU_DEP_2) | instskip(NEXT) | instid1(VALU_DEP_1)
	v_lshlrev_b32_e32 v113, 21, v113
	v_or3_b32 v113, v115, v114, v113
.LBB2_1919:                             ;   in Loop: Header=BB2_1719 Depth=2
	s_or_b32 exec_lo, exec_lo, s23
	s_delay_alu instid0(VALU_DEP_1) | instskip(NEXT) | instid1(VALU_DEP_1)
	v_mul_f32_e32 v113, v16, v113
	v_and_b32_e32 v16, 0x7f800000, v113
	s_delay_alu instid0(VALU_DEP_1)
	v_cmp_ne_u32_e32 vcc_lo, 0x7f800000, v16
	v_mov_b32_e32 v16, 0x80
	s_and_saveexec_b32 s23, vcc_lo
	s_cbranch_execz .LBB2_1927
; %bb.1920:                             ;   in Loop: Header=BB2_1719 Depth=2
	v_mov_b32_e32 v16, 0
	s_mov_b32 s24, exec_lo
	v_cmpx_ne_u32_e32 0, v113
	s_cbranch_execz .LBB2_1926
; %bb.1921:                             ;   in Loop: Header=BB2_1719 Depth=2
	v_bfe_u32 v16, v113, 23, 8
	s_delay_alu instid0(VALU_DEP_1) | instskip(SKIP_1) | instid1(VALU_DEP_2)
	v_sub_nc_u32_e32 v115, 0x70, v16
	v_cmp_gt_u32_e32 vcc_lo, 0x71, v16
	v_dual_cndmask_b32 v115, 0, v115 :: v_dual_and_b32 v114, 0x7fffff, v113
	s_delay_alu instid0(VALU_DEP_1) | instskip(SKIP_2) | instid1(VALU_DEP_4)
	v_or_b32_e32 v116, 0x800000, v114
	v_cmp_eq_u32_e32 vcc_lo, 0, v16
	v_add_nc_u32_e32 v16, 0xffffff91, v16
	v_cndmask_b32_e64 v115, v115, 0x6f, vcc_lo
	s_delay_alu instid0(VALU_DEP_2) | instskip(SKIP_1) | instid1(VALU_DEP_3)
	v_cndmask_b32_e64 v16, v16, 0xffffff92, vcc_lo
	v_cndmask_b32_e32 v114, v116, v114, vcc_lo
	v_lshl_add_u32 v116, 0x200000, v115, -1
	v_lshlrev_b32_e64 v119, v115, 0x100000
	s_delay_alu instid0(VALU_DEP_3) | instskip(SKIP_1) | instid1(VALU_DEP_4)
	v_lshrrev_b32_e32 v117, v115, v114
	v_add_nc_u32_e32 v115, v115, v16
	v_and_b32_e32 v114, v116, v114
	s_delay_alu instid0(VALU_DEP_3) | instskip(NEXT) | instid1(VALU_DEP_2)
	v_bfe_u32 v118, v117, 21, 1
	v_cmp_eq_u32_e64 s7, v114, v119
	s_delay_alu instid0(VALU_DEP_2) | instskip(NEXT) | instid1(VALU_DEP_1)
	v_add_nc_u32_e32 v116, -1, v118
	v_cndmask_b32_e64 v114, 0, v116, s7
	v_lshrrev_b32_e32 v116, 23, v117
	s_mov_b32 s7, exec_lo
	s_delay_alu instid0(VALU_DEP_2) | instskip(NEXT) | instid1(VALU_DEP_2)
	v_add_nc_u32_e32 v114, v114, v117
	v_xor_b32_e32 v116, 1, v116
	s_delay_alu instid0(VALU_DEP_2) | instskip(NEXT) | instid1(VALU_DEP_1)
	v_and_b32_e32 v16, 0x1fffff, v114
	v_add_nc_u32_e32 v114, v16, v117
                                        ; implicit-def: $vgpr16
	s_delay_alu instid0(VALU_DEP_3)
	v_cmpx_ne_u32_e64 v115, v116
	s_xor_b32 s7, exec_lo, s7
; %bb.1922:                             ;   in Loop: Header=BB2_1719 Depth=2
	s_delay_alu instid0(VALU_DEP_2) | instskip(SKIP_2) | instid1(VALU_DEP_2)
	v_cmp_lt_u32_e32 vcc_lo, 0xffffff, v114
	v_sub_nc_u32_e32 v16, v115, v116
	v_cndmask_b32_e64 v115, 0, 1, vcc_lo
	v_add_co_ci_u32_e32 v16, vcc_lo, 0, v16, vcc_lo
	s_delay_alu instid0(VALU_DEP_2)
	v_lshrrev_b32_e32 v114, v115, v114
; %bb.1923:                             ;   in Loop: Header=BB2_1719 Depth=2
	s_and_not1_saveexec_b32 s7, s7
; %bb.1924:                             ;   in Loop: Header=BB2_1719 Depth=2
	s_delay_alu instid0(VALU_DEP_1)
	v_bfe_u32 v16, v114, 23, 1
; %bb.1925:                             ;   in Loop: Header=BB2_1719 Depth=2
	s_or_b32 exec_lo, exec_lo, s7
	v_lshrrev_b32_e32 v114, 21, v114
	s_delay_alu instid0(VALU_DEP_2) | instskip(SKIP_2) | instid1(VALU_DEP_2)
	v_cmp_gt_i32_e32 vcc_lo, 32, v16
	v_lshrrev_b32_e32 v113, 24, v113
	v_min_i32_e32 v115, 31, v16
	v_dual_cndmask_b32 v114, 3, v114 :: v_dual_and_b32 v113, 0x80, v113
	s_delay_alu instid0(VALU_DEP_1) | instskip(SKIP_1) | instid1(VALU_DEP_2)
	v_or_b32_e32 v16, v16, v114
	v_and_b32_e32 v116, 3, v114
	v_cmp_ne_u32_e32 vcc_lo, 0, v16
	v_lshlrev_b32_e32 v115, 2, v115
	s_delay_alu instid0(VALU_DEP_1) | instskip(NEXT) | instid1(VALU_DEP_1)
	v_or3_b32 v113, v115, v113, v116
	v_cndmask_b32_e32 v16, 0, v113, vcc_lo
.LBB2_1926:                             ;   in Loop: Header=BB2_1719 Depth=2
	s_or_b32 exec_lo, exec_lo, s24
.LBB2_1927:                             ;   in Loop: Header=BB2_1719 Depth=2
	s_delay_alu instid0(SALU_CYCLE_1) | instskip(SKIP_3) | instid1(VALU_DEP_1)
	s_or_b32 exec_lo, exec_lo, s23
	v_lshrrev_b16 v114, 8, v17
	s_mov_b32 s7, 0
	s_mov_b32 s24, exec_lo
                                        ; implicit-def: $sgpr23
	v_cmpx_lt_i16_e32 0x7f, v114
	s_xor_b32 s24, exec_lo, s24
	s_cbranch_execnz .LBB2_2077
; %bb.1928:                             ;   in Loop: Header=BB2_1719 Depth=2
	s_or_saveexec_b32 s24, s24
	v_mov_b32_e32 v113, s23
	s_xor_b32 exec_lo, exec_lo, s24
	s_cbranch_execnz .LBB2_2080
.LBB2_1929:                             ;   in Loop: Header=BB2_1719 Depth=2
	s_or_b32 exec_lo, exec_lo, s24
	s_and_saveexec_b32 s23, s7
	s_cbranch_execz .LBB2_1931
.LBB2_1930:                             ;   in Loop: Header=BB2_1719 Depth=2
	v_and_b32_e32 v113, 0xffff, v114
	s_delay_alu instid0(VALU_DEP_1) | instskip(NEXT) | instid1(VALU_DEP_1)
	v_and_b32_e32 v115, 3, v113
	v_clz_i32_u32_e32 v116, v115
	s_delay_alu instid0(VALU_DEP_1) | instskip(NEXT) | instid1(VALU_DEP_1)
	v_min_u32_e32 v116, 32, v116
	v_subrev_nc_u32_e32 v117, 29, v116
	v_sub_nc_u32_e32 v116, 30, v116
	s_delay_alu instid0(VALU_DEP_2) | instskip(SKIP_1) | instid1(VALU_DEP_2)
	v_lshlrev_b32_e32 v117, v117, v113
	v_bfe_u32 v113, v113, 2, 5
	v_and_b32_e32 v117, 3, v117
	s_delay_alu instid0(VALU_DEP_2) | instskip(SKIP_1) | instid1(VALU_DEP_1)
	v_cmp_eq_u32_e32 vcc_lo, 0, v113
	v_dual_cndmask_b32 v113, v113, v116 :: v_dual_lshlrev_b32 v114, 24, v114
	v_dual_cndmask_b32 v115, v115, v117 :: v_dual_and_b32 v114, 0x80000000, v114
	s_delay_alu instid0(VALU_DEP_2) | instskip(NEXT) | instid1(VALU_DEP_2)
	v_lshl_add_u32 v113, v113, 23, 0x37800000
	v_lshlrev_b32_e32 v115, 21, v115
	s_delay_alu instid0(VALU_DEP_1)
	v_or3_b32 v113, v114, v113, v115
.LBB2_1931:                             ;   in Loop: Header=BB2_1719 Depth=2
	s_or_b32 exec_lo, exec_lo, s23
	v_lshrrev_b16 v114, 8, v13
	s_mov_b32 s7, 0
	s_mov_b32 s24, exec_lo
                                        ; implicit-def: $sgpr23
	s_delay_alu instid0(VALU_DEP_1)
	v_cmpx_lt_i16_e32 0x7f, v114
	s_xor_b32 s24, exec_lo, s24
	s_cbranch_execnz .LBB2_2081
; %bb.1932:                             ;   in Loop: Header=BB2_1719 Depth=2
	s_or_saveexec_b32 s24, s24
	v_mov_b32_e32 v115, s23
	s_xor_b32 exec_lo, exec_lo, s24
	s_cbranch_execnz .LBB2_2084
.LBB2_1933:                             ;   in Loop: Header=BB2_1719 Depth=2
	s_or_b32 exec_lo, exec_lo, s24
	s_and_saveexec_b32 s23, s7
	s_cbranch_execz .LBB2_1935
.LBB2_1934:                             ;   in Loop: Header=BB2_1719 Depth=2
	v_and_b32_e32 v115, 0xffff, v114
	v_lshlrev_b32_e32 v114, 24, v114
	s_delay_alu instid0(VALU_DEP_2) | instskip(NEXT) | instid1(VALU_DEP_2)
	v_and_b32_e32 v116, 3, v115
	v_and_b32_e32 v114, 0x80000000, v114
	s_delay_alu instid0(VALU_DEP_2) | instskip(NEXT) | instid1(VALU_DEP_1)
	v_clz_i32_u32_e32 v117, v116
	v_min_u32_e32 v117, 32, v117
	s_delay_alu instid0(VALU_DEP_1) | instskip(SKIP_1) | instid1(VALU_DEP_2)
	v_subrev_nc_u32_e32 v118, 29, v117
	v_sub_nc_u32_e32 v117, 30, v117
	v_lshlrev_b32_e32 v118, v118, v115
	v_bfe_u32 v115, v115, 2, 5
	s_delay_alu instid0(VALU_DEP_2) | instskip(NEXT) | instid1(VALU_DEP_2)
	v_and_b32_e32 v118, 3, v118
	v_cmp_eq_u32_e32 vcc_lo, 0, v115
	s_delay_alu instid0(VALU_DEP_2) | instskip(NEXT) | instid1(VALU_DEP_1)
	v_dual_cndmask_b32 v115, v115, v117 :: v_dual_cndmask_b32 v116, v116, v118
	v_lshl_add_u32 v115, v115, 23, 0x37800000
	s_delay_alu instid0(VALU_DEP_2) | instskip(NEXT) | instid1(VALU_DEP_1)
	v_lshlrev_b32_e32 v116, 21, v116
	v_or3_b32 v115, v114, v115, v116
.LBB2_1935:                             ;   in Loop: Header=BB2_1719 Depth=2
	s_or_b32 exec_lo, exec_lo, s23
	s_delay_alu instid0(VALU_DEP_1) | instskip(NEXT) | instid1(VALU_DEP_1)
	v_mul_f32_e32 v114, v113, v115
	v_and_b32_e32 v113, 0x7f800000, v114
	s_delay_alu instid0(VALU_DEP_1)
	v_cmp_ne_u32_e32 vcc_lo, 0x7f800000, v113
	v_mov_b32_e32 v113, 0x8000
	s_and_saveexec_b32 s23, vcc_lo
	s_cbranch_execz .LBB2_1943
; %bb.1936:                             ;   in Loop: Header=BB2_1719 Depth=2
	v_mov_b32_e32 v113, 0
	s_mov_b32 s24, exec_lo
	v_cmpx_ne_u32_e32 0, v114
	s_cbranch_execz .LBB2_1942
; %bb.1937:                             ;   in Loop: Header=BB2_1719 Depth=2
	v_bfe_u32 v113, v114, 23, 8
	s_delay_alu instid0(VALU_DEP_1) | instskip(SKIP_1) | instid1(VALU_DEP_2)
	v_sub_nc_u32_e32 v116, 0x70, v113
	v_cmp_gt_u32_e32 vcc_lo, 0x71, v113
	v_dual_cndmask_b32 v116, 0, v116 :: v_dual_and_b32 v115, 0x7fffff, v114
	s_delay_alu instid0(VALU_DEP_1) | instskip(SKIP_2) | instid1(VALU_DEP_4)
	v_or_b32_e32 v117, 0x800000, v115
	v_cmp_eq_u32_e32 vcc_lo, 0, v113
	v_add_nc_u32_e32 v113, 0xffffff91, v113
	v_cndmask_b32_e64 v116, v116, 0x6f, vcc_lo
	s_delay_alu instid0(VALU_DEP_2) | instskip(SKIP_1) | instid1(VALU_DEP_3)
	v_cndmask_b32_e64 v113, v113, 0xffffff92, vcc_lo
	v_cndmask_b32_e32 v115, v117, v115, vcc_lo
	v_lshl_add_u32 v117, 0x200000, v116, -1
	v_lshlrev_b32_e64 v128, v116, 0x100000
	s_delay_alu instid0(VALU_DEP_3) | instskip(SKIP_1) | instid1(VALU_DEP_4)
	v_lshrrev_b32_e32 v118, v116, v115
	v_add_nc_u32_e32 v116, v116, v113
	v_and_b32_e32 v115, v117, v115
	s_delay_alu instid0(VALU_DEP_3) | instskip(NEXT) | instid1(VALU_DEP_2)
	v_bfe_u32 v119, v118, 21, 1
	v_cmp_eq_u32_e64 s7, v115, v128
	s_delay_alu instid0(VALU_DEP_2) | instskip(NEXT) | instid1(VALU_DEP_1)
	v_add_nc_u32_e32 v117, -1, v119
	v_cndmask_b32_e64 v115, 0, v117, s7
	v_lshrrev_b32_e32 v117, 23, v118
	s_mov_b32 s7, exec_lo
	s_delay_alu instid0(VALU_DEP_2) | instskip(NEXT) | instid1(VALU_DEP_2)
	v_add_nc_u32_e32 v115, v115, v118
	v_xor_b32_e32 v117, 1, v117
	s_delay_alu instid0(VALU_DEP_2) | instskip(NEXT) | instid1(VALU_DEP_1)
	v_and_b32_e32 v113, 0x1fffff, v115
	v_add_nc_u32_e32 v115, v113, v118
                                        ; implicit-def: $vgpr113
	s_delay_alu instid0(VALU_DEP_3)
	v_cmpx_ne_u32_e64 v116, v117
	s_xor_b32 s7, exec_lo, s7
; %bb.1938:                             ;   in Loop: Header=BB2_1719 Depth=2
	s_delay_alu instid0(VALU_DEP_2) | instskip(SKIP_2) | instid1(VALU_DEP_2)
	v_cmp_lt_u32_e32 vcc_lo, 0xffffff, v115
	v_sub_nc_u32_e32 v113, v116, v117
	v_cndmask_b32_e64 v116, 0, 1, vcc_lo
	v_add_co_ci_u32_e32 v113, vcc_lo, 0, v113, vcc_lo
	s_delay_alu instid0(VALU_DEP_2)
	v_lshrrev_b32_e32 v115, v116, v115
; %bb.1939:                             ;   in Loop: Header=BB2_1719 Depth=2
	s_and_not1_saveexec_b32 s7, s7
; %bb.1940:                             ;   in Loop: Header=BB2_1719 Depth=2
	s_delay_alu instid0(VALU_DEP_1)
	v_bfe_u32 v113, v115, 23, 1
; %bb.1941:                             ;   in Loop: Header=BB2_1719 Depth=2
	s_or_b32 exec_lo, exec_lo, s7
	v_lshrrev_b32_e32 v115, 21, v115
	s_delay_alu instid0(VALU_DEP_2) | instskip(SKIP_2) | instid1(VALU_DEP_2)
	v_cmp_gt_i32_e32 vcc_lo, 32, v113
	v_min_i32_e32 v116, 31, v113
	v_lshrrev_b32_e32 v114, 24, v114
	v_dual_cndmask_b32 v115, 3, v115 :: v_dual_lshlrev_b32 v116, 2, v116
	s_delay_alu instid0(VALU_DEP_2) | instskip(NEXT) | instid1(VALU_DEP_2)
	v_and_b32_e32 v114, 0x80, v114
	v_or_b32_e32 v113, v113, v115
	v_and_b32_e32 v117, 3, v115
	s_delay_alu instid0(VALU_DEP_2) | instskip(SKIP_1) | instid1(VALU_DEP_1)
	v_cmp_ne_u32_e32 vcc_lo, 0, v113
	v_and_b32_e32 v116, 0xfc, v116
	v_or3_b32 v114, v114, v116, v117
	s_delay_alu instid0(VALU_DEP_1) | instskip(NEXT) | instid1(VALU_DEP_1)
	v_lshlrev_b32_e32 v114, 8, v114
	v_cndmask_b32_e32 v113, 0, v114, vcc_lo
.LBB2_1942:                             ;   in Loop: Header=BB2_1719 Depth=2
	s_or_b32 exec_lo, exec_lo, s24
.LBB2_1943:                             ;   in Loop: Header=BB2_1719 Depth=2
	s_delay_alu instid0(SALU_CYCLE_1) | instskip(SKIP_3) | instid1(VALU_DEP_1)
	s_or_b32 exec_lo, exec_lo, s23
	v_lshrrev_b32_e32 v115, 16, v17
	s_mov_b32 s7, 0
	s_mov_b32 s24, exec_lo
                                        ; implicit-def: $sgpr23
	v_and_b32_e32 v116, 0xff, v115
	s_delay_alu instid0(VALU_DEP_1)
	v_cmpx_lt_i16_e32 0x7f, v116
	s_xor_b32 s24, exec_lo, s24
	s_cbranch_execnz .LBB2_2085
; %bb.1944:                             ;   in Loop: Header=BB2_1719 Depth=2
	s_or_saveexec_b32 s24, s24
	v_mov_b32_e32 v114, s23
	s_xor_b32 exec_lo, exec_lo, s24
	s_cbranch_execnz .LBB2_2088
.LBB2_1945:                             ;   in Loop: Header=BB2_1719 Depth=2
	s_or_b32 exec_lo, exec_lo, s24
	s_and_saveexec_b32 s23, s7
	s_cbranch_execz .LBB2_1947
.LBB2_1946:                             ;   in Loop: Header=BB2_1719 Depth=2
	v_bfe_u32 v114, v17, 16, 2
	v_lshlrev_b32_e32 v118, 8, v17
	s_delay_alu instid0(VALU_DEP_2) | instskip(NEXT) | instid1(VALU_DEP_1)
	v_clz_i32_u32_e32 v116, v114
	v_min_u32_e32 v116, 32, v116
	s_delay_alu instid0(VALU_DEP_1) | instskip(SKIP_1) | instid1(VALU_DEP_2)
	v_subrev_nc_u32_e32 v117, 29, v116
	v_sub_nc_u32_e32 v116, 30, v116
	v_lshlrev_b32_e32 v115, v117, v115
	v_bfe_u32 v117, v17, 18, 5
	s_delay_alu instid0(VALU_DEP_1) | instskip(NEXT) | instid1(VALU_DEP_3)
	v_cmp_eq_u32_e32 vcc_lo, 0, v117
	v_dual_cndmask_b32 v116, v117, v116 :: v_dual_and_b32 v115, 3, v115
	s_delay_alu instid0(VALU_DEP_1) | instskip(NEXT) | instid1(VALU_DEP_2)
	v_dual_cndmask_b32 v114, v114, v115 :: v_dual_and_b32 v115, 0x80000000, v118
	v_lshl_add_u32 v116, v116, 23, 0x37800000
	s_delay_alu instid0(VALU_DEP_2) | instskip(NEXT) | instid1(VALU_DEP_1)
	v_lshlrev_b32_e32 v114, 21, v114
	v_or3_b32 v114, v115, v116, v114
.LBB2_1947:                             ;   in Loop: Header=BB2_1719 Depth=2
	s_or_b32 exec_lo, exec_lo, s23
	v_lshrrev_b32_e32 v115, 16, v13
	s_mov_b32 s7, 0
	s_mov_b32 s24, exec_lo
                                        ; implicit-def: $sgpr23
	s_delay_alu instid0(VALU_DEP_1) | instskip(NEXT) | instid1(VALU_DEP_1)
	v_and_b32_e32 v117, 0xff, v115
	v_cmpx_lt_i16_e32 0x7f, v117
	s_xor_b32 s24, exec_lo, s24
	s_cbranch_execnz .LBB2_2089
; %bb.1948:                             ;   in Loop: Header=BB2_1719 Depth=2
	s_or_saveexec_b32 s24, s24
	v_mov_b32_e32 v116, s23
	s_xor_b32 exec_lo, exec_lo, s24
	s_cbranch_execnz .LBB2_2092
.LBB2_1949:                             ;   in Loop: Header=BB2_1719 Depth=2
	s_or_b32 exec_lo, exec_lo, s24
	s_and_saveexec_b32 s23, s7
	s_cbranch_execz .LBB2_1951
.LBB2_1950:                             ;   in Loop: Header=BB2_1719 Depth=2
	v_bfe_u32 v116, v13, 16, 2
	v_lshlrev_b32_e32 v119, 8, v13
	s_delay_alu instid0(VALU_DEP_2) | instskip(NEXT) | instid1(VALU_DEP_1)
	v_clz_i32_u32_e32 v117, v116
	v_min_u32_e32 v117, 32, v117
	s_delay_alu instid0(VALU_DEP_1) | instskip(SKIP_1) | instid1(VALU_DEP_2)
	v_subrev_nc_u32_e32 v118, 29, v117
	v_sub_nc_u32_e32 v117, 30, v117
	v_lshlrev_b32_e32 v115, v118, v115
	v_bfe_u32 v118, v13, 18, 5
	s_delay_alu instid0(VALU_DEP_2) | instskip(NEXT) | instid1(VALU_DEP_2)
	v_and_b32_e32 v115, 3, v115
	v_cmp_eq_u32_e32 vcc_lo, 0, v118
	v_cndmask_b32_e32 v117, v118, v117, vcc_lo
	s_delay_alu instid0(VALU_DEP_3) | instskip(SKIP_1) | instid1(VALU_DEP_3)
	v_cndmask_b32_e32 v115, v116, v115, vcc_lo
	v_and_b32_e32 v116, 0x80000000, v119
	v_lshl_add_u32 v117, v117, 23, 0x37800000
	s_delay_alu instid0(VALU_DEP_3) | instskip(NEXT) | instid1(VALU_DEP_1)
	v_lshlrev_b32_e32 v115, 21, v115
	v_or3_b32 v116, v116, v117, v115
.LBB2_1951:                             ;   in Loop: Header=BB2_1719 Depth=2
	s_or_b32 exec_lo, exec_lo, s23
	s_delay_alu instid0(VALU_DEP_1) | instskip(NEXT) | instid1(VALU_DEP_1)
	v_mul_f32_e32 v115, v114, v116
	v_and_b32_e32 v114, 0x7f800000, v115
	s_delay_alu instid0(VALU_DEP_1)
	v_cmp_ne_u32_e32 vcc_lo, 0x7f800000, v114
	v_mov_b32_e32 v114, 0x80
	s_and_saveexec_b32 s23, vcc_lo
	s_cbranch_execz .LBB2_1959
; %bb.1952:                             ;   in Loop: Header=BB2_1719 Depth=2
	v_mov_b32_e32 v114, 0
	s_mov_b32 s24, exec_lo
	v_cmpx_ne_u32_e32 0, v115
	s_cbranch_execz .LBB2_1958
; %bb.1953:                             ;   in Loop: Header=BB2_1719 Depth=2
	v_bfe_u32 v114, v115, 23, 8
	s_delay_alu instid0(VALU_DEP_1) | instskip(SKIP_1) | instid1(VALU_DEP_2)
	v_sub_nc_u32_e32 v117, 0x70, v114
	v_cmp_gt_u32_e32 vcc_lo, 0x71, v114
	v_dual_cndmask_b32 v117, 0, v117 :: v_dual_and_b32 v116, 0x7fffff, v115
	s_delay_alu instid0(VALU_DEP_1) | instskip(SKIP_2) | instid1(VALU_DEP_4)
	v_or_b32_e32 v118, 0x800000, v116
	v_cmp_eq_u32_e32 vcc_lo, 0, v114
	v_add_nc_u32_e32 v114, 0xffffff91, v114
	v_cndmask_b32_e64 v117, v117, 0x6f, vcc_lo
	s_delay_alu instid0(VALU_DEP_2) | instskip(SKIP_1) | instid1(VALU_DEP_3)
	v_cndmask_b32_e64 v114, v114, 0xffffff92, vcc_lo
	v_cndmask_b32_e32 v116, v118, v116, vcc_lo
	v_lshl_add_u32 v118, 0x200000, v117, -1
	v_lshlrev_b32_e64 v129, v117, 0x100000
	s_delay_alu instid0(VALU_DEP_3) | instskip(SKIP_1) | instid1(VALU_DEP_4)
	v_lshrrev_b32_e32 v119, v117, v116
	v_add_nc_u32_e32 v117, v117, v114
	v_and_b32_e32 v116, v118, v116
	s_delay_alu instid0(VALU_DEP_3) | instskip(NEXT) | instid1(VALU_DEP_2)
	v_bfe_u32 v128, v119, 21, 1
	v_cmp_eq_u32_e64 s7, v116, v129
	s_delay_alu instid0(VALU_DEP_2) | instskip(NEXT) | instid1(VALU_DEP_1)
	v_add_nc_u32_e32 v118, -1, v128
	v_cndmask_b32_e64 v116, 0, v118, s7
	v_lshrrev_b32_e32 v118, 23, v119
	s_mov_b32 s7, exec_lo
	s_delay_alu instid0(VALU_DEP_2) | instskip(NEXT) | instid1(VALU_DEP_2)
	v_add_nc_u32_e32 v116, v116, v119
	v_xor_b32_e32 v118, 1, v118
	s_delay_alu instid0(VALU_DEP_2) | instskip(NEXT) | instid1(VALU_DEP_1)
	v_and_b32_e32 v114, 0x1fffff, v116
	v_add_nc_u32_e32 v116, v114, v119
                                        ; implicit-def: $vgpr114
	s_delay_alu instid0(VALU_DEP_3)
	v_cmpx_ne_u32_e64 v117, v118
	s_xor_b32 s7, exec_lo, s7
; %bb.1954:                             ;   in Loop: Header=BB2_1719 Depth=2
	s_delay_alu instid0(VALU_DEP_2) | instskip(SKIP_2) | instid1(VALU_DEP_2)
	v_cmp_lt_u32_e32 vcc_lo, 0xffffff, v116
	v_sub_nc_u32_e32 v114, v117, v118
	v_cndmask_b32_e64 v117, 0, 1, vcc_lo
	v_add_co_ci_u32_e32 v114, vcc_lo, 0, v114, vcc_lo
	s_delay_alu instid0(VALU_DEP_2)
	v_lshrrev_b32_e32 v116, v117, v116
; %bb.1955:                             ;   in Loop: Header=BB2_1719 Depth=2
	s_and_not1_saveexec_b32 s7, s7
; %bb.1956:                             ;   in Loop: Header=BB2_1719 Depth=2
	s_delay_alu instid0(VALU_DEP_1)
	v_bfe_u32 v114, v116, 23, 1
; %bb.1957:                             ;   in Loop: Header=BB2_1719 Depth=2
	s_or_b32 exec_lo, exec_lo, s7
	v_lshrrev_b32_e32 v116, 21, v116
	s_delay_alu instid0(VALU_DEP_2) | instskip(SKIP_2) | instid1(VALU_DEP_2)
	v_cmp_gt_i32_e32 vcc_lo, 32, v114
	v_min_i32_e32 v117, 31, v114
	v_lshrrev_b32_e32 v115, 24, v115
	v_dual_cndmask_b32 v116, 3, v116 :: v_dual_lshlrev_b32 v117, 2, v117
	s_delay_alu instid0(VALU_DEP_2) | instskip(NEXT) | instid1(VALU_DEP_2)
	v_and_b32_e32 v115, 0x80, v115
	v_or_b32_e32 v114, v114, v116
	v_and_b32_e32 v118, 3, v116
	s_delay_alu instid0(VALU_DEP_2) | instskip(SKIP_1) | instid1(VALU_DEP_1)
	v_cmp_ne_u32_e32 vcc_lo, 0, v114
	v_and_b32_e32 v117, 0xfc, v117
	v_or3_b32 v115, v117, v115, v118
	s_delay_alu instid0(VALU_DEP_1)
	v_cndmask_b32_e32 v114, 0, v115, vcc_lo
.LBB2_1958:                             ;   in Loop: Header=BB2_1719 Depth=2
	s_or_b32 exec_lo, exec_lo, s24
.LBB2_1959:                             ;   in Loop: Header=BB2_1719 Depth=2
	s_delay_alu instid0(SALU_CYCLE_1) | instskip(SKIP_3) | instid1(VALU_DEP_1)
	s_or_b32 exec_lo, exec_lo, s23
	v_lshrrev_b32_e32 v116, 24, v17
	s_mov_b32 s7, 0
	s_mov_b32 s24, exec_lo
                                        ; implicit-def: $sgpr23
	v_cmpx_lt_i16_e32 0x7f, v116
	s_xor_b32 s24, exec_lo, s24
	s_cbranch_execnz .LBB2_2093
; %bb.1960:                             ;   in Loop: Header=BB2_1719 Depth=2
	s_or_saveexec_b32 s24, s24
	v_mov_b32_e32 v115, s23
	s_xor_b32 exec_lo, exec_lo, s24
	s_cbranch_execnz .LBB2_2096
.LBB2_1961:                             ;   in Loop: Header=BB2_1719 Depth=2
	s_or_b32 exec_lo, exec_lo, s24
	s_and_saveexec_b32 s23, s7
	s_cbranch_execz .LBB2_1963
.LBB2_1962:                             ;   in Loop: Header=BB2_1719 Depth=2
	v_bfe_u32 v115, v17, 24, 2
	s_delay_alu instid0(VALU_DEP_1) | instskip(NEXT) | instid1(VALU_DEP_1)
	v_clz_i32_u32_e32 v117, v115
	v_min_u32_e32 v117, 32, v117
	s_delay_alu instid0(VALU_DEP_1) | instskip(SKIP_1) | instid1(VALU_DEP_2)
	v_subrev_nc_u32_e32 v118, 29, v117
	v_sub_nc_u32_e32 v117, 30, v117
	v_lshlrev_b32_e32 v116, v118, v116
	v_bfe_u32 v118, v17, 26, 5
	v_and_b32_e32 v17, 0x80000000, v17
	s_delay_alu instid0(VALU_DEP_2) | instskip(NEXT) | instid1(VALU_DEP_4)
	v_cmp_eq_u32_e32 vcc_lo, 0, v118
	v_dual_cndmask_b32 v117, v118, v117 :: v_dual_and_b32 v116, 3, v116
	s_delay_alu instid0(VALU_DEP_1) | instskip(NEXT) | instid1(VALU_DEP_2)
	v_cndmask_b32_e32 v115, v115, v116, vcc_lo
	v_lshl_add_u32 v116, v117, 23, 0x37800000
	s_delay_alu instid0(VALU_DEP_2) | instskip(NEXT) | instid1(VALU_DEP_1)
	v_lshlrev_b32_e32 v115, 21, v115
	v_or3_b32 v115, v17, v116, v115
.LBB2_1963:                             ;   in Loop: Header=BB2_1719 Depth=2
	s_or_b32 exec_lo, exec_lo, s23
	v_lshrrev_b32_e32 v17, 24, v13
	s_mov_b32 s7, 0
	s_mov_b32 s24, exec_lo
                                        ; implicit-def: $sgpr23
	s_delay_alu instid0(VALU_DEP_1)
	v_cmpx_lt_i16_e32 0x7f, v17
	s_xor_b32 s24, exec_lo, s24
	s_cbranch_execnz .LBB2_2097
; %bb.1964:                             ;   in Loop: Header=BB2_1719 Depth=2
	s_or_saveexec_b32 s24, s24
	v_mov_b32_e32 v116, s23
	s_xor_b32 exec_lo, exec_lo, s24
	s_cbranch_execnz .LBB2_2100
.LBB2_1965:                             ;   in Loop: Header=BB2_1719 Depth=2
	s_or_b32 exec_lo, exec_lo, s24
	s_and_saveexec_b32 s23, s7
	s_cbranch_execz .LBB2_1967
.LBB2_1966:                             ;   in Loop: Header=BB2_1719 Depth=2
	v_bfe_u32 v116, v13, 24, 2
	s_delay_alu instid0(VALU_DEP_1) | instskip(NEXT) | instid1(VALU_DEP_1)
	v_clz_i32_u32_e32 v117, v116
	v_min_u32_e32 v117, 32, v117
	s_delay_alu instid0(VALU_DEP_1) | instskip(SKIP_1) | instid1(VALU_DEP_2)
	v_subrev_nc_u32_e32 v118, 29, v117
	v_sub_nc_u32_e32 v117, 30, v117
	v_lshlrev_b32_e32 v17, v118, v17
	v_bfe_u32 v118, v13, 26, 5
	v_and_b32_e32 v13, 0x80000000, v13
	s_delay_alu instid0(VALU_DEP_3) | instskip(NEXT) | instid1(VALU_DEP_3)
	v_and_b32_e32 v17, 3, v17
	v_cmp_eq_u32_e32 vcc_lo, 0, v118
	v_cndmask_b32_e32 v117, v118, v117, vcc_lo
	s_delay_alu instid0(VALU_DEP_3) | instskip(NEXT) | instid1(VALU_DEP_2)
	v_cndmask_b32_e32 v17, v116, v17, vcc_lo
	v_lshl_add_u32 v116, v117, 23, 0x37800000
	s_delay_alu instid0(VALU_DEP_2) | instskip(NEXT) | instid1(VALU_DEP_1)
	v_lshlrev_b32_e32 v17, 21, v17
	v_or3_b32 v116, v13, v116, v17
.LBB2_1967:                             ;   in Loop: Header=BB2_1719 Depth=2
	s_or_b32 exec_lo, exec_lo, s23
	s_delay_alu instid0(VALU_DEP_1) | instskip(NEXT) | instid1(VALU_DEP_1)
	v_mul_f32_e32 v13, v115, v116
	v_and_b32_e32 v17, 0x7f800000, v13
	s_delay_alu instid0(VALU_DEP_1)
	v_cmp_ne_u32_e32 vcc_lo, 0x7f800000, v17
	v_mov_b32_e32 v17, 0x8000
	s_and_saveexec_b32 s23, vcc_lo
	s_cbranch_execz .LBB2_1718
; %bb.1968:                             ;   in Loop: Header=BB2_1719 Depth=2
	v_mov_b32_e32 v17, 0
	s_mov_b32 s24, exec_lo
	v_cmpx_ne_u32_e32 0, v13
	s_cbranch_execz .LBB2_1717
; %bb.1969:                             ;   in Loop: Header=BB2_1719 Depth=2
	v_bfe_u32 v17, v13, 23, 8
	s_delay_alu instid0(VALU_DEP_1) | instskip(SKIP_1) | instid1(VALU_DEP_2)
	v_sub_nc_u32_e32 v116, 0x70, v17
	v_cmp_gt_u32_e32 vcc_lo, 0x71, v17
	v_dual_cndmask_b32 v116, 0, v116 :: v_dual_and_b32 v115, 0x7fffff, v13
	s_delay_alu instid0(VALU_DEP_1) | instskip(SKIP_2) | instid1(VALU_DEP_4)
	v_or_b32_e32 v117, 0x800000, v115
	v_cmp_eq_u32_e32 vcc_lo, 0, v17
	v_add_nc_u32_e32 v17, 0xffffff91, v17
	v_cndmask_b32_e64 v116, v116, 0x6f, vcc_lo
	s_delay_alu instid0(VALU_DEP_2) | instskip(SKIP_1) | instid1(VALU_DEP_3)
	v_cndmask_b32_e64 v17, v17, 0xffffff92, vcc_lo
	v_cndmask_b32_e32 v115, v117, v115, vcc_lo
	v_lshl_add_u32 v117, 0x200000, v116, -1
	v_lshlrev_b32_e64 v128, v116, 0x100000
	s_delay_alu instid0(VALU_DEP_3) | instskip(SKIP_1) | instid1(VALU_DEP_4)
	v_lshrrev_b32_e32 v118, v116, v115
	v_add_nc_u32_e32 v116, v116, v17
	v_and_b32_e32 v115, v117, v115
	s_delay_alu instid0(VALU_DEP_3) | instskip(NEXT) | instid1(VALU_DEP_2)
	v_bfe_u32 v119, v118, 21, 1
	v_cmp_eq_u32_e64 s7, v115, v128
	s_delay_alu instid0(VALU_DEP_2) | instskip(NEXT) | instid1(VALU_DEP_1)
	v_add_nc_u32_e32 v117, -1, v119
	v_cndmask_b32_e64 v115, 0, v117, s7
	v_lshrrev_b32_e32 v117, 23, v118
	s_mov_b32 s7, exec_lo
	s_delay_alu instid0(VALU_DEP_2) | instskip(NEXT) | instid1(VALU_DEP_2)
	v_add_nc_u32_e32 v115, v115, v118
	v_xor_b32_e32 v117, 1, v117
	s_delay_alu instid0(VALU_DEP_2) | instskip(NEXT) | instid1(VALU_DEP_1)
	v_and_b32_e32 v17, 0x1fffff, v115
	v_add_nc_u32_e32 v115, v17, v118
                                        ; implicit-def: $vgpr17
	s_delay_alu instid0(VALU_DEP_3)
	v_cmpx_ne_u32_e64 v116, v117
	s_xor_b32 s7, exec_lo, s7
; %bb.1970:                             ;   in Loop: Header=BB2_1719 Depth=2
	s_delay_alu instid0(VALU_DEP_2) | instskip(SKIP_2) | instid1(VALU_DEP_2)
	v_cmp_lt_u32_e32 vcc_lo, 0xffffff, v115
	v_sub_nc_u32_e32 v17, v116, v117
	v_cndmask_b32_e64 v116, 0, 1, vcc_lo
	v_add_co_ci_u32_e32 v17, vcc_lo, 0, v17, vcc_lo
	s_delay_alu instid0(VALU_DEP_2)
	v_lshrrev_b32_e32 v115, v116, v115
; %bb.1971:                             ;   in Loop: Header=BB2_1719 Depth=2
	s_and_not1_saveexec_b32 s7, s7
	s_cbranch_execz .LBB2_1716
; %bb.1972:                             ;   in Loop: Header=BB2_1719 Depth=2
	s_delay_alu instid0(VALU_DEP_1)
	v_bfe_u32 v17, v115, 23, 1
	s_branch .LBB2_1716
.LBB2_1973:                             ;   in Loop: Header=BB2_1719 Depth=2
	s_mov_b32 s7, -1
	s_mov_b32 s25, exec_lo
                                        ; implicit-def: $sgpr23
	v_cmpx_eq_u16_e32 0x80, v99
; %bb.1974:                             ;   in Loop: Header=BB2_1719 Depth=2
	s_mov_b32 s23, 0x7f800001
	s_xor_b32 s7, exec_lo, -1
; %bb.1975:                             ;   in Loop: Header=BB2_1719 Depth=2
	s_or_b32 exec_lo, exec_lo, s25
	s_delay_alu instid0(SALU_CYCLE_1)
	s_and_b32 s7, s7, exec_lo
                                        ; implicit-def: $vgpr99
	s_or_saveexec_b32 s24, s24
	v_mov_b32_e32 v98, s23
	s_xor_b32 exec_lo, exec_lo, s24
	s_cbranch_execz .LBB2_1721
.LBB2_1976:                             ;   in Loop: Header=BB2_1719 Depth=2
	v_cmp_ne_u16_e32 vcc_lo, 0, v99
	v_mov_b32_e32 v98, 0
	s_and_not1_b32 s7, s7, exec_lo
	s_and_b32 s23, vcc_lo, exec_lo
	s_delay_alu instid0(SALU_CYCLE_1)
	s_or_b32 s7, s7, s23
	s_or_b32 exec_lo, exec_lo, s24
	s_and_saveexec_b32 s23, s7
	s_cbranch_execnz .LBB2_1722
	s_branch .LBB2_1723
.LBB2_1977:                             ;   in Loop: Header=BB2_1719 Depth=2
	s_mov_b32 s7, -1
	s_mov_b32 s25, exec_lo
                                        ; implicit-def: $sgpr23
	v_cmpx_eq_u16_e32 0x80, v100
; %bb.1978:                             ;   in Loop: Header=BB2_1719 Depth=2
	s_mov_b32 s23, 0x7f800001
	s_xor_b32 s7, exec_lo, -1
; %bb.1979:                             ;   in Loop: Header=BB2_1719 Depth=2
	s_or_b32 exec_lo, exec_lo, s25
	s_delay_alu instid0(SALU_CYCLE_1)
	s_and_b32 s7, s7, exec_lo
                                        ; implicit-def: $vgpr100
	s_or_saveexec_b32 s24, s24
	v_mov_b32_e32 v99, s23
	s_xor_b32 exec_lo, exec_lo, s24
	s_cbranch_execz .LBB2_1725
.LBB2_1980:                             ;   in Loop: Header=BB2_1719 Depth=2
	v_cmp_ne_u16_e32 vcc_lo, 0, v100
	v_mov_b32_e32 v99, 0
	s_and_not1_b32 s7, s7, exec_lo
	s_and_b32 s23, vcc_lo, exec_lo
	s_delay_alu instid0(SALU_CYCLE_1)
	s_or_b32 s7, s7, s23
	s_or_b32 exec_lo, exec_lo, s24
	s_and_saveexec_b32 s23, s7
	s_cbranch_execnz .LBB2_1726
	s_branch .LBB2_1727
.LBB2_1981:                             ;   in Loop: Header=BB2_1719 Depth=2
	s_mov_b32 s7, -1
	s_mov_b32 s25, exec_lo
                                        ; implicit-def: $sgpr23
	v_cmpx_eq_u16_e32 0x80, v100
; %bb.1982:                             ;   in Loop: Header=BB2_1719 Depth=2
	s_mov_b32 s23, 0x7f800001
	s_xor_b32 s7, exec_lo, -1
; %bb.1983:                             ;   in Loop: Header=BB2_1719 Depth=2
	s_or_b32 exec_lo, exec_lo, s25
	s_delay_alu instid0(SALU_CYCLE_1)
	s_and_b32 s7, s7, exec_lo
	s_or_saveexec_b32 s24, s24
	v_mov_b32_e32 v99, s23
	s_xor_b32 exec_lo, exec_lo, s24
	s_cbranch_execz .LBB2_1737
.LBB2_1984:                             ;   in Loop: Header=BB2_1719 Depth=2
	v_cmp_ne_u16_e32 vcc_lo, 0, v100
	v_mov_b32_e32 v99, 0
	s_and_not1_b32 s7, s7, exec_lo
	s_and_b32 s23, vcc_lo, exec_lo
	s_delay_alu instid0(SALU_CYCLE_1)
	s_or_b32 s7, s7, s23
	s_or_b32 exec_lo, exec_lo, s24
	s_and_saveexec_b32 s23, s7
	s_cbranch_execnz .LBB2_1738
	s_branch .LBB2_1739
.LBB2_1985:                             ;   in Loop: Header=BB2_1719 Depth=2
	s_mov_b32 s7, -1
	s_mov_b32 s25, exec_lo
                                        ; implicit-def: $sgpr23
	v_cmpx_eq_u16_e32 0x80, v100
; %bb.1986:                             ;   in Loop: Header=BB2_1719 Depth=2
	s_mov_b32 s23, 0x7f800001
	s_xor_b32 s7, exec_lo, -1
; %bb.1987:                             ;   in Loop: Header=BB2_1719 Depth=2
	s_or_b32 exec_lo, exec_lo, s25
	s_delay_alu instid0(SALU_CYCLE_1)
	s_and_b32 s7, s7, exec_lo
	s_or_saveexec_b32 s24, s24
	v_mov_b32_e32 v101, s23
	s_xor_b32 exec_lo, exec_lo, s24
	s_cbranch_execz .LBB2_1741
.LBB2_1988:                             ;   in Loop: Header=BB2_1719 Depth=2
	v_cmp_ne_u16_e32 vcc_lo, 0, v100
	v_mov_b32_e32 v101, 0
	s_and_not1_b32 s7, s7, exec_lo
	s_and_b32 s23, vcc_lo, exec_lo
	s_delay_alu instid0(SALU_CYCLE_1)
	s_or_b32 s7, s7, s23
	s_or_b32 exec_lo, exec_lo, s24
	s_and_saveexec_b32 s23, s7
	s_cbranch_execnz .LBB2_1742
	s_branch .LBB2_1743
.LBB2_1989:                             ;   in Loop: Header=BB2_1719 Depth=2
	s_mov_b32 s7, -1
	s_mov_b32 s25, exec_lo
                                        ; implicit-def: $sgpr23
	v_cmpx_eq_u16_e32 0x80, v102
; %bb.1990:                             ;   in Loop: Header=BB2_1719 Depth=2
	s_mov_b32 s23, 0x7f800001
	s_xor_b32 s7, exec_lo, -1
; %bb.1991:                             ;   in Loop: Header=BB2_1719 Depth=2
	s_or_b32 exec_lo, exec_lo, s25
	s_delay_alu instid0(SALU_CYCLE_1)
	s_and_b32 s7, s7, exec_lo
                                        ; implicit-def: $vgpr102
	s_or_saveexec_b32 s24, s24
	v_mov_b32_e32 v100, s23
	s_xor_b32 exec_lo, exec_lo, s24
	s_cbranch_execz .LBB2_1753
.LBB2_1992:                             ;   in Loop: Header=BB2_1719 Depth=2
	v_cmp_ne_u16_e32 vcc_lo, 0, v102
	v_mov_b32_e32 v100, 0
	s_and_not1_b32 s7, s7, exec_lo
	s_and_b32 s23, vcc_lo, exec_lo
	s_delay_alu instid0(SALU_CYCLE_1)
	s_or_b32 s7, s7, s23
	s_or_b32 exec_lo, exec_lo, s24
	s_and_saveexec_b32 s23, s7
	s_cbranch_execnz .LBB2_1754
	s_branch .LBB2_1755
.LBB2_1993:                             ;   in Loop: Header=BB2_1719 Depth=2
	s_mov_b32 s7, -1
	s_mov_b32 s25, exec_lo
                                        ; implicit-def: $sgpr23
	v_cmpx_eq_u16_e32 0x80, v103
; %bb.1994:                             ;   in Loop: Header=BB2_1719 Depth=2
	s_mov_b32 s23, 0x7f800001
	s_xor_b32 s7, exec_lo, -1
; %bb.1995:                             ;   in Loop: Header=BB2_1719 Depth=2
	s_or_b32 exec_lo, exec_lo, s25
	s_delay_alu instid0(SALU_CYCLE_1)
	s_and_b32 s7, s7, exec_lo
                                        ; implicit-def: $vgpr103
	s_or_saveexec_b32 s24, s24
	v_mov_b32_e32 v102, s23
	s_xor_b32 exec_lo, exec_lo, s24
	s_cbranch_execz .LBB2_1757
.LBB2_1996:                             ;   in Loop: Header=BB2_1719 Depth=2
	v_cmp_ne_u16_e32 vcc_lo, 0, v103
	v_mov_b32_e32 v102, 0
	s_and_not1_b32 s7, s7, exec_lo
	s_and_b32 s23, vcc_lo, exec_lo
	s_delay_alu instid0(SALU_CYCLE_1)
	s_or_b32 s7, s7, s23
	s_or_b32 exec_lo, exec_lo, s24
	s_and_saveexec_b32 s23, s7
	s_cbranch_execnz .LBB2_1758
	s_branch .LBB2_1759
.LBB2_1997:                             ;   in Loop: Header=BB2_1719 Depth=2
	s_mov_b32 s7, -1
	s_mov_b32 s25, exec_lo
                                        ; implicit-def: $sgpr23
	v_cmpx_eq_u16_e32 0x80, v102
; %bb.1998:                             ;   in Loop: Header=BB2_1719 Depth=2
	s_mov_b32 s23, 0x7f800001
	s_xor_b32 s7, exec_lo, -1
; %bb.1999:                             ;   in Loop: Header=BB2_1719 Depth=2
	s_or_b32 exec_lo, exec_lo, s25
	s_delay_alu instid0(SALU_CYCLE_1)
	s_and_b32 s7, s7, exec_lo
	s_or_saveexec_b32 s24, s24
	v_mov_b32_e32 v101, s23
	s_xor_b32 exec_lo, exec_lo, s24
	s_cbranch_execz .LBB2_1769
.LBB2_2000:                             ;   in Loop: Header=BB2_1719 Depth=2
	v_cmp_ne_u16_e32 vcc_lo, 0, v102
	v_mov_b32_e32 v101, 0
	s_and_not1_b32 s7, s7, exec_lo
	s_and_b32 s23, vcc_lo, exec_lo
	s_delay_alu instid0(SALU_CYCLE_1)
	s_or_b32 s7, s7, s23
	s_or_b32 exec_lo, exec_lo, s24
	s_and_saveexec_b32 s23, s7
	s_cbranch_execnz .LBB2_1770
	s_branch .LBB2_1771
.LBB2_2001:                             ;   in Loop: Header=BB2_1719 Depth=2
	s_mov_b32 s7, -1
	s_mov_b32 s25, exec_lo
                                        ; implicit-def: $sgpr23
	v_cmpx_eq_u16_e32 0x80, v14
; %bb.2002:                             ;   in Loop: Header=BB2_1719 Depth=2
	s_mov_b32 s23, 0x7f800001
	s_xor_b32 s7, exec_lo, -1
; %bb.2003:                             ;   in Loop: Header=BB2_1719 Depth=2
	s_or_b32 exec_lo, exec_lo, s25
	s_delay_alu instid0(SALU_CYCLE_1)
	s_and_b32 s7, s7, exec_lo
	s_or_saveexec_b32 s24, s24
	v_mov_b32_e32 v102, s23
	s_xor_b32 exec_lo, exec_lo, s24
	s_cbranch_execz .LBB2_1773
.LBB2_2004:                             ;   in Loop: Header=BB2_1719 Depth=2
	v_cmp_ne_u16_e32 vcc_lo, 0, v14
	v_mov_b32_e32 v102, 0
	s_and_not1_b32 s7, s7, exec_lo
	s_and_b32 s23, vcc_lo, exec_lo
	s_delay_alu instid0(SALU_CYCLE_1)
	s_or_b32 s7, s7, s23
	s_or_b32 exec_lo, exec_lo, s24
	s_and_saveexec_b32 s23, s7
	s_cbranch_execnz .LBB2_1774
	s_branch .LBB2_1775
.LBB2_2005:                             ;   in Loop: Header=BB2_1719 Depth=2
	s_mov_b32 s7, -1
	s_mov_b32 s25, exec_lo
                                        ; implicit-def: $sgpr23
	v_cmpx_eq_u16_e32 0x80, v101
; %bb.2006:                             ;   in Loop: Header=BB2_1719 Depth=2
	s_mov_b32 s23, 0x7f800001
	s_xor_b32 s7, exec_lo, -1
; %bb.2007:                             ;   in Loop: Header=BB2_1719 Depth=2
	s_or_b32 exec_lo, exec_lo, s25
	s_delay_alu instid0(SALU_CYCLE_1)
	s_and_b32 s7, s7, exec_lo
                                        ; implicit-def: $vgpr101
	s_or_saveexec_b32 s24, s24
	v_mov_b32_e32 v14, s23
	s_xor_b32 exec_lo, exec_lo, s24
	s_cbranch_execz .LBB2_1785
.LBB2_2008:                             ;   in Loop: Header=BB2_1719 Depth=2
	v_cmp_ne_u16_e32 vcc_lo, 0, v101
	v_mov_b32_e32 v14, 0
	s_and_not1_b32 s7, s7, exec_lo
	s_and_b32 s23, vcc_lo, exec_lo
	s_delay_alu instid0(SALU_CYCLE_1)
	s_or_b32 s7, s7, s23
	s_or_b32 exec_lo, exec_lo, s24
	s_and_saveexec_b32 s23, s7
	s_cbranch_execnz .LBB2_1786
	s_branch .LBB2_1787
.LBB2_2009:                             ;   in Loop: Header=BB2_1719 Depth=2
	s_mov_b32 s7, -1
	s_mov_b32 s25, exec_lo
                                        ; implicit-def: $sgpr23
	v_cmpx_eq_u16_e32 0x80, v102
; %bb.2010:                             ;   in Loop: Header=BB2_1719 Depth=2
	s_mov_b32 s23, 0x7f800001
	s_xor_b32 s7, exec_lo, -1
; %bb.2011:                             ;   in Loop: Header=BB2_1719 Depth=2
	s_or_b32 exec_lo, exec_lo, s25
	s_delay_alu instid0(SALU_CYCLE_1)
	s_and_b32 s7, s7, exec_lo
                                        ; implicit-def: $vgpr102
	s_or_saveexec_b32 s24, s24
	v_mov_b32_e32 v101, s23
	s_xor_b32 exec_lo, exec_lo, s24
	s_cbranch_execz .LBB2_1789
.LBB2_2012:                             ;   in Loop: Header=BB2_1719 Depth=2
	v_cmp_ne_u16_e32 vcc_lo, 0, v102
	v_mov_b32_e32 v101, 0
	s_and_not1_b32 s7, s7, exec_lo
	s_and_b32 s23, vcc_lo, exec_lo
	s_delay_alu instid0(SALU_CYCLE_1)
	s_or_b32 s7, s7, s23
	s_or_b32 exec_lo, exec_lo, s24
	s_and_saveexec_b32 s23, s7
	s_cbranch_execnz .LBB2_1790
	s_branch .LBB2_1791
.LBB2_2013:                             ;   in Loop: Header=BB2_1719 Depth=2
	s_mov_b32 s7, -1
	s_mov_b32 s25, exec_lo
                                        ; implicit-def: $sgpr23
	v_cmpx_eq_u16_e32 0x80, v102
; %bb.2014:                             ;   in Loop: Header=BB2_1719 Depth=2
	s_mov_b32 s23, 0x7f800001
	s_xor_b32 s7, exec_lo, -1
; %bb.2015:                             ;   in Loop: Header=BB2_1719 Depth=2
	s_or_b32 exec_lo, exec_lo, s25
	s_delay_alu instid0(SALU_CYCLE_1)
	s_and_b32 s7, s7, exec_lo
	s_or_saveexec_b32 s24, s24
	v_mov_b32_e32 v101, s23
	s_xor_b32 exec_lo, exec_lo, s24
	s_cbranch_execz .LBB2_1801
.LBB2_2016:                             ;   in Loop: Header=BB2_1719 Depth=2
	v_cmp_ne_u16_e32 vcc_lo, 0, v102
	v_mov_b32_e32 v101, 0
	s_and_not1_b32 s7, s7, exec_lo
	s_and_b32 s23, vcc_lo, exec_lo
	s_delay_alu instid0(SALU_CYCLE_1)
	s_or_b32 s7, s7, s23
	s_or_b32 exec_lo, exec_lo, s24
	s_and_saveexec_b32 s23, s7
	s_cbranch_execnz .LBB2_1802
	s_branch .LBB2_1803
.LBB2_2017:                             ;   in Loop: Header=BB2_1719 Depth=2
	s_mov_b32 s7, -1
	s_mov_b32 s25, exec_lo
                                        ; implicit-def: $sgpr23
	v_cmpx_eq_u16_e32 0x80, v102
; %bb.2018:                             ;   in Loop: Header=BB2_1719 Depth=2
	s_mov_b32 s23, 0x7f800001
	s_xor_b32 s7, exec_lo, -1
; %bb.2019:                             ;   in Loop: Header=BB2_1719 Depth=2
	s_or_b32 exec_lo, exec_lo, s25
	s_delay_alu instid0(SALU_CYCLE_1)
	s_and_b32 s7, s7, exec_lo
	s_or_saveexec_b32 s24, s24
	v_mov_b32_e32 v103, s23
	s_xor_b32 exec_lo, exec_lo, s24
	s_cbranch_execz .LBB2_1805
.LBB2_2020:                             ;   in Loop: Header=BB2_1719 Depth=2
	v_cmp_ne_u16_e32 vcc_lo, 0, v102
	v_mov_b32_e32 v103, 0
	s_and_not1_b32 s7, s7, exec_lo
	s_and_b32 s23, vcc_lo, exec_lo
	s_delay_alu instid0(SALU_CYCLE_1)
	s_or_b32 s7, s7, s23
	s_or_b32 exec_lo, exec_lo, s24
	s_and_saveexec_b32 s23, s7
	s_cbranch_execnz .LBB2_1806
	s_branch .LBB2_1807
.LBB2_2021:                             ;   in Loop: Header=BB2_1719 Depth=2
	s_mov_b32 s7, -1
	s_mov_b32 s25, exec_lo
                                        ; implicit-def: $sgpr23
	v_cmpx_eq_u16_e32 0x80, v112
; %bb.2022:                             ;   in Loop: Header=BB2_1719 Depth=2
	s_mov_b32 s23, 0x7f800001
	s_xor_b32 s7, exec_lo, -1
; %bb.2023:                             ;   in Loop: Header=BB2_1719 Depth=2
	s_or_b32 exec_lo, exec_lo, s25
	s_delay_alu instid0(SALU_CYCLE_1)
	s_and_b32 s7, s7, exec_lo
                                        ; implicit-def: $vgpr112
	s_or_saveexec_b32 s24, s24
	v_mov_b32_e32 v102, s23
	s_xor_b32 exec_lo, exec_lo, s24
	s_cbranch_execz .LBB2_1817
.LBB2_2024:                             ;   in Loop: Header=BB2_1719 Depth=2
	v_cmp_ne_u16_e32 vcc_lo, 0, v112
	v_mov_b32_e32 v102, 0
	s_and_not1_b32 s7, s7, exec_lo
	s_and_b32 s23, vcc_lo, exec_lo
	s_delay_alu instid0(SALU_CYCLE_1)
	s_or_b32 s7, s7, s23
	s_or_b32 exec_lo, exec_lo, s24
	s_and_saveexec_b32 s23, s7
	s_cbranch_execnz .LBB2_1818
	s_branch .LBB2_1819
.LBB2_2025:                             ;   in Loop: Header=BB2_1719 Depth=2
	s_mov_b32 s7, -1
	s_mov_b32 s25, exec_lo
                                        ; implicit-def: $sgpr23
	v_cmpx_eq_u16_e32 0x80, v113
; %bb.2026:                             ;   in Loop: Header=BB2_1719 Depth=2
	s_mov_b32 s23, 0x7f800001
	s_xor_b32 s7, exec_lo, -1
; %bb.2027:                             ;   in Loop: Header=BB2_1719 Depth=2
	s_or_b32 exec_lo, exec_lo, s25
	s_delay_alu instid0(SALU_CYCLE_1)
	s_and_b32 s7, s7, exec_lo
                                        ; implicit-def: $vgpr113
	s_or_saveexec_b32 s24, s24
	v_mov_b32_e32 v112, s23
	s_xor_b32 exec_lo, exec_lo, s24
	s_cbranch_execz .LBB2_1821
.LBB2_2028:                             ;   in Loop: Header=BB2_1719 Depth=2
	v_cmp_ne_u16_e32 vcc_lo, 0, v113
	v_mov_b32_e32 v112, 0
	s_and_not1_b32 s7, s7, exec_lo
	s_and_b32 s23, vcc_lo, exec_lo
	s_delay_alu instid0(SALU_CYCLE_1)
	s_or_b32 s7, s7, s23
	s_or_b32 exec_lo, exec_lo, s24
	s_and_saveexec_b32 s23, s7
	s_cbranch_execnz .LBB2_1822
	s_branch .LBB2_1823
.LBB2_2029:                             ;   in Loop: Header=BB2_1719 Depth=2
	s_mov_b32 s7, -1
	s_mov_b32 s25, exec_lo
                                        ; implicit-def: $sgpr23
	v_cmpx_eq_u16_e32 0x80, v112
; %bb.2030:                             ;   in Loop: Header=BB2_1719 Depth=2
	s_mov_b32 s23, 0x7f800001
	s_xor_b32 s7, exec_lo, -1
; %bb.2031:                             ;   in Loop: Header=BB2_1719 Depth=2
	s_or_b32 exec_lo, exec_lo, s25
	s_delay_alu instid0(SALU_CYCLE_1)
	s_and_b32 s7, s7, exec_lo
	s_or_saveexec_b32 s24, s24
	v_mov_b32_e32 v103, s23
	s_xor_b32 exec_lo, exec_lo, s24
	s_cbranch_execz .LBB2_1833
.LBB2_2032:                             ;   in Loop: Header=BB2_1719 Depth=2
	v_cmp_ne_u16_e32 vcc_lo, 0, v112
	v_mov_b32_e32 v103, 0
	s_and_not1_b32 s7, s7, exec_lo
	s_and_b32 s23, vcc_lo, exec_lo
	s_delay_alu instid0(SALU_CYCLE_1)
	s_or_b32 s7, s7, s23
	s_or_b32 exec_lo, exec_lo, s24
	s_and_saveexec_b32 s23, s7
	s_cbranch_execnz .LBB2_1834
	s_branch .LBB2_1835
.LBB2_2033:                             ;   in Loop: Header=BB2_1719 Depth=2
	s_mov_b32 s7, -1
	s_mov_b32 s25, exec_lo
                                        ; implicit-def: $sgpr23
	v_cmpx_eq_u16_e32 0x80, v15
; %bb.2034:                             ;   in Loop: Header=BB2_1719 Depth=2
	s_mov_b32 s23, 0x7f800001
	s_xor_b32 s7, exec_lo, -1
; %bb.2035:                             ;   in Loop: Header=BB2_1719 Depth=2
	s_or_b32 exec_lo, exec_lo, s25
	s_delay_alu instid0(SALU_CYCLE_1)
	s_and_b32 s7, s7, exec_lo
	s_or_saveexec_b32 s24, s24
	v_mov_b32_e32 v112, s23
	s_xor_b32 exec_lo, exec_lo, s24
	s_cbranch_execz .LBB2_1837
.LBB2_2036:                             ;   in Loop: Header=BB2_1719 Depth=2
	v_cmp_ne_u16_e32 vcc_lo, 0, v15
	v_mov_b32_e32 v112, 0
	s_and_not1_b32 s7, s7, exec_lo
	s_and_b32 s23, vcc_lo, exec_lo
	s_delay_alu instid0(SALU_CYCLE_1)
	s_or_b32 s7, s7, s23
	s_or_b32 exec_lo, exec_lo, s24
	s_and_saveexec_b32 s23, s7
	s_cbranch_execnz .LBB2_1838
	s_branch .LBB2_1839
.LBB2_2037:                             ;   in Loop: Header=BB2_1719 Depth=2
	s_mov_b32 s7, -1
	s_mov_b32 s25, exec_lo
                                        ; implicit-def: $sgpr23
	v_cmpx_eq_u16_e32 0x80, v103
; %bb.2038:                             ;   in Loop: Header=BB2_1719 Depth=2
	s_mov_b32 s23, 0x7f800001
	s_xor_b32 s7, exec_lo, -1
; %bb.2039:                             ;   in Loop: Header=BB2_1719 Depth=2
	s_or_b32 exec_lo, exec_lo, s25
	s_delay_alu instid0(SALU_CYCLE_1)
	s_and_b32 s7, s7, exec_lo
                                        ; implicit-def: $vgpr103
	s_or_saveexec_b32 s24, s24
	v_mov_b32_e32 v15, s23
	s_xor_b32 exec_lo, exec_lo, s24
	s_cbranch_execz .LBB2_1849
.LBB2_2040:                             ;   in Loop: Header=BB2_1719 Depth=2
	v_cmp_ne_u16_e32 vcc_lo, 0, v103
	v_mov_b32_e32 v15, 0
	s_and_not1_b32 s7, s7, exec_lo
	s_and_b32 s23, vcc_lo, exec_lo
	s_delay_alu instid0(SALU_CYCLE_1)
	s_or_b32 s7, s7, s23
	s_or_b32 exec_lo, exec_lo, s24
	s_and_saveexec_b32 s23, s7
	s_cbranch_execnz .LBB2_1850
	s_branch .LBB2_1851
.LBB2_2041:                             ;   in Loop: Header=BB2_1719 Depth=2
	s_mov_b32 s7, -1
	s_mov_b32 s25, exec_lo
                                        ; implicit-def: $sgpr23
	v_cmpx_eq_u16_e32 0x80, v112
; %bb.2042:                             ;   in Loop: Header=BB2_1719 Depth=2
	s_mov_b32 s23, 0x7f800001
	s_xor_b32 s7, exec_lo, -1
; %bb.2043:                             ;   in Loop: Header=BB2_1719 Depth=2
	s_or_b32 exec_lo, exec_lo, s25
	s_delay_alu instid0(SALU_CYCLE_1)
	s_and_b32 s7, s7, exec_lo
                                        ; implicit-def: $vgpr112
	s_or_saveexec_b32 s24, s24
	v_mov_b32_e32 v103, s23
	s_xor_b32 exec_lo, exec_lo, s24
	s_cbranch_execz .LBB2_1853
.LBB2_2044:                             ;   in Loop: Header=BB2_1719 Depth=2
	v_cmp_ne_u16_e32 vcc_lo, 0, v112
	v_mov_b32_e32 v103, 0
	s_and_not1_b32 s7, s7, exec_lo
	s_and_b32 s23, vcc_lo, exec_lo
	s_delay_alu instid0(SALU_CYCLE_1)
	s_or_b32 s7, s7, s23
	s_or_b32 exec_lo, exec_lo, s24
	s_and_saveexec_b32 s23, s7
	s_cbranch_execnz .LBB2_1854
	s_branch .LBB2_1855
.LBB2_2045:                             ;   in Loop: Header=BB2_1719 Depth=2
	s_mov_b32 s7, -1
	s_mov_b32 s25, exec_lo
                                        ; implicit-def: $sgpr23
	v_cmpx_eq_u16_e32 0x80, v112
; %bb.2046:                             ;   in Loop: Header=BB2_1719 Depth=2
	s_mov_b32 s23, 0x7f800001
	s_xor_b32 s7, exec_lo, -1
; %bb.2047:                             ;   in Loop: Header=BB2_1719 Depth=2
	s_or_b32 exec_lo, exec_lo, s25
	s_delay_alu instid0(SALU_CYCLE_1)
	s_and_b32 s7, s7, exec_lo
	s_or_saveexec_b32 s24, s24
	v_mov_b32_e32 v103, s23
	s_xor_b32 exec_lo, exec_lo, s24
	s_cbranch_execz .LBB2_1865
.LBB2_2048:                             ;   in Loop: Header=BB2_1719 Depth=2
	v_cmp_ne_u16_e32 vcc_lo, 0, v112
	v_mov_b32_e32 v103, 0
	s_and_not1_b32 s7, s7, exec_lo
	s_and_b32 s23, vcc_lo, exec_lo
	s_delay_alu instid0(SALU_CYCLE_1)
	s_or_b32 s7, s7, s23
	s_or_b32 exec_lo, exec_lo, s24
	s_and_saveexec_b32 s23, s7
	s_cbranch_execnz .LBB2_1866
	s_branch .LBB2_1867
.LBB2_2049:                             ;   in Loop: Header=BB2_1719 Depth=2
	s_mov_b32 s7, -1
	s_mov_b32 s25, exec_lo
                                        ; implicit-def: $sgpr23
	v_cmpx_eq_u16_e32 0x80, v112
; %bb.2050:                             ;   in Loop: Header=BB2_1719 Depth=2
	s_mov_b32 s23, 0x7f800001
	s_xor_b32 s7, exec_lo, -1
; %bb.2051:                             ;   in Loop: Header=BB2_1719 Depth=2
	s_or_b32 exec_lo, exec_lo, s25
	s_delay_alu instid0(SALU_CYCLE_1)
	s_and_b32 s7, s7, exec_lo
	s_or_saveexec_b32 s24, s24
	v_mov_b32_e32 v113, s23
	s_xor_b32 exec_lo, exec_lo, s24
	s_cbranch_execz .LBB2_1869
.LBB2_2052:                             ;   in Loop: Header=BB2_1719 Depth=2
	v_cmp_ne_u16_e32 vcc_lo, 0, v112
	v_mov_b32_e32 v113, 0
	s_and_not1_b32 s7, s7, exec_lo
	s_and_b32 s23, vcc_lo, exec_lo
	s_delay_alu instid0(SALU_CYCLE_1)
	s_or_b32 s7, s7, s23
	s_or_b32 exec_lo, exec_lo, s24
	s_and_saveexec_b32 s23, s7
	s_cbranch_execnz .LBB2_1870
	s_branch .LBB2_1871
.LBB2_2053:                             ;   in Loop: Header=BB2_1719 Depth=2
	s_mov_b32 s7, -1
	s_mov_b32 s25, exec_lo
                                        ; implicit-def: $sgpr23
	v_cmpx_eq_u16_e32 0x80, v114
; %bb.2054:                             ;   in Loop: Header=BB2_1719 Depth=2
	s_mov_b32 s23, 0x7f800001
	s_xor_b32 s7, exec_lo, -1
; %bb.2055:                             ;   in Loop: Header=BB2_1719 Depth=2
	s_or_b32 exec_lo, exec_lo, s25
	s_delay_alu instid0(SALU_CYCLE_1)
	s_and_b32 s7, s7, exec_lo
                                        ; implicit-def: $vgpr114
	s_or_saveexec_b32 s24, s24
	v_mov_b32_e32 v112, s23
	s_xor_b32 exec_lo, exec_lo, s24
	s_cbranch_execz .LBB2_1881
.LBB2_2056:                             ;   in Loop: Header=BB2_1719 Depth=2
	v_cmp_ne_u16_e32 vcc_lo, 0, v114
	v_mov_b32_e32 v112, 0
	s_and_not1_b32 s7, s7, exec_lo
	s_and_b32 s23, vcc_lo, exec_lo
	s_delay_alu instid0(SALU_CYCLE_1)
	s_or_b32 s7, s7, s23
	s_or_b32 exec_lo, exec_lo, s24
	s_and_saveexec_b32 s23, s7
	s_cbranch_execnz .LBB2_1882
	s_branch .LBB2_1883
.LBB2_2057:                             ;   in Loop: Header=BB2_1719 Depth=2
	s_mov_b32 s7, -1
	s_mov_b32 s25, exec_lo
                                        ; implicit-def: $sgpr23
	v_cmpx_eq_u16_e32 0x80, v115
; %bb.2058:                             ;   in Loop: Header=BB2_1719 Depth=2
	s_mov_b32 s23, 0x7f800001
	s_xor_b32 s7, exec_lo, -1
; %bb.2059:                             ;   in Loop: Header=BB2_1719 Depth=2
	s_or_b32 exec_lo, exec_lo, s25
	s_delay_alu instid0(SALU_CYCLE_1)
	s_and_b32 s7, s7, exec_lo
                                        ; implicit-def: $vgpr115
	s_or_saveexec_b32 s24, s24
	v_mov_b32_e32 v114, s23
	s_xor_b32 exec_lo, exec_lo, s24
	s_cbranch_execz .LBB2_1885
.LBB2_2060:                             ;   in Loop: Header=BB2_1719 Depth=2
	v_cmp_ne_u16_e32 vcc_lo, 0, v115
	v_mov_b32_e32 v114, 0
	s_and_not1_b32 s7, s7, exec_lo
	s_and_b32 s23, vcc_lo, exec_lo
	s_delay_alu instid0(SALU_CYCLE_1)
	s_or_b32 s7, s7, s23
	s_or_b32 exec_lo, exec_lo, s24
	s_and_saveexec_b32 s23, s7
	s_cbranch_execnz .LBB2_1886
	s_branch .LBB2_1887
.LBB2_2061:                             ;   in Loop: Header=BB2_1719 Depth=2
	s_mov_b32 s7, -1
	s_mov_b32 s25, exec_lo
                                        ; implicit-def: $sgpr23
	v_cmpx_eq_u16_e32 0x80, v114
; %bb.2062:                             ;   in Loop: Header=BB2_1719 Depth=2
	s_mov_b32 s23, 0x7f800001
	s_xor_b32 s7, exec_lo, -1
; %bb.2063:                             ;   in Loop: Header=BB2_1719 Depth=2
	s_or_b32 exec_lo, exec_lo, s25
	s_delay_alu instid0(SALU_CYCLE_1)
	s_and_b32 s7, s7, exec_lo
	s_or_saveexec_b32 s24, s24
	v_mov_b32_e32 v113, s23
	s_xor_b32 exec_lo, exec_lo, s24
	s_cbranch_execz .LBB2_1897
.LBB2_2064:                             ;   in Loop: Header=BB2_1719 Depth=2
	v_cmp_ne_u16_e32 vcc_lo, 0, v114
	v_mov_b32_e32 v113, 0
	s_and_not1_b32 s7, s7, exec_lo
	s_and_b32 s23, vcc_lo, exec_lo
	s_delay_alu instid0(SALU_CYCLE_1)
	s_or_b32 s7, s7, s23
	s_or_b32 exec_lo, exec_lo, s24
	s_and_saveexec_b32 s23, s7
	s_cbranch_execnz .LBB2_1898
	s_branch .LBB2_1899
.LBB2_2065:                             ;   in Loop: Header=BB2_1719 Depth=2
	s_mov_b32 s7, -1
	s_mov_b32 s25, exec_lo
                                        ; implicit-def: $sgpr23
	v_cmpx_eq_u16_e32 0x80, v16
; %bb.2066:                             ;   in Loop: Header=BB2_1719 Depth=2
	s_mov_b32 s23, 0x7f800001
	s_xor_b32 s7, exec_lo, -1
; %bb.2067:                             ;   in Loop: Header=BB2_1719 Depth=2
	s_or_b32 exec_lo, exec_lo, s25
	s_delay_alu instid0(SALU_CYCLE_1)
	s_and_b32 s7, s7, exec_lo
	s_or_saveexec_b32 s24, s24
	v_mov_b32_e32 v114, s23
	s_xor_b32 exec_lo, exec_lo, s24
	s_cbranch_execz .LBB2_1901
.LBB2_2068:                             ;   in Loop: Header=BB2_1719 Depth=2
	v_cmp_ne_u16_e32 vcc_lo, 0, v16
	v_mov_b32_e32 v114, 0
	s_and_not1_b32 s7, s7, exec_lo
	s_and_b32 s23, vcc_lo, exec_lo
	s_delay_alu instid0(SALU_CYCLE_1)
	s_or_b32 s7, s7, s23
	s_or_b32 exec_lo, exec_lo, s24
	s_and_saveexec_b32 s23, s7
	s_cbranch_execnz .LBB2_1902
	s_branch .LBB2_1903
.LBB2_2069:                             ;   in Loop: Header=BB2_1719 Depth=2
	s_mov_b32 s7, -1
	s_mov_b32 s25, exec_lo
                                        ; implicit-def: $sgpr23
	v_cmpx_eq_u16_e32 0x80, v113
; %bb.2070:                             ;   in Loop: Header=BB2_1719 Depth=2
	s_mov_b32 s23, 0x7f800001
	s_xor_b32 s7, exec_lo, -1
; %bb.2071:                             ;   in Loop: Header=BB2_1719 Depth=2
	s_or_b32 exec_lo, exec_lo, s25
	s_delay_alu instid0(SALU_CYCLE_1)
	s_and_b32 s7, s7, exec_lo
                                        ; implicit-def: $vgpr113
	s_or_saveexec_b32 s24, s24
	v_mov_b32_e32 v16, s23
	s_xor_b32 exec_lo, exec_lo, s24
	s_cbranch_execz .LBB2_1913
.LBB2_2072:                             ;   in Loop: Header=BB2_1719 Depth=2
	v_cmp_ne_u16_e32 vcc_lo, 0, v113
	v_mov_b32_e32 v16, 0
	s_and_not1_b32 s7, s7, exec_lo
	s_and_b32 s23, vcc_lo, exec_lo
	s_delay_alu instid0(SALU_CYCLE_1)
	s_or_b32 s7, s7, s23
	s_or_b32 exec_lo, exec_lo, s24
	s_and_saveexec_b32 s23, s7
	s_cbranch_execnz .LBB2_1914
	s_branch .LBB2_1915
.LBB2_2073:                             ;   in Loop: Header=BB2_1719 Depth=2
	s_mov_b32 s7, -1
	s_mov_b32 s25, exec_lo
                                        ; implicit-def: $sgpr23
	v_cmpx_eq_u16_e32 0x80, v114
; %bb.2074:                             ;   in Loop: Header=BB2_1719 Depth=2
	s_mov_b32 s23, 0x7f800001
	s_xor_b32 s7, exec_lo, -1
; %bb.2075:                             ;   in Loop: Header=BB2_1719 Depth=2
	s_or_b32 exec_lo, exec_lo, s25
	s_delay_alu instid0(SALU_CYCLE_1)
	s_and_b32 s7, s7, exec_lo
                                        ; implicit-def: $vgpr114
	s_or_saveexec_b32 s24, s24
	v_mov_b32_e32 v113, s23
	s_xor_b32 exec_lo, exec_lo, s24
	s_cbranch_execz .LBB2_1917
.LBB2_2076:                             ;   in Loop: Header=BB2_1719 Depth=2
	v_cmp_ne_u16_e32 vcc_lo, 0, v114
	v_mov_b32_e32 v113, 0
	s_and_not1_b32 s7, s7, exec_lo
	s_and_b32 s23, vcc_lo, exec_lo
	s_delay_alu instid0(SALU_CYCLE_1)
	s_or_b32 s7, s7, s23
	s_or_b32 exec_lo, exec_lo, s24
	s_and_saveexec_b32 s23, s7
	s_cbranch_execnz .LBB2_1918
	s_branch .LBB2_1919
.LBB2_2077:                             ;   in Loop: Header=BB2_1719 Depth=2
	s_mov_b32 s7, -1
	s_mov_b32 s25, exec_lo
                                        ; implicit-def: $sgpr23
	v_cmpx_eq_u16_e32 0x80, v114
; %bb.2078:                             ;   in Loop: Header=BB2_1719 Depth=2
	s_mov_b32 s23, 0x7f800001
	s_xor_b32 s7, exec_lo, -1
; %bb.2079:                             ;   in Loop: Header=BB2_1719 Depth=2
	s_or_b32 exec_lo, exec_lo, s25
	s_delay_alu instid0(SALU_CYCLE_1)
	s_and_b32 s7, s7, exec_lo
	s_or_saveexec_b32 s24, s24
	v_mov_b32_e32 v113, s23
	s_xor_b32 exec_lo, exec_lo, s24
	s_cbranch_execz .LBB2_1929
.LBB2_2080:                             ;   in Loop: Header=BB2_1719 Depth=2
	v_cmp_ne_u16_e32 vcc_lo, 0, v114
	v_mov_b32_e32 v113, 0
	s_and_not1_b32 s7, s7, exec_lo
	s_and_b32 s23, vcc_lo, exec_lo
	s_delay_alu instid0(SALU_CYCLE_1)
	s_or_b32 s7, s7, s23
	s_or_b32 exec_lo, exec_lo, s24
	s_and_saveexec_b32 s23, s7
	s_cbranch_execnz .LBB2_1930
	s_branch .LBB2_1931
.LBB2_2081:                             ;   in Loop: Header=BB2_1719 Depth=2
	s_mov_b32 s7, -1
	s_mov_b32 s25, exec_lo
                                        ; implicit-def: $sgpr23
	v_cmpx_eq_u16_e32 0x80, v114
; %bb.2082:                             ;   in Loop: Header=BB2_1719 Depth=2
	s_mov_b32 s23, 0x7f800001
	s_xor_b32 s7, exec_lo, -1
; %bb.2083:                             ;   in Loop: Header=BB2_1719 Depth=2
	s_or_b32 exec_lo, exec_lo, s25
	s_delay_alu instid0(SALU_CYCLE_1)
	s_and_b32 s7, s7, exec_lo
	s_or_saveexec_b32 s24, s24
	v_mov_b32_e32 v115, s23
	s_xor_b32 exec_lo, exec_lo, s24
	s_cbranch_execz .LBB2_1933
.LBB2_2084:                             ;   in Loop: Header=BB2_1719 Depth=2
	v_cmp_ne_u16_e32 vcc_lo, 0, v114
	v_mov_b32_e32 v115, 0
	s_and_not1_b32 s7, s7, exec_lo
	s_and_b32 s23, vcc_lo, exec_lo
	s_delay_alu instid0(SALU_CYCLE_1)
	s_or_b32 s7, s7, s23
	s_or_b32 exec_lo, exec_lo, s24
	s_and_saveexec_b32 s23, s7
	s_cbranch_execnz .LBB2_1934
	s_branch .LBB2_1935
.LBB2_2085:                             ;   in Loop: Header=BB2_1719 Depth=2
	s_mov_b32 s7, -1
	s_mov_b32 s25, exec_lo
                                        ; implicit-def: $sgpr23
	v_cmpx_eq_u16_e32 0x80, v116
; %bb.2086:                             ;   in Loop: Header=BB2_1719 Depth=2
	s_mov_b32 s23, 0x7f800001
	s_xor_b32 s7, exec_lo, -1
; %bb.2087:                             ;   in Loop: Header=BB2_1719 Depth=2
	s_or_b32 exec_lo, exec_lo, s25
	s_delay_alu instid0(SALU_CYCLE_1)
	s_and_b32 s7, s7, exec_lo
                                        ; implicit-def: $vgpr116
	s_or_saveexec_b32 s24, s24
	v_mov_b32_e32 v114, s23
	s_xor_b32 exec_lo, exec_lo, s24
	s_cbranch_execz .LBB2_1945
.LBB2_2088:                             ;   in Loop: Header=BB2_1719 Depth=2
	v_cmp_ne_u16_e32 vcc_lo, 0, v116
	v_mov_b32_e32 v114, 0
	s_and_not1_b32 s7, s7, exec_lo
	s_and_b32 s23, vcc_lo, exec_lo
	s_delay_alu instid0(SALU_CYCLE_1)
	s_or_b32 s7, s7, s23
	s_or_b32 exec_lo, exec_lo, s24
	s_and_saveexec_b32 s23, s7
	s_cbranch_execnz .LBB2_1946
	s_branch .LBB2_1947
.LBB2_2089:                             ;   in Loop: Header=BB2_1719 Depth=2
	s_mov_b32 s7, -1
	s_mov_b32 s25, exec_lo
                                        ; implicit-def: $sgpr23
	v_cmpx_eq_u16_e32 0x80, v117
; %bb.2090:                             ;   in Loop: Header=BB2_1719 Depth=2
	s_mov_b32 s23, 0x7f800001
	s_xor_b32 s7, exec_lo, -1
; %bb.2091:                             ;   in Loop: Header=BB2_1719 Depth=2
	s_or_b32 exec_lo, exec_lo, s25
	s_delay_alu instid0(SALU_CYCLE_1)
	s_and_b32 s7, s7, exec_lo
                                        ; implicit-def: $vgpr117
	s_or_saveexec_b32 s24, s24
	v_mov_b32_e32 v116, s23
	s_xor_b32 exec_lo, exec_lo, s24
	s_cbranch_execz .LBB2_1949
.LBB2_2092:                             ;   in Loop: Header=BB2_1719 Depth=2
	v_cmp_ne_u16_e32 vcc_lo, 0, v117
	v_mov_b32_e32 v116, 0
	s_and_not1_b32 s7, s7, exec_lo
	s_and_b32 s23, vcc_lo, exec_lo
	s_delay_alu instid0(SALU_CYCLE_1)
	s_or_b32 s7, s7, s23
	s_or_b32 exec_lo, exec_lo, s24
	s_and_saveexec_b32 s23, s7
	s_cbranch_execnz .LBB2_1950
	s_branch .LBB2_1951
.LBB2_2093:                             ;   in Loop: Header=BB2_1719 Depth=2
	s_mov_b32 s7, -1
	s_mov_b32 s25, exec_lo
                                        ; implicit-def: $sgpr23
	v_cmpx_eq_u16_e32 0x80, v116
; %bb.2094:                             ;   in Loop: Header=BB2_1719 Depth=2
	s_mov_b32 s23, 0x7f800001
	s_xor_b32 s7, exec_lo, -1
; %bb.2095:                             ;   in Loop: Header=BB2_1719 Depth=2
	s_or_b32 exec_lo, exec_lo, s25
	s_delay_alu instid0(SALU_CYCLE_1)
	s_and_b32 s7, s7, exec_lo
	s_or_saveexec_b32 s24, s24
	v_mov_b32_e32 v115, s23
	s_xor_b32 exec_lo, exec_lo, s24
	s_cbranch_execz .LBB2_1961
.LBB2_2096:                             ;   in Loop: Header=BB2_1719 Depth=2
	v_cmp_ne_u16_e32 vcc_lo, 0, v116
	v_mov_b32_e32 v115, 0
	s_and_not1_b32 s7, s7, exec_lo
	s_and_b32 s23, vcc_lo, exec_lo
	s_delay_alu instid0(SALU_CYCLE_1)
	s_or_b32 s7, s7, s23
	s_or_b32 exec_lo, exec_lo, s24
	s_and_saveexec_b32 s23, s7
	s_cbranch_execnz .LBB2_1962
	s_branch .LBB2_1963
.LBB2_2097:                             ;   in Loop: Header=BB2_1719 Depth=2
	s_mov_b32 s7, -1
	s_mov_b32 s25, exec_lo
                                        ; implicit-def: $sgpr23
	v_cmpx_eq_u16_e32 0x80, v17
; %bb.2098:                             ;   in Loop: Header=BB2_1719 Depth=2
	s_mov_b32 s23, 0x7f800001
	s_xor_b32 s7, exec_lo, -1
; %bb.2099:                             ;   in Loop: Header=BB2_1719 Depth=2
	s_or_b32 exec_lo, exec_lo, s25
	s_delay_alu instid0(SALU_CYCLE_1)
	s_and_b32 s7, s7, exec_lo
	s_or_saveexec_b32 s24, s24
	v_mov_b32_e32 v116, s23
	s_xor_b32 exec_lo, exec_lo, s24
	s_cbranch_execz .LBB2_1965
.LBB2_2100:                             ;   in Loop: Header=BB2_1719 Depth=2
	v_cmp_ne_u16_e32 vcc_lo, 0, v17
	v_mov_b32_e32 v116, 0
	s_and_not1_b32 s7, s7, exec_lo
	s_and_b32 s23, vcc_lo, exec_lo
	s_delay_alu instid0(SALU_CYCLE_1)
	s_or_b32 s7, s7, s23
	s_or_b32 exec_lo, exec_lo, s24
	s_and_saveexec_b32 s23, s7
	s_cbranch_execnz .LBB2_1966
	s_branch .LBB2_1967
.LBB2_2101:                             ;   in Loop: Header=BB2_1243 Depth=1
	s_or_b32 exec_lo, exec_lo, s22
.LBB2_2102:                             ;   in Loop: Header=BB2_1243 Depth=1
	s_delay_alu instid0(SALU_CYCLE_1) | instskip(SKIP_3) | instid1(VALU_DEP_1)
	s_or_b32 exec_lo, exec_lo, s21
	v_cmp_lt_i32_e32 vcc_lo, 0, v87
	s_mov_b32 s21, exec_lo
	v_cndmask_b32_e32 v10, 0, v54, vcc_lo
	v_sub_nc_u32_e32 v10, v10, v87
	s_delay_alu instid0(VALU_DEP_1)
	v_lshl_add_u32 v16, v10, 5, v96
.LBB2_2103:                             ;   in Loop: Header=BB2_1243 Depth=1
	s_or_b32 exec_lo, exec_lo, s10
.LBB2_2104:                             ;   in Loop: Header=BB2_1243 Depth=1
	s_and_saveexec_b32 s10, s21
	s_cbranch_execz .LBB2_2331
; %bb.2105:                             ;   in Loop: Header=BB2_1243 Depth=1
	s_delay_alu instid0(VALU_DEP_1) | instskip(SKIP_2) | instid1(VALU_DEP_2)
	v_ashrrev_i32_e32 v10, 31, v16
	v_lshrrev_b32_e32 v11, 8, v86
	s_mov_b32 s21, exec_lo
	v_lshrrev_b32_e32 v10, 27, v10
	s_delay_alu instid0(VALU_DEP_1) | instskip(NEXT) | instid1(VALU_DEP_1)
	v_add_nc_u32_e32 v10, v16, v10
	v_ashrrev_i32_e32 v17, 5, v10
	s_delay_alu instid0(VALU_DEP_1) | instskip(NEXT) | instid1(VALU_DEP_1)
	v_sub_nc_u32_e32 v48, v11, v17
	v_cmpx_lt_i32_e32 0, v48
	s_cbranch_execz .LBB2_2302
; %bb.2106:                             ;   in Loop: Header=BB2_1243 Depth=1
	s_cbranch_execnz .LBB2_2807
; %bb.2107:                             ;   in Loop: Header=BB2_1243 Depth=1
	ds_load_b128 v[11:14], v0
	ds_load_b64 v[49:50], v0
	v_and_b32_e32 v10, 0xffffffe0, v10
	v_lshlrev_b32_e32 v15, 8, v17
	s_mov_b32 s22, 0
	s_delay_alu instid0(VALU_DEP_2) | instskip(NEXT) | instid1(VALU_DEP_1)
	v_sub_nc_u32_e32 v10, v16, v10
	v_add3_u32 v15, v85, v10, v15
	s_delay_alu instid0(VALU_DEP_1) | instskip(SKIP_2) | instid1(VALU_DEP_2)
	v_ashrrev_i32_e32 v51, 31, v15
	s_waitcnt lgkmcnt(1)
	v_add_co_u32 v10, vcc_lo, v11, v15
	v_add_co_ci_u32_e32 v11, vcc_lo, v12, v51, vcc_lo
	s_waitcnt lgkmcnt(0)
	v_add_co_u32 v49, vcc_lo, 0xe0, v49
	v_add_co_ci_u32_e32 v50, vcc_lo, 0, v50, vcc_lo
	v_add_co_u32 v12, vcc_lo, v13, v15
	v_add_co_ci_u32_e32 v13, vcc_lo, v14, v51, vcc_lo
	s_delay_alu instid0(VALU_DEP_4) | instskip(NEXT) | instid1(VALU_DEP_4)
	v_add_co_u32 v14, vcc_lo, v49, v15
	v_add_co_ci_u32_e32 v15, vcc_lo, v50, v51, vcc_lo
	s_branch .LBB2_2111
.LBB2_2108:                             ;   in Loop: Header=BB2_2111 Depth=2
	s_or_b32 exec_lo, exec_lo, s7
	s_delay_alu instid0(VALU_DEP_1) | instskip(NEXT) | instid1(VALU_DEP_2)
	v_lshrrev_b32_e32 v53, 21, v53
	v_cmp_gt_i32_e32 vcc_lo, 32, v50
	v_lshrrev_b32_e32 v49, 24, v49
	v_min_i32_e32 v97, 31, v50
	s_delay_alu instid0(VALU_DEP_4) | instskip(NEXT) | instid1(VALU_DEP_3)
	v_cndmask_b32_e32 v53, 3, v53, vcc_lo
	v_and_b32_e32 v49, 0x80, v49
	s_delay_alu instid0(VALU_DEP_3) | instskip(NEXT) | instid1(VALU_DEP_3)
	v_lshlrev_b32_e32 v97, 2, v97
	v_and_b32_e32 v100, 3, v53
	v_or_b32_e32 v50, v50, v53
	s_delay_alu instid0(VALU_DEP_2) | instskip(NEXT) | instid1(VALU_DEP_2)
	v_or3_b32 v49, v97, v49, v100
	v_cmp_ne_u32_e32 vcc_lo, 0, v50
	s_delay_alu instid0(VALU_DEP_2)
	v_cndmask_b32_e32 v50, 0, v49, vcc_lo
.LBB2_2109:                             ;   in Loop: Header=BB2_2111 Depth=2
	s_or_b32 exec_lo, exec_lo, s24
.LBB2_2110:                             ;   in Loop: Header=BB2_2111 Depth=2
	s_delay_alu instid0(SALU_CYCLE_1)
	s_or_b32 exec_lo, exec_lo, s23
	v_add_co_u32 v102, vcc_lo, 0xffffff20, v14
	v_add_co_ci_u32_e32 v103, vcc_lo, -1, v15, vcc_lo
	v_add_co_u32 v112, vcc_lo, 0xffffff40, v14
	v_add_co_ci_u32_e32 v113, vcc_lo, -1, v15, vcc_lo
	v_sub_nc_u32_e32 v48, v48, v54
	flat_store_b8 v[102:103], v51 glc slc dlc
	flat_store_b8 v[112:113], v87 glc slc dlc
	v_add_co_u32 v102, vcc_lo, 0xffffff60, v14
	v_add_co_ci_u32_e32 v103, vcc_lo, -1, v15, vcc_lo
	v_add_co_u32 v112, vcc_lo, 0xffffff80, v14
	v_add_co_ci_u32_e32 v113, vcc_lo, -1, v15, vcc_lo
	;; [unrolled: 2-line block ×5, first 2 shown]
	v_add_co_u32 v10, vcc_lo, v10, v81
	v_add_co_ci_u32_e32 v11, vcc_lo, v11, v82, vcc_lo
	v_add_co_u32 v12, vcc_lo, v12, v81
	v_add_co_ci_u32_e32 v13, vcc_lo, v13, v82, vcc_lo
	flat_store_b8 v[102:103], v98 glc slc dlc
	flat_store_b8 v[112:113], v101 glc slc dlc
	;; [unrolled: 1-line block ×6, first 2 shown]
	v_cmp_gt_i32_e32 vcc_lo, 1, v48
	v_add_co_u32 v14, s7, v14, v81
	s_delay_alu instid0(VALU_DEP_1) | instskip(SKIP_1) | instid1(SALU_CYCLE_1)
	v_add_co_ci_u32_e64 v15, s7, v15, v82, s7
	s_or_b32 s22, vcc_lo, s22
	s_and_not1_b32 exec_lo, exec_lo, s22
	s_cbranch_execz .LBB2_2301
.LBB2_2111:                             ;   Parent Loop BB2_1243 Depth=1
                                        ; =>  This Inner Loop Header: Depth=2
	s_clause 0x7
	flat_load_u8 v114, v[10:11] slc dlc
	flat_load_u8 v112, v[10:11] offset:32 slc dlc
	flat_load_u8 v103, v[10:11] offset:64 slc dlc
	;; [unrolled: 1-line block ×7, first 2 shown]
	s_clause 0x7
	flat_load_u8 v51, v[12:13] slc dlc
	flat_load_u8 v87, v[12:13] offset:32 slc dlc
	flat_load_u8 v98, v[12:13] offset:64 slc dlc
	;; [unrolled: 1-line block ×7, first 2 shown]
	s_mov_b32 s7, 0
	s_mov_b32 s24, exec_lo
                                        ; implicit-def: $sgpr23
	s_waitcnt vmcnt(15) lgkmcnt(15)
	v_cmpx_lt_i16_e32 0x7f, v114
	s_xor_b32 s24, exec_lo, s24
	s_cbranch_execnz .LBB2_2237
; %bb.2112:                             ;   in Loop: Header=BB2_2111 Depth=2
	s_or_saveexec_b32 s24, s24
	v_mov_b32_e32 v113, s23
	s_xor_b32 exec_lo, exec_lo, s24
	s_cbranch_execnz .LBB2_2240
.LBB2_2113:                             ;   in Loop: Header=BB2_2111 Depth=2
	s_or_b32 exec_lo, exec_lo, s24
	s_and_saveexec_b32 s23, s7
	s_cbranch_execz .LBB2_2115
.LBB2_2114:                             ;   in Loop: Header=BB2_2111 Depth=2
	v_and_b32_e32 v113, 0xffff, v114
	s_delay_alu instid0(VALU_DEP_1) | instskip(NEXT) | instid1(VALU_DEP_1)
	v_and_b32_e32 v115, 3, v113
	v_clz_i32_u32_e32 v116, v115
	s_delay_alu instid0(VALU_DEP_1) | instskip(NEXT) | instid1(VALU_DEP_1)
	v_min_u32_e32 v116, 32, v116
	v_subrev_nc_u32_e32 v117, 29, v116
	v_sub_nc_u32_e32 v116, 30, v116
	s_delay_alu instid0(VALU_DEP_2) | instskip(SKIP_1) | instid1(VALU_DEP_2)
	v_lshlrev_b32_e32 v117, v117, v113
	v_bfe_u32 v113, v113, 2, 5
	v_and_b32_e32 v117, 3, v117
	s_delay_alu instid0(VALU_DEP_2) | instskip(SKIP_1) | instid1(VALU_DEP_1)
	v_cmp_eq_u32_e32 vcc_lo, 0, v113
	v_dual_cndmask_b32 v113, v113, v116 :: v_dual_lshlrev_b32 v114, 24, v114
	v_dual_cndmask_b32 v115, v115, v117 :: v_dual_and_b32 v114, 0x80000000, v114
	s_delay_alu instid0(VALU_DEP_2) | instskip(NEXT) | instid1(VALU_DEP_2)
	v_lshl_add_u32 v113, v113, 23, 0x37800000
	v_lshlrev_b32_e32 v115, 21, v115
	s_delay_alu instid0(VALU_DEP_1)
	v_or3_b32 v113, v114, v113, v115
.LBB2_2115:                             ;   in Loop: Header=BB2_2111 Depth=2
	s_or_b32 exec_lo, exec_lo, s23
	s_waitcnt vmcnt(7) lgkmcnt(7)
	v_and_b32_e32 v115, 0xff, v51
	s_mov_b32 s7, 0
	s_mov_b32 s24, exec_lo
                                        ; implicit-def: $sgpr23
	s_delay_alu instid0(VALU_DEP_1)
	v_cmpx_lt_i16_e32 0x7f, v115
	s_xor_b32 s24, exec_lo, s24
	s_cbranch_execnz .LBB2_2241
; %bb.2116:                             ;   in Loop: Header=BB2_2111 Depth=2
	s_or_saveexec_b32 s24, s24
	v_mov_b32_e32 v114, s23
	s_xor_b32 exec_lo, exec_lo, s24
	s_cbranch_execnz .LBB2_2244
.LBB2_2117:                             ;   in Loop: Header=BB2_2111 Depth=2
	s_or_b32 exec_lo, exec_lo, s24
	s_and_saveexec_b32 s23, s7
	s_cbranch_execz .LBB2_2119
.LBB2_2118:                             ;   in Loop: Header=BB2_2111 Depth=2
	v_and_b32_e32 v114, 3, v51
	v_lshrrev_b16 v117, 2, v51
	s_delay_alu instid0(VALU_DEP_2) | instskip(NEXT) | instid1(VALU_DEP_1)
	v_clz_i32_u32_e32 v115, v114
	v_min_u32_e32 v115, 32, v115
	s_delay_alu instid0(VALU_DEP_1) | instskip(SKIP_1) | instid1(VALU_DEP_2)
	v_subrev_nc_u32_e32 v116, 29, v115
	v_sub_nc_u32_e32 v115, 30, v115
	v_lshlrev_b32_e32 v116, v116, v51
	v_lshlrev_b32_e32 v51, 24, v51
	s_delay_alu instid0(VALU_DEP_2) | instskip(SKIP_1) | instid1(VALU_DEP_3)
	v_and_b32_e32 v116, 3, v116
	v_and_b32_e32 v117, 31, v117
	;; [unrolled: 1-line block ×3, first 2 shown]
	s_delay_alu instid0(VALU_DEP_2) | instskip(NEXT) | instid1(VALU_DEP_4)
	v_cmp_eq_u32_e32 vcc_lo, 0, v117
	v_dual_cndmask_b32 v114, v114, v116 :: v_dual_cndmask_b32 v115, v117, v115
	s_delay_alu instid0(VALU_DEP_1) | instskip(NEXT) | instid1(VALU_DEP_2)
	v_lshlrev_b32_e32 v114, 21, v114
	v_lshl_add_u32 v115, v115, 23, 0x37800000
	s_delay_alu instid0(VALU_DEP_1)
	v_or3_b32 v114, v51, v115, v114
.LBB2_2119:                             ;   in Loop: Header=BB2_2111 Depth=2
	s_or_b32 exec_lo, exec_lo, s23
	s_delay_alu instid0(VALU_DEP_1) | instskip(NEXT) | instid1(VALU_DEP_1)
	v_mul_f32_e32 v113, v113, v114
	v_and_b32_e32 v51, 0x7f800000, v113
	s_delay_alu instid0(VALU_DEP_1)
	v_cmp_ne_u32_e32 vcc_lo, 0x7f800000, v51
	v_mov_b32_e32 v51, 0x80
	s_and_saveexec_b32 s23, vcc_lo
	s_cbranch_execz .LBB2_2127
; %bb.2120:                             ;   in Loop: Header=BB2_2111 Depth=2
	v_mov_b32_e32 v51, 0
	s_mov_b32 s24, exec_lo
	v_cmpx_ne_u32_e32 0, v113
	s_cbranch_execz .LBB2_2126
; %bb.2121:                             ;   in Loop: Header=BB2_2111 Depth=2
	v_bfe_u32 v51, v113, 23, 8
	s_delay_alu instid0(VALU_DEP_1) | instskip(SKIP_1) | instid1(VALU_DEP_2)
	v_sub_nc_u32_e32 v115, 0x70, v51
	v_cmp_gt_u32_e32 vcc_lo, 0x71, v51
	v_dual_cndmask_b32 v115, 0, v115 :: v_dual_and_b32 v114, 0x7fffff, v113
	s_delay_alu instid0(VALU_DEP_1) | instskip(SKIP_2) | instid1(VALU_DEP_4)
	v_or_b32_e32 v116, 0x800000, v114
	v_cmp_eq_u32_e32 vcc_lo, 0, v51
	v_add_nc_u32_e32 v51, 0xffffff91, v51
	v_cndmask_b32_e64 v115, v115, 0x6f, vcc_lo
	s_delay_alu instid0(VALU_DEP_4) | instskip(NEXT) | instid1(VALU_DEP_3)
	v_cndmask_b32_e32 v114, v116, v114, vcc_lo
	v_cndmask_b32_e64 v51, v51, 0xffffff92, vcc_lo
	s_delay_alu instid0(VALU_DEP_3) | instskip(NEXT) | instid1(VALU_DEP_3)
	v_lshl_add_u32 v116, 0x200000, v115, -1
	v_lshrrev_b32_e32 v117, v115, v114
	v_lshlrev_b32_e64 v119, v115, 0x100000
	s_delay_alu instid0(VALU_DEP_4) | instskip(NEXT) | instid1(VALU_DEP_4)
	v_add_nc_u32_e32 v115, v115, v51
	v_and_b32_e32 v114, v116, v114
	s_delay_alu instid0(VALU_DEP_4) | instskip(NEXT) | instid1(VALU_DEP_2)
	v_bfe_u32 v118, v117, 21, 1
	v_cmp_eq_u32_e64 s7, v114, v119
	s_delay_alu instid0(VALU_DEP_2) | instskip(NEXT) | instid1(VALU_DEP_1)
	v_add_nc_u32_e32 v116, -1, v118
	v_cndmask_b32_e64 v114, 0, v116, s7
	v_lshrrev_b32_e32 v116, 23, v117
	s_mov_b32 s7, exec_lo
	s_delay_alu instid0(VALU_DEP_2) | instskip(NEXT) | instid1(VALU_DEP_2)
	v_add_nc_u32_e32 v114, v114, v117
	v_xor_b32_e32 v116, 1, v116
	s_delay_alu instid0(VALU_DEP_2) | instskip(NEXT) | instid1(VALU_DEP_1)
	v_and_b32_e32 v51, 0x1fffff, v114
	v_add_nc_u32_e32 v114, v51, v117
                                        ; implicit-def: $vgpr51
	s_delay_alu instid0(VALU_DEP_3)
	v_cmpx_ne_u32_e64 v115, v116
	s_xor_b32 s7, exec_lo, s7
; %bb.2122:                             ;   in Loop: Header=BB2_2111 Depth=2
	s_delay_alu instid0(VALU_DEP_2) | instskip(SKIP_2) | instid1(VALU_DEP_2)
	v_cmp_lt_u32_e32 vcc_lo, 0xffffff, v114
	v_sub_nc_u32_e32 v51, v115, v116
	v_cndmask_b32_e64 v115, 0, 1, vcc_lo
	v_add_co_ci_u32_e32 v51, vcc_lo, 0, v51, vcc_lo
	s_delay_alu instid0(VALU_DEP_2)
	v_lshrrev_b32_e32 v114, v115, v114
; %bb.2123:                             ;   in Loop: Header=BB2_2111 Depth=2
	s_and_not1_saveexec_b32 s7, s7
; %bb.2124:                             ;   in Loop: Header=BB2_2111 Depth=2
	s_delay_alu instid0(VALU_DEP_1)
	v_bfe_u32 v51, v114, 23, 1
; %bb.2125:                             ;   in Loop: Header=BB2_2111 Depth=2
	s_or_b32 exec_lo, exec_lo, s7
	v_lshrrev_b32_e32 v114, 21, v114
	s_delay_alu instid0(VALU_DEP_2) | instskip(SKIP_2) | instid1(VALU_DEP_2)
	v_cmp_gt_i32_e32 vcc_lo, 32, v51
	v_lshrrev_b32_e32 v113, 24, v113
	v_min_i32_e32 v115, 31, v51
	v_dual_cndmask_b32 v114, 3, v114 :: v_dual_and_b32 v113, 0x80, v113
	s_delay_alu instid0(VALU_DEP_2) | instskip(NEXT) | instid1(VALU_DEP_2)
	v_lshlrev_b32_e32 v115, 2, v115
	v_or_b32_e32 v51, v51, v114
	s_delay_alu instid0(VALU_DEP_1) | instskip(SKIP_1) | instid1(VALU_DEP_1)
	v_cmp_ne_u32_e32 vcc_lo, 0, v51
	v_and_b32_e32 v116, 3, v114
	v_or3_b32 v113, v115, v113, v116
	s_delay_alu instid0(VALU_DEP_1)
	v_cndmask_b32_e32 v51, 0, v113, vcc_lo
.LBB2_2126:                             ;   in Loop: Header=BB2_2111 Depth=2
	s_or_b32 exec_lo, exec_lo, s24
.LBB2_2127:                             ;   in Loop: Header=BB2_2111 Depth=2
	s_delay_alu instid0(SALU_CYCLE_1) | instskip(SKIP_3) | instid1(VALU_DEP_1)
	s_or_b32 exec_lo, exec_lo, s23
	v_and_b32_e32 v114, 0xff, v112
	s_mov_b32 s7, 0
	s_mov_b32 s24, exec_lo
                                        ; implicit-def: $sgpr23
	v_cmpx_lt_i16_e32 0x7f, v114
	s_xor_b32 s24, exec_lo, s24
	s_cbranch_execnz .LBB2_2245
; %bb.2128:                             ;   in Loop: Header=BB2_2111 Depth=2
	s_or_saveexec_b32 s24, s24
	v_mov_b32_e32 v113, s23
	s_xor_b32 exec_lo, exec_lo, s24
	s_cbranch_execnz .LBB2_2248
.LBB2_2129:                             ;   in Loop: Header=BB2_2111 Depth=2
	s_or_b32 exec_lo, exec_lo, s24
	s_and_saveexec_b32 s23, s7
	s_cbranch_execz .LBB2_2131
.LBB2_2130:                             ;   in Loop: Header=BB2_2111 Depth=2
	v_lshrrev_b16 v116, 2, v112
	s_delay_alu instid0(VALU_DEP_1) | instskip(NEXT) | instid1(VALU_DEP_1)
	v_and_b32_e32 v116, 31, v116
	v_cmp_eq_u32_e32 vcc_lo, 0, v116
	v_and_b32_e32 v113, 3, v112
	s_delay_alu instid0(VALU_DEP_1) | instskip(NEXT) | instid1(VALU_DEP_1)
	v_clz_i32_u32_e32 v114, v113
	v_min_u32_e32 v114, 32, v114
	s_delay_alu instid0(VALU_DEP_1) | instskip(SKIP_1) | instid1(VALU_DEP_1)
	v_subrev_nc_u32_e32 v115, 29, v114
	v_sub_nc_u32_e32 v114, 30, v114
	v_dual_cndmask_b32 v114, v116, v114 :: v_dual_lshlrev_b32 v115, v115, v112
	v_lshlrev_b32_e32 v112, 24, v112
	s_delay_alu instid0(VALU_DEP_2) | instskip(NEXT) | instid1(VALU_DEP_3)
	v_and_b32_e32 v115, 3, v115
	v_lshl_add_u32 v114, v114, 23, 0x37800000
	s_delay_alu instid0(VALU_DEP_2) | instskip(NEXT) | instid1(VALU_DEP_1)
	v_dual_cndmask_b32 v113, v113, v115 :: v_dual_and_b32 v112, 0x80000000, v112
	v_lshlrev_b32_e32 v113, 21, v113
	s_delay_alu instid0(VALU_DEP_1)
	v_or3_b32 v113, v112, v114, v113
.LBB2_2131:                             ;   in Loop: Header=BB2_2111 Depth=2
	s_or_b32 exec_lo, exec_lo, s23
	s_waitcnt vmcnt(6) lgkmcnt(6)
	v_and_b32_e32 v114, 0xff, v87
	s_mov_b32 s7, 0
	s_mov_b32 s24, exec_lo
                                        ; implicit-def: $sgpr23
	s_delay_alu instid0(VALU_DEP_1)
	v_cmpx_lt_i16_e32 0x7f, v114
	s_xor_b32 s24, exec_lo, s24
	s_cbranch_execnz .LBB2_2249
; %bb.2132:                             ;   in Loop: Header=BB2_2111 Depth=2
	s_or_saveexec_b32 s24, s24
	v_mov_b32_e32 v112, s23
	s_xor_b32 exec_lo, exec_lo, s24
	s_cbranch_execnz .LBB2_2252
.LBB2_2133:                             ;   in Loop: Header=BB2_2111 Depth=2
	s_or_b32 exec_lo, exec_lo, s24
	s_and_saveexec_b32 s23, s7
	s_cbranch_execz .LBB2_2135
.LBB2_2134:                             ;   in Loop: Header=BB2_2111 Depth=2
	v_and_b32_e32 v112, 3, v87
	v_lshrrev_b16 v116, 2, v87
	s_delay_alu instid0(VALU_DEP_2) | instskip(NEXT) | instid1(VALU_DEP_2)
	v_clz_i32_u32_e32 v114, v112
	v_and_b32_e32 v116, 31, v116
	s_delay_alu instid0(VALU_DEP_2) | instskip(NEXT) | instid1(VALU_DEP_2)
	v_min_u32_e32 v114, 32, v114
	v_cmp_eq_u32_e32 vcc_lo, 0, v116
	s_delay_alu instid0(VALU_DEP_2) | instskip(SKIP_1) | instid1(VALU_DEP_1)
	v_subrev_nc_u32_e32 v115, 29, v114
	v_sub_nc_u32_e32 v114, 30, v114
	v_dual_cndmask_b32 v114, v116, v114 :: v_dual_lshlrev_b32 v115, v115, v87
	v_lshlrev_b32_e32 v87, 24, v87
	s_delay_alu instid0(VALU_DEP_2) | instskip(NEXT) | instid1(VALU_DEP_3)
	v_and_b32_e32 v115, 3, v115
	v_lshl_add_u32 v114, v114, 23, 0x37800000
	s_delay_alu instid0(VALU_DEP_3) | instskip(NEXT) | instid1(VALU_DEP_3)
	v_and_b32_e32 v87, 0x80000000, v87
	v_cndmask_b32_e32 v112, v112, v115, vcc_lo
	s_delay_alu instid0(VALU_DEP_1) | instskip(NEXT) | instid1(VALU_DEP_1)
	v_lshlrev_b32_e32 v112, 21, v112
	v_or3_b32 v112, v87, v114, v112
.LBB2_2135:                             ;   in Loop: Header=BB2_2111 Depth=2
	s_or_b32 exec_lo, exec_lo, s23
	s_delay_alu instid0(VALU_DEP_1) | instskip(NEXT) | instid1(VALU_DEP_1)
	v_mul_f32_e32 v112, v113, v112
	v_and_b32_e32 v87, 0x7f800000, v112
	s_delay_alu instid0(VALU_DEP_1)
	v_cmp_ne_u32_e32 vcc_lo, 0x7f800000, v87
	v_mov_b32_e32 v87, 0x80
	s_and_saveexec_b32 s23, vcc_lo
	s_cbranch_execz .LBB2_2143
; %bb.2136:                             ;   in Loop: Header=BB2_2111 Depth=2
	v_mov_b32_e32 v87, 0
	s_mov_b32 s24, exec_lo
	v_cmpx_ne_u32_e32 0, v112
	s_cbranch_execz .LBB2_2142
; %bb.2137:                             ;   in Loop: Header=BB2_2111 Depth=2
	v_bfe_u32 v87, v112, 23, 8
	s_delay_alu instid0(VALU_DEP_1) | instskip(SKIP_1) | instid1(VALU_DEP_2)
	v_sub_nc_u32_e32 v114, 0x70, v87
	v_cmp_gt_u32_e32 vcc_lo, 0x71, v87
	v_dual_cndmask_b32 v114, 0, v114 :: v_dual_and_b32 v113, 0x7fffff, v112
	s_delay_alu instid0(VALU_DEP_1) | instskip(SKIP_2) | instid1(VALU_DEP_4)
	v_or_b32_e32 v115, 0x800000, v113
	v_cmp_eq_u32_e32 vcc_lo, 0, v87
	v_add_nc_u32_e32 v87, 0xffffff91, v87
	v_cndmask_b32_e64 v114, v114, 0x6f, vcc_lo
	s_delay_alu instid0(VALU_DEP_2) | instskip(SKIP_1) | instid1(VALU_DEP_3)
	v_cndmask_b32_e64 v87, v87, 0xffffff92, vcc_lo
	v_cndmask_b32_e32 v113, v115, v113, vcc_lo
	v_lshl_add_u32 v115, 0x200000, v114, -1
	v_lshlrev_b32_e64 v118, v114, 0x100000
	s_delay_alu instid0(VALU_DEP_3) | instskip(SKIP_1) | instid1(VALU_DEP_4)
	v_lshrrev_b32_e32 v116, v114, v113
	v_add_nc_u32_e32 v114, v114, v87
	v_and_b32_e32 v113, v115, v113
	s_delay_alu instid0(VALU_DEP_3) | instskip(NEXT) | instid1(VALU_DEP_2)
	v_bfe_u32 v117, v116, 21, 1
	v_cmp_eq_u32_e64 s7, v113, v118
	s_delay_alu instid0(VALU_DEP_2) | instskip(NEXT) | instid1(VALU_DEP_1)
	v_add_nc_u32_e32 v115, -1, v117
	v_cndmask_b32_e64 v113, 0, v115, s7
	v_lshrrev_b32_e32 v115, 23, v116
	s_mov_b32 s7, exec_lo
	s_delay_alu instid0(VALU_DEP_2) | instskip(NEXT) | instid1(VALU_DEP_2)
	v_add_nc_u32_e32 v113, v113, v116
	v_xor_b32_e32 v115, 1, v115
	s_delay_alu instid0(VALU_DEP_2) | instskip(NEXT) | instid1(VALU_DEP_1)
	v_and_b32_e32 v87, 0x1fffff, v113
	v_add_nc_u32_e32 v113, v87, v116
                                        ; implicit-def: $vgpr87
	s_delay_alu instid0(VALU_DEP_3)
	v_cmpx_ne_u32_e64 v114, v115
	s_xor_b32 s7, exec_lo, s7
; %bb.2138:                             ;   in Loop: Header=BB2_2111 Depth=2
	s_delay_alu instid0(VALU_DEP_2) | instskip(SKIP_2) | instid1(VALU_DEP_2)
	v_cmp_lt_u32_e32 vcc_lo, 0xffffff, v113
	v_sub_nc_u32_e32 v87, v114, v115
	v_cndmask_b32_e64 v114, 0, 1, vcc_lo
	v_add_co_ci_u32_e32 v87, vcc_lo, 0, v87, vcc_lo
	s_delay_alu instid0(VALU_DEP_2)
	v_lshrrev_b32_e32 v113, v114, v113
; %bb.2139:                             ;   in Loop: Header=BB2_2111 Depth=2
	s_and_not1_saveexec_b32 s7, s7
; %bb.2140:                             ;   in Loop: Header=BB2_2111 Depth=2
	s_delay_alu instid0(VALU_DEP_1)
	v_bfe_u32 v87, v113, 23, 1
; %bb.2141:                             ;   in Loop: Header=BB2_2111 Depth=2
	s_or_b32 exec_lo, exec_lo, s7
	v_lshrrev_b32_e32 v113, 21, v113
	s_delay_alu instid0(VALU_DEP_2) | instskip(SKIP_2) | instid1(VALU_DEP_2)
	v_cmp_gt_i32_e32 vcc_lo, 32, v87
	v_lshrrev_b32_e32 v112, 24, v112
	v_min_i32_e32 v114, 31, v87
	v_dual_cndmask_b32 v113, 3, v113 :: v_dual_and_b32 v112, 0x80, v112
	s_delay_alu instid0(VALU_DEP_1) | instskip(SKIP_1) | instid1(VALU_DEP_2)
	v_or_b32_e32 v87, v87, v113
	v_and_b32_e32 v115, 3, v113
	v_cmp_ne_u32_e32 vcc_lo, 0, v87
	v_lshlrev_b32_e32 v114, 2, v114
	s_delay_alu instid0(VALU_DEP_1) | instskip(NEXT) | instid1(VALU_DEP_1)
	v_or3_b32 v112, v114, v112, v115
	v_cndmask_b32_e32 v87, 0, v112, vcc_lo
.LBB2_2142:                             ;   in Loop: Header=BB2_2111 Depth=2
	s_or_b32 exec_lo, exec_lo, s24
.LBB2_2143:                             ;   in Loop: Header=BB2_2111 Depth=2
	s_delay_alu instid0(SALU_CYCLE_1) | instskip(SKIP_3) | instid1(VALU_DEP_1)
	s_or_b32 exec_lo, exec_lo, s23
	v_and_b32_e32 v113, 0xff, v103
	s_mov_b32 s7, 0
	s_mov_b32 s24, exec_lo
                                        ; implicit-def: $sgpr23
	v_cmpx_lt_i16_e32 0x7f, v113
	s_xor_b32 s24, exec_lo, s24
	s_cbranch_execnz .LBB2_2253
; %bb.2144:                             ;   in Loop: Header=BB2_2111 Depth=2
	s_or_saveexec_b32 s24, s24
	v_mov_b32_e32 v112, s23
	s_xor_b32 exec_lo, exec_lo, s24
	s_cbranch_execnz .LBB2_2256
.LBB2_2145:                             ;   in Loop: Header=BB2_2111 Depth=2
	s_or_b32 exec_lo, exec_lo, s24
	s_and_saveexec_b32 s23, s7
	s_cbranch_execz .LBB2_2147
.LBB2_2146:                             ;   in Loop: Header=BB2_2111 Depth=2
	v_lshrrev_b16 v115, 2, v103
	s_delay_alu instid0(VALU_DEP_1) | instskip(NEXT) | instid1(VALU_DEP_1)
	v_and_b32_e32 v115, 31, v115
	v_cmp_eq_u32_e32 vcc_lo, 0, v115
	v_and_b32_e32 v112, 3, v103
	s_delay_alu instid0(VALU_DEP_1) | instskip(NEXT) | instid1(VALU_DEP_1)
	v_clz_i32_u32_e32 v113, v112
	v_min_u32_e32 v113, 32, v113
	s_delay_alu instid0(VALU_DEP_1) | instskip(SKIP_1) | instid1(VALU_DEP_1)
	v_subrev_nc_u32_e32 v114, 29, v113
	v_sub_nc_u32_e32 v113, 30, v113
	v_dual_cndmask_b32 v113, v115, v113 :: v_dual_lshlrev_b32 v114, v114, v103
	v_lshlrev_b32_e32 v103, 24, v103
	s_delay_alu instid0(VALU_DEP_2) | instskip(NEXT) | instid1(VALU_DEP_3)
	v_and_b32_e32 v114, 3, v114
	v_lshl_add_u32 v113, v113, 23, 0x37800000
	s_delay_alu instid0(VALU_DEP_2) | instskip(NEXT) | instid1(VALU_DEP_1)
	v_dual_cndmask_b32 v112, v112, v114 :: v_dual_and_b32 v103, 0x80000000, v103
	v_lshlrev_b32_e32 v112, 21, v112
	s_delay_alu instid0(VALU_DEP_1)
	v_or3_b32 v112, v103, v113, v112
.LBB2_2147:                             ;   in Loop: Header=BB2_2111 Depth=2
	s_or_b32 exec_lo, exec_lo, s23
	s_waitcnt vmcnt(5) lgkmcnt(5)
	v_and_b32_e32 v113, 0xff, v98
	s_mov_b32 s7, 0
	s_mov_b32 s24, exec_lo
                                        ; implicit-def: $sgpr23
	s_delay_alu instid0(VALU_DEP_1)
	v_cmpx_lt_i16_e32 0x7f, v113
	s_xor_b32 s24, exec_lo, s24
	s_cbranch_execnz .LBB2_2257
; %bb.2148:                             ;   in Loop: Header=BB2_2111 Depth=2
	s_or_saveexec_b32 s24, s24
	v_mov_b32_e32 v103, s23
	s_xor_b32 exec_lo, exec_lo, s24
	s_cbranch_execnz .LBB2_2260
.LBB2_2149:                             ;   in Loop: Header=BB2_2111 Depth=2
	s_or_b32 exec_lo, exec_lo, s24
	s_and_saveexec_b32 s23, s7
	s_cbranch_execz .LBB2_2151
.LBB2_2150:                             ;   in Loop: Header=BB2_2111 Depth=2
	v_and_b32_e32 v103, 3, v98
	v_lshrrev_b16 v115, 2, v98
	s_delay_alu instid0(VALU_DEP_2) | instskip(NEXT) | instid1(VALU_DEP_2)
	v_clz_i32_u32_e32 v113, v103
	v_and_b32_e32 v115, 31, v115
	s_delay_alu instid0(VALU_DEP_2) | instskip(NEXT) | instid1(VALU_DEP_2)
	v_min_u32_e32 v113, 32, v113
	v_cmp_eq_u32_e32 vcc_lo, 0, v115
	s_delay_alu instid0(VALU_DEP_2) | instskip(SKIP_1) | instid1(VALU_DEP_1)
	v_subrev_nc_u32_e32 v114, 29, v113
	v_sub_nc_u32_e32 v113, 30, v113
	v_dual_cndmask_b32 v113, v115, v113 :: v_dual_lshlrev_b32 v114, v114, v98
	v_lshlrev_b32_e32 v98, 24, v98
	s_delay_alu instid0(VALU_DEP_2) | instskip(NEXT) | instid1(VALU_DEP_3)
	v_and_b32_e32 v114, 3, v114
	v_lshl_add_u32 v113, v113, 23, 0x37800000
	s_delay_alu instid0(VALU_DEP_3) | instskip(NEXT) | instid1(VALU_DEP_3)
	v_and_b32_e32 v98, 0x80000000, v98
	v_cndmask_b32_e32 v103, v103, v114, vcc_lo
	s_delay_alu instid0(VALU_DEP_1) | instskip(NEXT) | instid1(VALU_DEP_1)
	v_lshlrev_b32_e32 v103, 21, v103
	v_or3_b32 v103, v98, v113, v103
.LBB2_2151:                             ;   in Loop: Header=BB2_2111 Depth=2
	s_or_b32 exec_lo, exec_lo, s23
	s_delay_alu instid0(VALU_DEP_1) | instskip(NEXT) | instid1(VALU_DEP_1)
	v_mul_f32_e32 v103, v112, v103
	v_and_b32_e32 v98, 0x7f800000, v103
	s_delay_alu instid0(VALU_DEP_1)
	v_cmp_ne_u32_e32 vcc_lo, 0x7f800000, v98
	v_mov_b32_e32 v98, 0x80
	s_and_saveexec_b32 s23, vcc_lo
	s_cbranch_execz .LBB2_2159
; %bb.2152:                             ;   in Loop: Header=BB2_2111 Depth=2
	v_mov_b32_e32 v98, 0
	s_mov_b32 s24, exec_lo
	v_cmpx_ne_u32_e32 0, v103
	s_cbranch_execz .LBB2_2158
; %bb.2153:                             ;   in Loop: Header=BB2_2111 Depth=2
	v_bfe_u32 v98, v103, 23, 8
	s_delay_alu instid0(VALU_DEP_1) | instskip(SKIP_1) | instid1(VALU_DEP_2)
	v_sub_nc_u32_e32 v113, 0x70, v98
	v_cmp_gt_u32_e32 vcc_lo, 0x71, v98
	v_dual_cndmask_b32 v113, 0, v113 :: v_dual_and_b32 v112, 0x7fffff, v103
	s_delay_alu instid0(VALU_DEP_1) | instskip(SKIP_2) | instid1(VALU_DEP_4)
	v_or_b32_e32 v114, 0x800000, v112
	v_cmp_eq_u32_e32 vcc_lo, 0, v98
	v_add_nc_u32_e32 v98, 0xffffff91, v98
	v_cndmask_b32_e64 v113, v113, 0x6f, vcc_lo
	s_delay_alu instid0(VALU_DEP_2) | instskip(SKIP_1) | instid1(VALU_DEP_3)
	v_cndmask_b32_e64 v98, v98, 0xffffff92, vcc_lo
	v_cndmask_b32_e32 v112, v114, v112, vcc_lo
	v_lshl_add_u32 v114, 0x200000, v113, -1
	v_lshlrev_b32_e64 v117, v113, 0x100000
	s_delay_alu instid0(VALU_DEP_3) | instskip(SKIP_1) | instid1(VALU_DEP_4)
	v_lshrrev_b32_e32 v115, v113, v112
	v_add_nc_u32_e32 v113, v113, v98
	v_and_b32_e32 v112, v114, v112
	s_delay_alu instid0(VALU_DEP_3) | instskip(NEXT) | instid1(VALU_DEP_2)
	v_bfe_u32 v116, v115, 21, 1
	v_cmp_eq_u32_e64 s7, v112, v117
	s_delay_alu instid0(VALU_DEP_2) | instskip(NEXT) | instid1(VALU_DEP_1)
	v_add_nc_u32_e32 v114, -1, v116
	v_cndmask_b32_e64 v112, 0, v114, s7
	v_lshrrev_b32_e32 v114, 23, v115
	s_mov_b32 s7, exec_lo
	s_delay_alu instid0(VALU_DEP_2) | instskip(NEXT) | instid1(VALU_DEP_2)
	v_add_nc_u32_e32 v112, v112, v115
	v_xor_b32_e32 v114, 1, v114
	s_delay_alu instid0(VALU_DEP_2) | instskip(NEXT) | instid1(VALU_DEP_1)
	v_and_b32_e32 v98, 0x1fffff, v112
	v_add_nc_u32_e32 v112, v98, v115
                                        ; implicit-def: $vgpr98
	s_delay_alu instid0(VALU_DEP_3)
	v_cmpx_ne_u32_e64 v113, v114
	s_xor_b32 s7, exec_lo, s7
; %bb.2154:                             ;   in Loop: Header=BB2_2111 Depth=2
	s_delay_alu instid0(VALU_DEP_2) | instskip(SKIP_2) | instid1(VALU_DEP_2)
	v_cmp_lt_u32_e32 vcc_lo, 0xffffff, v112
	v_sub_nc_u32_e32 v98, v113, v114
	v_cndmask_b32_e64 v113, 0, 1, vcc_lo
	v_add_co_ci_u32_e32 v98, vcc_lo, 0, v98, vcc_lo
	s_delay_alu instid0(VALU_DEP_2)
	v_lshrrev_b32_e32 v112, v113, v112
; %bb.2155:                             ;   in Loop: Header=BB2_2111 Depth=2
	s_and_not1_saveexec_b32 s7, s7
; %bb.2156:                             ;   in Loop: Header=BB2_2111 Depth=2
	s_delay_alu instid0(VALU_DEP_1)
	v_bfe_u32 v98, v112, 23, 1
; %bb.2157:                             ;   in Loop: Header=BB2_2111 Depth=2
	s_or_b32 exec_lo, exec_lo, s7
	v_lshrrev_b32_e32 v112, 21, v112
	s_delay_alu instid0(VALU_DEP_2) | instskip(SKIP_2) | instid1(VALU_DEP_2)
	v_cmp_gt_i32_e32 vcc_lo, 32, v98
	v_lshrrev_b32_e32 v103, 24, v103
	v_min_i32_e32 v113, 31, v98
	v_dual_cndmask_b32 v112, 3, v112 :: v_dual_and_b32 v103, 0x80, v103
	s_delay_alu instid0(VALU_DEP_1) | instskip(SKIP_1) | instid1(VALU_DEP_2)
	v_or_b32_e32 v98, v98, v112
	v_and_b32_e32 v114, 3, v112
	v_cmp_ne_u32_e32 vcc_lo, 0, v98
	v_lshlrev_b32_e32 v113, 2, v113
	s_delay_alu instid0(VALU_DEP_1) | instskip(NEXT) | instid1(VALU_DEP_1)
	v_or3_b32 v103, v113, v103, v114
	v_cndmask_b32_e32 v98, 0, v103, vcc_lo
.LBB2_2158:                             ;   in Loop: Header=BB2_2111 Depth=2
	s_or_b32 exec_lo, exec_lo, s24
.LBB2_2159:                             ;   in Loop: Header=BB2_2111 Depth=2
	s_delay_alu instid0(SALU_CYCLE_1) | instskip(SKIP_3) | instid1(VALU_DEP_1)
	s_or_b32 exec_lo, exec_lo, s23
	v_and_b32_e32 v112, 0xff, v102
	s_mov_b32 s7, 0
	s_mov_b32 s24, exec_lo
                                        ; implicit-def: $sgpr23
	v_cmpx_lt_i16_e32 0x7f, v112
	s_xor_b32 s24, exec_lo, s24
	s_cbranch_execnz .LBB2_2261
; %bb.2160:                             ;   in Loop: Header=BB2_2111 Depth=2
	s_or_saveexec_b32 s24, s24
	v_mov_b32_e32 v103, s23
	s_xor_b32 exec_lo, exec_lo, s24
	s_cbranch_execnz .LBB2_2264
.LBB2_2161:                             ;   in Loop: Header=BB2_2111 Depth=2
	s_or_b32 exec_lo, exec_lo, s24
	s_and_saveexec_b32 s23, s7
	s_cbranch_execz .LBB2_2163
.LBB2_2162:                             ;   in Loop: Header=BB2_2111 Depth=2
	v_lshrrev_b16 v114, 2, v102
	s_delay_alu instid0(VALU_DEP_1) | instskip(NEXT) | instid1(VALU_DEP_1)
	v_and_b32_e32 v114, 31, v114
	v_cmp_eq_u32_e32 vcc_lo, 0, v114
	v_and_b32_e32 v103, 3, v102
	s_delay_alu instid0(VALU_DEP_1) | instskip(NEXT) | instid1(VALU_DEP_1)
	v_clz_i32_u32_e32 v112, v103
	v_min_u32_e32 v112, 32, v112
	s_delay_alu instid0(VALU_DEP_1) | instskip(SKIP_1) | instid1(VALU_DEP_1)
	v_subrev_nc_u32_e32 v113, 29, v112
	v_sub_nc_u32_e32 v112, 30, v112
	v_dual_cndmask_b32 v112, v114, v112 :: v_dual_lshlrev_b32 v113, v113, v102
	v_lshlrev_b32_e32 v102, 24, v102
	s_delay_alu instid0(VALU_DEP_2) | instskip(NEXT) | instid1(VALU_DEP_3)
	v_and_b32_e32 v113, 3, v113
	v_lshl_add_u32 v112, v112, 23, 0x37800000
	s_delay_alu instid0(VALU_DEP_2) | instskip(NEXT) | instid1(VALU_DEP_1)
	v_dual_cndmask_b32 v103, v103, v113 :: v_dual_and_b32 v102, 0x80000000, v102
	v_lshlrev_b32_e32 v103, 21, v103
	s_delay_alu instid0(VALU_DEP_1)
	v_or3_b32 v103, v102, v112, v103
.LBB2_2163:                             ;   in Loop: Header=BB2_2111 Depth=2
	s_or_b32 exec_lo, exec_lo, s23
	s_waitcnt vmcnt(4) lgkmcnt(4)
	v_and_b32_e32 v112, 0xff, v101
	s_mov_b32 s7, 0
	s_mov_b32 s24, exec_lo
                                        ; implicit-def: $sgpr23
	s_delay_alu instid0(VALU_DEP_1)
	v_cmpx_lt_i16_e32 0x7f, v112
	s_xor_b32 s24, exec_lo, s24
	s_cbranch_execnz .LBB2_2265
; %bb.2164:                             ;   in Loop: Header=BB2_2111 Depth=2
	s_or_saveexec_b32 s24, s24
	v_mov_b32_e32 v102, s23
	s_xor_b32 exec_lo, exec_lo, s24
	s_cbranch_execnz .LBB2_2268
.LBB2_2165:                             ;   in Loop: Header=BB2_2111 Depth=2
	s_or_b32 exec_lo, exec_lo, s24
	s_and_saveexec_b32 s23, s7
	s_cbranch_execz .LBB2_2167
.LBB2_2166:                             ;   in Loop: Header=BB2_2111 Depth=2
	v_and_b32_e32 v102, 3, v101
	v_lshrrev_b16 v114, 2, v101
	s_delay_alu instid0(VALU_DEP_2) | instskip(NEXT) | instid1(VALU_DEP_2)
	v_clz_i32_u32_e32 v112, v102
	v_and_b32_e32 v114, 31, v114
	s_delay_alu instid0(VALU_DEP_2) | instskip(NEXT) | instid1(VALU_DEP_2)
	v_min_u32_e32 v112, 32, v112
	v_cmp_eq_u32_e32 vcc_lo, 0, v114
	s_delay_alu instid0(VALU_DEP_2) | instskip(SKIP_1) | instid1(VALU_DEP_1)
	v_subrev_nc_u32_e32 v113, 29, v112
	v_sub_nc_u32_e32 v112, 30, v112
	v_dual_cndmask_b32 v112, v114, v112 :: v_dual_lshlrev_b32 v113, v113, v101
	v_lshlrev_b32_e32 v101, 24, v101
	s_delay_alu instid0(VALU_DEP_2) | instskip(NEXT) | instid1(VALU_DEP_3)
	v_and_b32_e32 v113, 3, v113
	v_lshl_add_u32 v112, v112, 23, 0x37800000
	s_delay_alu instid0(VALU_DEP_3) | instskip(NEXT) | instid1(VALU_DEP_3)
	v_and_b32_e32 v101, 0x80000000, v101
	v_cndmask_b32_e32 v102, v102, v113, vcc_lo
	s_delay_alu instid0(VALU_DEP_1) | instskip(NEXT) | instid1(VALU_DEP_1)
	v_lshlrev_b32_e32 v102, 21, v102
	v_or3_b32 v102, v101, v112, v102
.LBB2_2167:                             ;   in Loop: Header=BB2_2111 Depth=2
	s_or_b32 exec_lo, exec_lo, s23
	s_delay_alu instid0(VALU_DEP_1) | instskip(NEXT) | instid1(VALU_DEP_1)
	v_mul_f32_e32 v102, v103, v102
	v_and_b32_e32 v101, 0x7f800000, v102
	s_delay_alu instid0(VALU_DEP_1)
	v_cmp_ne_u32_e32 vcc_lo, 0x7f800000, v101
	v_mov_b32_e32 v101, 0x80
	s_and_saveexec_b32 s23, vcc_lo
	s_cbranch_execz .LBB2_2175
; %bb.2168:                             ;   in Loop: Header=BB2_2111 Depth=2
	v_mov_b32_e32 v101, 0
	s_mov_b32 s24, exec_lo
	v_cmpx_ne_u32_e32 0, v102
	s_cbranch_execz .LBB2_2174
; %bb.2169:                             ;   in Loop: Header=BB2_2111 Depth=2
	v_bfe_u32 v101, v102, 23, 8
	s_delay_alu instid0(VALU_DEP_1) | instskip(SKIP_1) | instid1(VALU_DEP_2)
	v_sub_nc_u32_e32 v112, 0x70, v101
	v_cmp_gt_u32_e32 vcc_lo, 0x71, v101
	v_dual_cndmask_b32 v112, 0, v112 :: v_dual_and_b32 v103, 0x7fffff, v102
	s_delay_alu instid0(VALU_DEP_1) | instskip(SKIP_2) | instid1(VALU_DEP_4)
	v_or_b32_e32 v113, 0x800000, v103
	v_cmp_eq_u32_e32 vcc_lo, 0, v101
	v_add_nc_u32_e32 v101, 0xffffff91, v101
	v_cndmask_b32_e64 v112, v112, 0x6f, vcc_lo
	s_delay_alu instid0(VALU_DEP_2) | instskip(SKIP_1) | instid1(VALU_DEP_3)
	v_cndmask_b32_e64 v101, v101, 0xffffff92, vcc_lo
	v_cndmask_b32_e32 v103, v113, v103, vcc_lo
	v_lshl_add_u32 v113, 0x200000, v112, -1
	v_lshlrev_b32_e64 v116, v112, 0x100000
	s_delay_alu instid0(VALU_DEP_3) | instskip(SKIP_1) | instid1(VALU_DEP_4)
	v_lshrrev_b32_e32 v114, v112, v103
	v_add_nc_u32_e32 v112, v112, v101
	v_and_b32_e32 v103, v113, v103
	s_delay_alu instid0(VALU_DEP_3) | instskip(NEXT) | instid1(VALU_DEP_2)
	v_bfe_u32 v115, v114, 21, 1
	v_cmp_eq_u32_e64 s7, v103, v116
	s_delay_alu instid0(VALU_DEP_2) | instskip(NEXT) | instid1(VALU_DEP_1)
	v_add_nc_u32_e32 v113, -1, v115
	v_cndmask_b32_e64 v103, 0, v113, s7
	v_lshrrev_b32_e32 v113, 23, v114
	s_mov_b32 s7, exec_lo
	s_delay_alu instid0(VALU_DEP_2) | instskip(NEXT) | instid1(VALU_DEP_2)
	v_add_nc_u32_e32 v103, v103, v114
	v_xor_b32_e32 v113, 1, v113
	s_delay_alu instid0(VALU_DEP_2) | instskip(NEXT) | instid1(VALU_DEP_1)
	v_and_b32_e32 v101, 0x1fffff, v103
	v_add_nc_u32_e32 v103, v101, v114
                                        ; implicit-def: $vgpr101
	s_delay_alu instid0(VALU_DEP_3)
	v_cmpx_ne_u32_e64 v112, v113
	s_xor_b32 s7, exec_lo, s7
; %bb.2170:                             ;   in Loop: Header=BB2_2111 Depth=2
	s_delay_alu instid0(VALU_DEP_2) | instskip(SKIP_2) | instid1(VALU_DEP_2)
	v_cmp_lt_u32_e32 vcc_lo, 0xffffff, v103
	v_sub_nc_u32_e32 v101, v112, v113
	v_cndmask_b32_e64 v112, 0, 1, vcc_lo
	v_add_co_ci_u32_e32 v101, vcc_lo, 0, v101, vcc_lo
	s_delay_alu instid0(VALU_DEP_2)
	v_lshrrev_b32_e32 v103, v112, v103
; %bb.2171:                             ;   in Loop: Header=BB2_2111 Depth=2
	s_and_not1_saveexec_b32 s7, s7
; %bb.2172:                             ;   in Loop: Header=BB2_2111 Depth=2
	s_delay_alu instid0(VALU_DEP_1)
	v_bfe_u32 v101, v103, 23, 1
; %bb.2173:                             ;   in Loop: Header=BB2_2111 Depth=2
	s_or_b32 exec_lo, exec_lo, s7
	v_lshrrev_b32_e32 v103, 21, v103
	s_delay_alu instid0(VALU_DEP_2) | instskip(SKIP_2) | instid1(VALU_DEP_2)
	v_cmp_gt_i32_e32 vcc_lo, 32, v101
	v_lshrrev_b32_e32 v102, 24, v102
	v_min_i32_e32 v112, 31, v101
	v_dual_cndmask_b32 v103, 3, v103 :: v_dual_and_b32 v102, 0x80, v102
	s_delay_alu instid0(VALU_DEP_1) | instskip(SKIP_1) | instid1(VALU_DEP_2)
	v_or_b32_e32 v101, v101, v103
	v_and_b32_e32 v113, 3, v103
	v_cmp_ne_u32_e32 vcc_lo, 0, v101
	v_lshlrev_b32_e32 v112, 2, v112
	s_delay_alu instid0(VALU_DEP_1) | instskip(NEXT) | instid1(VALU_DEP_1)
	v_or3_b32 v102, v112, v102, v113
	v_cndmask_b32_e32 v101, 0, v102, vcc_lo
.LBB2_2174:                             ;   in Loop: Header=BB2_2111 Depth=2
	s_or_b32 exec_lo, exec_lo, s24
.LBB2_2175:                             ;   in Loop: Header=BB2_2111 Depth=2
	s_delay_alu instid0(SALU_CYCLE_1) | instskip(SKIP_3) | instid1(VALU_DEP_1)
	s_or_b32 exec_lo, exec_lo, s23
	v_and_b32_e32 v103, 0xff, v100
	s_mov_b32 s7, 0
	s_mov_b32 s24, exec_lo
                                        ; implicit-def: $sgpr23
	v_cmpx_lt_i16_e32 0x7f, v103
	s_xor_b32 s24, exec_lo, s24
	s_cbranch_execnz .LBB2_2269
; %bb.2176:                             ;   in Loop: Header=BB2_2111 Depth=2
	s_or_saveexec_b32 s24, s24
	v_mov_b32_e32 v102, s23
	s_xor_b32 exec_lo, exec_lo, s24
	s_cbranch_execnz .LBB2_2272
.LBB2_2177:                             ;   in Loop: Header=BB2_2111 Depth=2
	s_or_b32 exec_lo, exec_lo, s24
	s_and_saveexec_b32 s23, s7
	s_cbranch_execz .LBB2_2179
.LBB2_2178:                             ;   in Loop: Header=BB2_2111 Depth=2
	v_lshrrev_b16 v113, 2, v100
	s_delay_alu instid0(VALU_DEP_1) | instskip(NEXT) | instid1(VALU_DEP_1)
	v_and_b32_e32 v113, 31, v113
	v_cmp_eq_u32_e32 vcc_lo, 0, v113
	v_and_b32_e32 v102, 3, v100
	s_delay_alu instid0(VALU_DEP_1) | instskip(NEXT) | instid1(VALU_DEP_1)
	v_clz_i32_u32_e32 v103, v102
	v_min_u32_e32 v103, 32, v103
	s_delay_alu instid0(VALU_DEP_1) | instskip(SKIP_1) | instid1(VALU_DEP_1)
	v_subrev_nc_u32_e32 v112, 29, v103
	v_sub_nc_u32_e32 v103, 30, v103
	v_dual_cndmask_b32 v103, v113, v103 :: v_dual_lshlrev_b32 v112, v112, v100
	v_lshlrev_b32_e32 v100, 24, v100
	s_delay_alu instid0(VALU_DEP_2) | instskip(NEXT) | instid1(VALU_DEP_3)
	v_and_b32_e32 v112, 3, v112
	v_lshl_add_u32 v103, v103, 23, 0x37800000
	s_delay_alu instid0(VALU_DEP_3) | instskip(NEXT) | instid1(VALU_DEP_3)
	v_and_b32_e32 v100, 0x80000000, v100
	v_cndmask_b32_e32 v102, v102, v112, vcc_lo
	s_delay_alu instid0(VALU_DEP_1) | instskip(NEXT) | instid1(VALU_DEP_1)
	v_lshlrev_b32_e32 v102, 21, v102
	v_or3_b32 v102, v100, v103, v102
.LBB2_2179:                             ;   in Loop: Header=BB2_2111 Depth=2
	s_or_b32 exec_lo, exec_lo, s23
	s_waitcnt vmcnt(3) lgkmcnt(3)
	v_and_b32_e32 v103, 0xff, v99
	s_mov_b32 s7, 0
	s_mov_b32 s24, exec_lo
                                        ; implicit-def: $sgpr23
	s_delay_alu instid0(VALU_DEP_1)
	v_cmpx_lt_i16_e32 0x7f, v103
	s_xor_b32 s24, exec_lo, s24
	s_cbranch_execnz .LBB2_2273
; %bb.2180:                             ;   in Loop: Header=BB2_2111 Depth=2
	s_or_saveexec_b32 s24, s24
	v_mov_b32_e32 v100, s23
	s_xor_b32 exec_lo, exec_lo, s24
	s_cbranch_execnz .LBB2_2276
.LBB2_2181:                             ;   in Loop: Header=BB2_2111 Depth=2
	s_or_b32 exec_lo, exec_lo, s24
	s_and_saveexec_b32 s23, s7
	s_cbranch_execz .LBB2_2183
.LBB2_2182:                             ;   in Loop: Header=BB2_2111 Depth=2
	v_and_b32_e32 v100, 3, v99
	v_lshrrev_b16 v113, 2, v99
	s_delay_alu instid0(VALU_DEP_2) | instskip(NEXT) | instid1(VALU_DEP_1)
	v_clz_i32_u32_e32 v103, v100
	v_min_u32_e32 v103, 32, v103
	s_delay_alu instid0(VALU_DEP_1) | instskip(SKIP_1) | instid1(VALU_DEP_2)
	v_subrev_nc_u32_e32 v112, 29, v103
	v_sub_nc_u32_e32 v103, 30, v103
	v_lshlrev_b32_e32 v112, v112, v99
	v_lshlrev_b32_e32 v99, 24, v99
	s_delay_alu instid0(VALU_DEP_2) | instskip(SKIP_1) | instid1(VALU_DEP_3)
	v_and_b32_e32 v112, 3, v112
	v_and_b32_e32 v113, 31, v113
	;; [unrolled: 1-line block ×3, first 2 shown]
	s_delay_alu instid0(VALU_DEP_2) | instskip(NEXT) | instid1(VALU_DEP_4)
	v_cmp_eq_u32_e32 vcc_lo, 0, v113
	v_dual_cndmask_b32 v100, v100, v112 :: v_dual_cndmask_b32 v103, v113, v103
	s_delay_alu instid0(VALU_DEP_1) | instskip(NEXT) | instid1(VALU_DEP_2)
	v_lshlrev_b32_e32 v100, 21, v100
	v_lshl_add_u32 v103, v103, 23, 0x37800000
	s_delay_alu instid0(VALU_DEP_1)
	v_or3_b32 v100, v99, v103, v100
.LBB2_2183:                             ;   in Loop: Header=BB2_2111 Depth=2
	s_or_b32 exec_lo, exec_lo, s23
	s_delay_alu instid0(VALU_DEP_1) | instskip(NEXT) | instid1(VALU_DEP_1)
	v_mul_f32_e32 v100, v102, v100
	v_and_b32_e32 v99, 0x7f800000, v100
	s_delay_alu instid0(VALU_DEP_1)
	v_cmp_ne_u32_e32 vcc_lo, 0x7f800000, v99
	v_mov_b32_e32 v99, 0x80
	s_and_saveexec_b32 s23, vcc_lo
	s_cbranch_execz .LBB2_2191
; %bb.2184:                             ;   in Loop: Header=BB2_2111 Depth=2
	v_mov_b32_e32 v99, 0
	s_mov_b32 s24, exec_lo
	v_cmpx_ne_u32_e32 0, v100
	s_cbranch_execz .LBB2_2190
; %bb.2185:                             ;   in Loop: Header=BB2_2111 Depth=2
	v_bfe_u32 v99, v100, 23, 8
	s_delay_alu instid0(VALU_DEP_1) | instskip(SKIP_1) | instid1(VALU_DEP_2)
	v_sub_nc_u32_e32 v103, 0x70, v99
	v_cmp_gt_u32_e32 vcc_lo, 0x71, v99
	v_dual_cndmask_b32 v103, 0, v103 :: v_dual_and_b32 v102, 0x7fffff, v100
	s_delay_alu instid0(VALU_DEP_1) | instskip(SKIP_2) | instid1(VALU_DEP_4)
	v_or_b32_e32 v112, 0x800000, v102
	v_cmp_eq_u32_e32 vcc_lo, 0, v99
	v_add_nc_u32_e32 v99, 0xffffff91, v99
	v_cndmask_b32_e64 v103, v103, 0x6f, vcc_lo
	s_delay_alu instid0(VALU_DEP_4) | instskip(NEXT) | instid1(VALU_DEP_3)
	v_cndmask_b32_e32 v102, v112, v102, vcc_lo
	v_cndmask_b32_e64 v99, v99, 0xffffff92, vcc_lo
	s_delay_alu instid0(VALU_DEP_3) | instskip(NEXT) | instid1(VALU_DEP_3)
	v_lshl_add_u32 v112, 0x200000, v103, -1
	v_lshrrev_b32_e32 v113, v103, v102
	v_lshlrev_b32_e64 v115, v103, 0x100000
	s_delay_alu instid0(VALU_DEP_4) | instskip(NEXT) | instid1(VALU_DEP_4)
	v_add_nc_u32_e32 v103, v103, v99
	v_and_b32_e32 v102, v112, v102
	s_delay_alu instid0(VALU_DEP_4) | instskip(NEXT) | instid1(VALU_DEP_2)
	v_bfe_u32 v114, v113, 21, 1
	v_cmp_eq_u32_e64 s7, v102, v115
	s_delay_alu instid0(VALU_DEP_2) | instskip(NEXT) | instid1(VALU_DEP_1)
	v_add_nc_u32_e32 v112, -1, v114
	v_cndmask_b32_e64 v102, 0, v112, s7
	v_lshrrev_b32_e32 v112, 23, v113
	s_mov_b32 s7, exec_lo
	s_delay_alu instid0(VALU_DEP_2) | instskip(NEXT) | instid1(VALU_DEP_2)
	v_add_nc_u32_e32 v102, v102, v113
	v_xor_b32_e32 v112, 1, v112
	s_delay_alu instid0(VALU_DEP_2) | instskip(NEXT) | instid1(VALU_DEP_1)
	v_and_b32_e32 v99, 0x1fffff, v102
	v_add_nc_u32_e32 v102, v99, v113
                                        ; implicit-def: $vgpr99
	s_delay_alu instid0(VALU_DEP_3)
	v_cmpx_ne_u32_e64 v103, v112
	s_xor_b32 s7, exec_lo, s7
; %bb.2186:                             ;   in Loop: Header=BB2_2111 Depth=2
	s_delay_alu instid0(VALU_DEP_2) | instskip(SKIP_2) | instid1(VALU_DEP_2)
	v_cmp_lt_u32_e32 vcc_lo, 0xffffff, v102
	v_sub_nc_u32_e32 v99, v103, v112
	v_cndmask_b32_e64 v103, 0, 1, vcc_lo
	v_add_co_ci_u32_e32 v99, vcc_lo, 0, v99, vcc_lo
	s_delay_alu instid0(VALU_DEP_2)
	v_lshrrev_b32_e32 v102, v103, v102
; %bb.2187:                             ;   in Loop: Header=BB2_2111 Depth=2
	s_and_not1_saveexec_b32 s7, s7
; %bb.2188:                             ;   in Loop: Header=BB2_2111 Depth=2
	s_delay_alu instid0(VALU_DEP_1)
	v_bfe_u32 v99, v102, 23, 1
; %bb.2189:                             ;   in Loop: Header=BB2_2111 Depth=2
	s_or_b32 exec_lo, exec_lo, s7
	v_lshrrev_b32_e32 v102, 21, v102
	s_delay_alu instid0(VALU_DEP_2) | instskip(SKIP_2) | instid1(VALU_DEP_2)
	v_cmp_gt_i32_e32 vcc_lo, 32, v99
	v_min_i32_e32 v103, 31, v99
	v_lshrrev_b32_e32 v100, 24, v100
	v_dual_cndmask_b32 v102, 3, v102 :: v_dual_lshlrev_b32 v103, 2, v103
	s_delay_alu instid0(VALU_DEP_2) | instskip(NEXT) | instid1(VALU_DEP_2)
	v_and_b32_e32 v100, 0x80, v100
	v_or_b32_e32 v99, v99, v102
	s_delay_alu instid0(VALU_DEP_1) | instskip(SKIP_1) | instid1(VALU_DEP_1)
	v_cmp_ne_u32_e32 vcc_lo, 0, v99
	v_and_b32_e32 v112, 3, v102
	v_or3_b32 v100, v103, v100, v112
	s_delay_alu instid0(VALU_DEP_1)
	v_cndmask_b32_e32 v99, 0, v100, vcc_lo
.LBB2_2190:                             ;   in Loop: Header=BB2_2111 Depth=2
	s_or_b32 exec_lo, exec_lo, s24
.LBB2_2191:                             ;   in Loop: Header=BB2_2111 Depth=2
	s_delay_alu instid0(SALU_CYCLE_1) | instskip(SKIP_3) | instid1(VALU_DEP_1)
	s_or_b32 exec_lo, exec_lo, s23
	v_and_b32_e32 v102, 0xff, v97
	s_mov_b32 s7, 0
	s_mov_b32 s24, exec_lo
                                        ; implicit-def: $sgpr23
	v_cmpx_lt_i16_e32 0x7f, v102
	s_xor_b32 s24, exec_lo, s24
	s_cbranch_execnz .LBB2_2277
; %bb.2192:                             ;   in Loop: Header=BB2_2111 Depth=2
	s_or_saveexec_b32 s24, s24
	v_mov_b32_e32 v100, s23
	s_xor_b32 exec_lo, exec_lo, s24
	s_cbranch_execnz .LBB2_2280
.LBB2_2193:                             ;   in Loop: Header=BB2_2111 Depth=2
	s_or_b32 exec_lo, exec_lo, s24
	s_and_saveexec_b32 s23, s7
	s_cbranch_execz .LBB2_2195
.LBB2_2194:                             ;   in Loop: Header=BB2_2111 Depth=2
	v_and_b32_e32 v100, 3, v97
	v_lshrrev_b16 v112, 2, v97
	s_delay_alu instid0(VALU_DEP_2) | instskip(NEXT) | instid1(VALU_DEP_2)
	v_clz_i32_u32_e32 v102, v100
	v_and_b32_e32 v112, 31, v112
	s_delay_alu instid0(VALU_DEP_2) | instskip(NEXT) | instid1(VALU_DEP_2)
	v_min_u32_e32 v102, 32, v102
	v_cmp_eq_u32_e32 vcc_lo, 0, v112
	s_delay_alu instid0(VALU_DEP_2) | instskip(SKIP_1) | instid1(VALU_DEP_1)
	v_subrev_nc_u32_e32 v103, 29, v102
	v_sub_nc_u32_e32 v102, 30, v102
	v_dual_cndmask_b32 v102, v112, v102 :: v_dual_lshlrev_b32 v103, v103, v97
	s_delay_alu instid0(VALU_DEP_1) | instskip(SKIP_1) | instid1(VALU_DEP_3)
	v_and_b32_e32 v103, 3, v103
	v_lshlrev_b32_e32 v97, 24, v97
	v_lshl_add_u32 v102, v102, 23, 0x37800000
	s_delay_alu instid0(VALU_DEP_2) | instskip(NEXT) | instid1(VALU_DEP_1)
	v_dual_cndmask_b32 v100, v100, v103 :: v_dual_and_b32 v97, 0x80000000, v97
	v_lshlrev_b32_e32 v100, 21, v100
	s_delay_alu instid0(VALU_DEP_1)
	v_or3_b32 v100, v97, v102, v100
.LBB2_2195:                             ;   in Loop: Header=BB2_2111 Depth=2
	s_or_b32 exec_lo, exec_lo, s23
	s_waitcnt vmcnt(2) lgkmcnt(2)
	v_and_b32_e32 v102, 0xff, v96
	s_mov_b32 s7, 0
	s_mov_b32 s24, exec_lo
                                        ; implicit-def: $sgpr23
	s_delay_alu instid0(VALU_DEP_1)
	v_cmpx_lt_i16_e32 0x7f, v102
	s_xor_b32 s24, exec_lo, s24
	s_cbranch_execnz .LBB2_2281
; %bb.2196:                             ;   in Loop: Header=BB2_2111 Depth=2
	s_or_saveexec_b32 s24, s24
	v_mov_b32_e32 v97, s23
	s_xor_b32 exec_lo, exec_lo, s24
	s_cbranch_execnz .LBB2_2284
.LBB2_2197:                             ;   in Loop: Header=BB2_2111 Depth=2
	s_or_b32 exec_lo, exec_lo, s24
	s_and_saveexec_b32 s23, s7
	s_cbranch_execz .LBB2_2199
.LBB2_2198:                             ;   in Loop: Header=BB2_2111 Depth=2
	v_lshrrev_b16 v112, 2, v96
	s_delay_alu instid0(VALU_DEP_1) | instskip(NEXT) | instid1(VALU_DEP_1)
	v_and_b32_e32 v112, 31, v112
	v_cmp_eq_u32_e32 vcc_lo, 0, v112
	v_and_b32_e32 v97, 3, v96
	s_delay_alu instid0(VALU_DEP_1) | instskip(NEXT) | instid1(VALU_DEP_1)
	v_clz_i32_u32_e32 v102, v97
	v_min_u32_e32 v102, 32, v102
	s_delay_alu instid0(VALU_DEP_1) | instskip(SKIP_1) | instid1(VALU_DEP_1)
	v_subrev_nc_u32_e32 v103, 29, v102
	v_sub_nc_u32_e32 v102, 30, v102
	v_dual_cndmask_b32 v102, v112, v102 :: v_dual_lshlrev_b32 v103, v103, v96
	v_lshlrev_b32_e32 v96, 24, v96
	s_delay_alu instid0(VALU_DEP_2) | instskip(NEXT) | instid1(VALU_DEP_3)
	v_and_b32_e32 v103, 3, v103
	v_lshl_add_u32 v102, v102, 23, 0x37800000
	s_delay_alu instid0(VALU_DEP_2) | instskip(NEXT) | instid1(VALU_DEP_1)
	v_dual_cndmask_b32 v97, v97, v103 :: v_dual_and_b32 v96, 0x80000000, v96
	v_lshlrev_b32_e32 v97, 21, v97
	s_delay_alu instid0(VALU_DEP_1)
	v_or3_b32 v97, v96, v102, v97
.LBB2_2199:                             ;   in Loop: Header=BB2_2111 Depth=2
	s_or_b32 exec_lo, exec_lo, s23
	s_delay_alu instid0(VALU_DEP_1) | instskip(NEXT) | instid1(VALU_DEP_1)
	v_mul_f32_e32 v97, v100, v97
	v_and_b32_e32 v96, 0x7f800000, v97
	s_delay_alu instid0(VALU_DEP_1)
	v_cmp_ne_u32_e32 vcc_lo, 0x7f800000, v96
	v_mov_b32_e32 v96, 0x80
	s_and_saveexec_b32 s23, vcc_lo
	s_cbranch_execz .LBB2_2207
; %bb.2200:                             ;   in Loop: Header=BB2_2111 Depth=2
	v_mov_b32_e32 v96, 0
	s_mov_b32 s24, exec_lo
	v_cmpx_ne_u32_e32 0, v97
	s_cbranch_execz .LBB2_2206
; %bb.2201:                             ;   in Loop: Header=BB2_2111 Depth=2
	v_bfe_u32 v96, v97, 23, 8
	v_and_b32_e32 v100, 0x7fffff, v97
	s_delay_alu instid0(VALU_DEP_2) | instskip(SKIP_1) | instid1(VALU_DEP_3)
	v_sub_nc_u32_e32 v102, 0x70, v96
	v_cmp_gt_u32_e32 vcc_lo, 0x71, v96
	v_or_b32_e32 v103, 0x800000, v100
	s_delay_alu instid0(VALU_DEP_3) | instskip(SKIP_2) | instid1(VALU_DEP_3)
	v_cndmask_b32_e32 v102, 0, v102, vcc_lo
	v_cmp_eq_u32_e32 vcc_lo, 0, v96
	v_add_nc_u32_e32 v96, 0xffffff91, v96
	v_cndmask_b32_e64 v102, v102, 0x6f, vcc_lo
	v_cndmask_b32_e32 v100, v103, v100, vcc_lo
	s_delay_alu instid0(VALU_DEP_3) | instskip(NEXT) | instid1(VALU_DEP_3)
	v_cndmask_b32_e64 v96, v96, 0xffffff92, vcc_lo
	v_lshl_add_u32 v103, 0x200000, v102, -1
	s_delay_alu instid0(VALU_DEP_3) | instskip(SKIP_1) | instid1(VALU_DEP_4)
	v_lshrrev_b32_e32 v112, v102, v100
	v_lshlrev_b32_e64 v114, v102, 0x100000
	v_add_nc_u32_e32 v102, v102, v96
	s_delay_alu instid0(VALU_DEP_4) | instskip(NEXT) | instid1(VALU_DEP_4)
	v_and_b32_e32 v100, v103, v100
	v_bfe_u32 v113, v112, 21, 1
	s_delay_alu instid0(VALU_DEP_2) | instskip(NEXT) | instid1(VALU_DEP_2)
	v_cmp_eq_u32_e64 s7, v100, v114
	v_add_nc_u32_e32 v103, -1, v113
	s_delay_alu instid0(VALU_DEP_1) | instskip(SKIP_2) | instid1(VALU_DEP_2)
	v_cndmask_b32_e64 v100, 0, v103, s7
	v_lshrrev_b32_e32 v103, 23, v112
	s_mov_b32 s7, exec_lo
	v_add_nc_u32_e32 v100, v100, v112
	s_delay_alu instid0(VALU_DEP_2) | instskip(NEXT) | instid1(VALU_DEP_2)
	v_xor_b32_e32 v103, 1, v103
	v_and_b32_e32 v96, 0x1fffff, v100
	s_delay_alu instid0(VALU_DEP_1) | instskip(NEXT) | instid1(VALU_DEP_3)
	v_add_nc_u32_e32 v100, v96, v112
                                        ; implicit-def: $vgpr96
	v_cmpx_ne_u32_e64 v102, v103
	s_xor_b32 s7, exec_lo, s7
; %bb.2202:                             ;   in Loop: Header=BB2_2111 Depth=2
	s_delay_alu instid0(VALU_DEP_2) | instskip(SKIP_2) | instid1(VALU_DEP_2)
	v_cmp_lt_u32_e32 vcc_lo, 0xffffff, v100
	v_sub_nc_u32_e32 v96, v102, v103
	v_cndmask_b32_e64 v102, 0, 1, vcc_lo
	v_add_co_ci_u32_e32 v96, vcc_lo, 0, v96, vcc_lo
	s_delay_alu instid0(VALU_DEP_2)
	v_lshrrev_b32_e32 v100, v102, v100
; %bb.2203:                             ;   in Loop: Header=BB2_2111 Depth=2
	s_and_not1_saveexec_b32 s7, s7
; %bb.2204:                             ;   in Loop: Header=BB2_2111 Depth=2
	s_delay_alu instid0(VALU_DEP_1)
	v_bfe_u32 v96, v100, 23, 1
; %bb.2205:                             ;   in Loop: Header=BB2_2111 Depth=2
	s_or_b32 exec_lo, exec_lo, s7
	v_lshrrev_b32_e32 v100, 21, v100
	s_delay_alu instid0(VALU_DEP_2) | instskip(SKIP_2) | instid1(VALU_DEP_2)
	v_cmp_gt_i32_e32 vcc_lo, 32, v96
	v_lshrrev_b32_e32 v97, 24, v97
	v_min_i32_e32 v102, 31, v96
	v_dual_cndmask_b32 v100, 3, v100 :: v_dual_and_b32 v97, 0x80, v97
	s_delay_alu instid0(VALU_DEP_2) | instskip(NEXT) | instid1(VALU_DEP_2)
	v_lshlrev_b32_e32 v102, 2, v102
	v_or_b32_e32 v96, v96, v100
	s_delay_alu instid0(VALU_DEP_1) | instskip(SKIP_1) | instid1(VALU_DEP_1)
	v_cmp_ne_u32_e32 vcc_lo, 0, v96
	v_and_b32_e32 v103, 3, v100
	v_or3_b32 v97, v102, v97, v103
	s_delay_alu instid0(VALU_DEP_1)
	v_cndmask_b32_e32 v96, 0, v97, vcc_lo
.LBB2_2206:                             ;   in Loop: Header=BB2_2111 Depth=2
	s_or_b32 exec_lo, exec_lo, s24
.LBB2_2207:                             ;   in Loop: Header=BB2_2111 Depth=2
	s_delay_alu instid0(SALU_CYCLE_1) | instskip(SKIP_3) | instid1(VALU_DEP_1)
	s_or_b32 exec_lo, exec_lo, s23
	v_and_b32_e32 v100, 0xff, v53
	s_mov_b32 s7, 0
	s_mov_b32 s24, exec_lo
                                        ; implicit-def: $sgpr23
	v_cmpx_lt_i16_e32 0x7f, v100
	s_xor_b32 s24, exec_lo, s24
	s_cbranch_execnz .LBB2_2285
; %bb.2208:                             ;   in Loop: Header=BB2_2111 Depth=2
	s_or_saveexec_b32 s24, s24
	v_mov_b32_e32 v97, s23
	s_xor_b32 exec_lo, exec_lo, s24
	s_cbranch_execnz .LBB2_2288
.LBB2_2209:                             ;   in Loop: Header=BB2_2111 Depth=2
	s_or_b32 exec_lo, exec_lo, s24
	s_and_saveexec_b32 s23, s7
	s_cbranch_execz .LBB2_2211
.LBB2_2210:                             ;   in Loop: Header=BB2_2111 Depth=2
	v_lshrrev_b16 v103, 2, v53
	s_delay_alu instid0(VALU_DEP_1) | instskip(NEXT) | instid1(VALU_DEP_1)
	v_and_b32_e32 v103, 31, v103
	v_cmp_eq_u32_e32 vcc_lo, 0, v103
	v_and_b32_e32 v97, 3, v53
	s_delay_alu instid0(VALU_DEP_1) | instskip(NEXT) | instid1(VALU_DEP_1)
	v_clz_i32_u32_e32 v100, v97
	v_min_u32_e32 v100, 32, v100
	s_delay_alu instid0(VALU_DEP_1) | instskip(SKIP_1) | instid1(VALU_DEP_2)
	v_subrev_nc_u32_e32 v102, 29, v100
	v_sub_nc_u32_e32 v100, 30, v100
	v_lshlrev_b32_e32 v102, v102, v53
	s_delay_alu instid0(VALU_DEP_2) | instskip(NEXT) | instid1(VALU_DEP_2)
	v_dual_cndmask_b32 v100, v103, v100 :: v_dual_lshlrev_b32 v53, 24, v53
	v_and_b32_e32 v102, 3, v102
	s_delay_alu instid0(VALU_DEP_2) | instskip(NEXT) | instid1(VALU_DEP_3)
	v_lshl_add_u32 v100, v100, 23, 0x37800000
	v_and_b32_e32 v53, 0x80000000, v53
	s_delay_alu instid0(VALU_DEP_3) | instskip(NEXT) | instid1(VALU_DEP_1)
	v_cndmask_b32_e32 v97, v97, v102, vcc_lo
	v_lshlrev_b32_e32 v97, 21, v97
	s_delay_alu instid0(VALU_DEP_1)
	v_or3_b32 v97, v53, v100, v97
.LBB2_2211:                             ;   in Loop: Header=BB2_2111 Depth=2
	s_or_b32 exec_lo, exec_lo, s23
	s_waitcnt vmcnt(1) lgkmcnt(1)
	v_and_b32_e32 v100, 0xff, v52
	s_mov_b32 s7, 0
	s_mov_b32 s24, exec_lo
                                        ; implicit-def: $sgpr23
	s_delay_alu instid0(VALU_DEP_1)
	v_cmpx_lt_i16_e32 0x7f, v100
	s_xor_b32 s24, exec_lo, s24
	s_cbranch_execnz .LBB2_2289
; %bb.2212:                             ;   in Loop: Header=BB2_2111 Depth=2
	s_or_saveexec_b32 s24, s24
	v_mov_b32_e32 v53, s23
	s_xor_b32 exec_lo, exec_lo, s24
	s_cbranch_execnz .LBB2_2292
.LBB2_2213:                             ;   in Loop: Header=BB2_2111 Depth=2
	s_or_b32 exec_lo, exec_lo, s24
	s_and_saveexec_b32 s23, s7
	s_cbranch_execz .LBB2_2215
.LBB2_2214:                             ;   in Loop: Header=BB2_2111 Depth=2
	v_and_b32_e32 v53, 3, v52
	v_lshrrev_b16 v103, 2, v52
	s_delay_alu instid0(VALU_DEP_2) | instskip(NEXT) | instid1(VALU_DEP_2)
	v_clz_i32_u32_e32 v100, v53
	v_and_b32_e32 v103, 31, v103
	s_delay_alu instid0(VALU_DEP_2) | instskip(NEXT) | instid1(VALU_DEP_2)
	v_min_u32_e32 v100, 32, v100
	v_cmp_eq_u32_e32 vcc_lo, 0, v103
	s_delay_alu instid0(VALU_DEP_2) | instskip(SKIP_1) | instid1(VALU_DEP_2)
	v_subrev_nc_u32_e32 v102, 29, v100
	v_sub_nc_u32_e32 v100, 30, v100
	v_lshlrev_b32_e32 v102, v102, v52
	s_delay_alu instid0(VALU_DEP_1) | instskip(NEXT) | instid1(VALU_DEP_1)
	v_and_b32_e32 v102, 3, v102
	v_dual_cndmask_b32 v53, v53, v102 :: v_dual_lshlrev_b32 v52, 24, v52
	s_delay_alu instid0(VALU_DEP_4) | instskip(NEXT) | instid1(VALU_DEP_2)
	v_cndmask_b32_e32 v100, v103, v100, vcc_lo
	v_and_b32_e32 v52, 0x80000000, v52
	s_delay_alu instid0(VALU_DEP_3) | instskip(NEXT) | instid1(VALU_DEP_3)
	v_lshlrev_b32_e32 v53, 21, v53
	v_lshl_add_u32 v100, v100, 23, 0x37800000
	s_delay_alu instid0(VALU_DEP_1)
	v_or3_b32 v53, v52, v100, v53
.LBB2_2215:                             ;   in Loop: Header=BB2_2111 Depth=2
	s_or_b32 exec_lo, exec_lo, s23
	s_delay_alu instid0(VALU_DEP_1) | instskip(NEXT) | instid1(VALU_DEP_1)
	v_mul_f32_e32 v53, v97, v53
	v_and_b32_e32 v52, 0x7f800000, v53
	s_delay_alu instid0(VALU_DEP_1)
	v_cmp_ne_u32_e32 vcc_lo, 0x7f800000, v52
	v_mov_b32_e32 v52, 0x80
	s_and_saveexec_b32 s23, vcc_lo
	s_cbranch_execz .LBB2_2223
; %bb.2216:                             ;   in Loop: Header=BB2_2111 Depth=2
	v_mov_b32_e32 v52, 0
	s_mov_b32 s24, exec_lo
	v_cmpx_ne_u32_e32 0, v53
	s_cbranch_execz .LBB2_2222
; %bb.2217:                             ;   in Loop: Header=BB2_2111 Depth=2
	v_bfe_u32 v52, v53, 23, 8
	s_delay_alu instid0(VALU_DEP_1) | instskip(SKIP_1) | instid1(VALU_DEP_2)
	v_sub_nc_u32_e32 v100, 0x70, v52
	v_cmp_gt_u32_e32 vcc_lo, 0x71, v52
	v_dual_cndmask_b32 v100, 0, v100 :: v_dual_and_b32 v97, 0x7fffff, v53
	s_delay_alu instid0(VALU_DEP_1) | instskip(SKIP_2) | instid1(VALU_DEP_4)
	v_or_b32_e32 v102, 0x800000, v97
	v_cmp_eq_u32_e32 vcc_lo, 0, v52
	v_add_nc_u32_e32 v52, 0xffffff91, v52
	v_cndmask_b32_e64 v100, v100, 0x6f, vcc_lo
	s_delay_alu instid0(VALU_DEP_4) | instskip(NEXT) | instid1(VALU_DEP_3)
	v_cndmask_b32_e32 v97, v102, v97, vcc_lo
	v_cndmask_b32_e64 v52, v52, 0xffffff92, vcc_lo
	s_delay_alu instid0(VALU_DEP_3) | instskip(NEXT) | instid1(VALU_DEP_3)
	v_lshl_add_u32 v102, 0x200000, v100, -1
	v_lshrrev_b32_e32 v103, v100, v97
	v_lshlrev_b32_e64 v113, v100, 0x100000
	s_delay_alu instid0(VALU_DEP_4) | instskip(NEXT) | instid1(VALU_DEP_4)
	v_add_nc_u32_e32 v100, v100, v52
	v_and_b32_e32 v97, v102, v97
	s_delay_alu instid0(VALU_DEP_4) | instskip(NEXT) | instid1(VALU_DEP_2)
	v_bfe_u32 v112, v103, 21, 1
	v_cmp_eq_u32_e64 s7, v97, v113
	s_delay_alu instid0(VALU_DEP_2) | instskip(NEXT) | instid1(VALU_DEP_1)
	v_add_nc_u32_e32 v102, -1, v112
	v_cndmask_b32_e64 v97, 0, v102, s7
	v_lshrrev_b32_e32 v102, 23, v103
	s_mov_b32 s7, exec_lo
	s_delay_alu instid0(VALU_DEP_2) | instskip(NEXT) | instid1(VALU_DEP_2)
	v_add_nc_u32_e32 v97, v97, v103
	v_xor_b32_e32 v102, 1, v102
	s_delay_alu instid0(VALU_DEP_2) | instskip(NEXT) | instid1(VALU_DEP_1)
	v_and_b32_e32 v52, 0x1fffff, v97
	v_add_nc_u32_e32 v97, v52, v103
                                        ; implicit-def: $vgpr52
	s_delay_alu instid0(VALU_DEP_3)
	v_cmpx_ne_u32_e64 v100, v102
	s_xor_b32 s7, exec_lo, s7
; %bb.2218:                             ;   in Loop: Header=BB2_2111 Depth=2
	s_delay_alu instid0(VALU_DEP_2) | instskip(SKIP_2) | instid1(VALU_DEP_2)
	v_cmp_lt_u32_e32 vcc_lo, 0xffffff, v97
	v_sub_nc_u32_e32 v52, v100, v102
	v_cndmask_b32_e64 v100, 0, 1, vcc_lo
	v_add_co_ci_u32_e32 v52, vcc_lo, 0, v52, vcc_lo
	s_delay_alu instid0(VALU_DEP_2)
	v_lshrrev_b32_e32 v97, v100, v97
; %bb.2219:                             ;   in Loop: Header=BB2_2111 Depth=2
	s_and_not1_saveexec_b32 s7, s7
; %bb.2220:                             ;   in Loop: Header=BB2_2111 Depth=2
	s_delay_alu instid0(VALU_DEP_1)
	v_bfe_u32 v52, v97, 23, 1
; %bb.2221:                             ;   in Loop: Header=BB2_2111 Depth=2
	s_or_b32 exec_lo, exec_lo, s7
	v_lshrrev_b32_e32 v97, 21, v97
	s_delay_alu instid0(VALU_DEP_2) | instskip(SKIP_2) | instid1(VALU_DEP_4)
	v_cmp_gt_i32_e32 vcc_lo, 32, v52
	v_lshrrev_b32_e32 v53, 24, v53
	v_min_i32_e32 v100, 31, v52
	v_cndmask_b32_e32 v97, 3, v97, vcc_lo
	s_delay_alu instid0(VALU_DEP_3) | instskip(NEXT) | instid1(VALU_DEP_3)
	v_and_b32_e32 v53, 0x80, v53
	v_lshlrev_b32_e32 v100, 2, v100
	s_delay_alu instid0(VALU_DEP_3) | instskip(SKIP_1) | instid1(VALU_DEP_2)
	v_and_b32_e32 v102, 3, v97
	v_or_b32_e32 v52, v52, v97
	v_or3_b32 v53, v100, v53, v102
	s_delay_alu instid0(VALU_DEP_2) | instskip(NEXT) | instid1(VALU_DEP_2)
	v_cmp_ne_u32_e32 vcc_lo, 0, v52
	v_cndmask_b32_e32 v52, 0, v53, vcc_lo
.LBB2_2222:                             ;   in Loop: Header=BB2_2111 Depth=2
	s_or_b32 exec_lo, exec_lo, s24
.LBB2_2223:                             ;   in Loop: Header=BB2_2111 Depth=2
	s_delay_alu instid0(SALU_CYCLE_1) | instskip(SKIP_3) | instid1(VALU_DEP_1)
	s_or_b32 exec_lo, exec_lo, s23
	v_and_b32_e32 v97, 0xff, v50
	s_mov_b32 s7, 0
	s_mov_b32 s24, exec_lo
                                        ; implicit-def: $sgpr23
	v_cmpx_lt_i16_e32 0x7f, v97
	s_xor_b32 s24, exec_lo, s24
	s_cbranch_execnz .LBB2_2293
; %bb.2224:                             ;   in Loop: Header=BB2_2111 Depth=2
	s_or_saveexec_b32 s24, s24
	v_mov_b32_e32 v53, s23
	s_xor_b32 exec_lo, exec_lo, s24
	s_cbranch_execnz .LBB2_2296
.LBB2_2225:                             ;   in Loop: Header=BB2_2111 Depth=2
	s_or_b32 exec_lo, exec_lo, s24
	s_and_saveexec_b32 s23, s7
	s_cbranch_execz .LBB2_2227
.LBB2_2226:                             ;   in Loop: Header=BB2_2111 Depth=2
	v_and_b32_e32 v53, 3, v50
	v_lshrrev_b16 v102, 2, v50
	s_delay_alu instid0(VALU_DEP_2) | instskip(NEXT) | instid1(VALU_DEP_2)
	v_clz_i32_u32_e32 v97, v53
	v_and_b32_e32 v102, 31, v102
	s_delay_alu instid0(VALU_DEP_2) | instskip(NEXT) | instid1(VALU_DEP_2)
	v_min_u32_e32 v97, 32, v97
	v_cmp_eq_u32_e32 vcc_lo, 0, v102
	s_delay_alu instid0(VALU_DEP_2) | instskip(SKIP_1) | instid1(VALU_DEP_1)
	v_subrev_nc_u32_e32 v100, 29, v97
	v_sub_nc_u32_e32 v97, 30, v97
	v_dual_cndmask_b32 v97, v102, v97 :: v_dual_lshlrev_b32 v100, v100, v50
	v_lshlrev_b32_e32 v50, 24, v50
	s_delay_alu instid0(VALU_DEP_2) | instskip(NEXT) | instid1(VALU_DEP_3)
	v_and_b32_e32 v100, 3, v100
	v_lshl_add_u32 v97, v97, 23, 0x37800000
	s_delay_alu instid0(VALU_DEP_2) | instskip(NEXT) | instid1(VALU_DEP_1)
	v_dual_cndmask_b32 v53, v53, v100 :: v_dual_and_b32 v50, 0x80000000, v50
	v_lshlrev_b32_e32 v53, 21, v53
	s_delay_alu instid0(VALU_DEP_1)
	v_or3_b32 v53, v50, v97, v53
.LBB2_2227:                             ;   in Loop: Header=BB2_2111 Depth=2
	s_or_b32 exec_lo, exec_lo, s23
	s_waitcnt vmcnt(0) lgkmcnt(0)
	v_and_b32_e32 v97, 0xff, v49
	s_mov_b32 s7, 0
	s_mov_b32 s24, exec_lo
                                        ; implicit-def: $sgpr23
	s_delay_alu instid0(VALU_DEP_1)
	v_cmpx_lt_i16_e32 0x7f, v97
	s_xor_b32 s24, exec_lo, s24
	s_cbranch_execnz .LBB2_2297
; %bb.2228:                             ;   in Loop: Header=BB2_2111 Depth=2
	s_or_saveexec_b32 s24, s24
	v_mov_b32_e32 v50, s23
	s_xor_b32 exec_lo, exec_lo, s24
	s_cbranch_execnz .LBB2_2300
.LBB2_2229:                             ;   in Loop: Header=BB2_2111 Depth=2
	s_or_b32 exec_lo, exec_lo, s24
	s_and_saveexec_b32 s23, s7
	s_cbranch_execz .LBB2_2231
.LBB2_2230:                             ;   in Loop: Header=BB2_2111 Depth=2
	v_and_b32_e32 v50, 3, v49
	v_lshrrev_b16 v102, 2, v49
	s_delay_alu instid0(VALU_DEP_2) | instskip(NEXT) | instid1(VALU_DEP_2)
	v_clz_i32_u32_e32 v97, v50
	v_and_b32_e32 v102, 31, v102
	s_delay_alu instid0(VALU_DEP_2) | instskip(NEXT) | instid1(VALU_DEP_2)
	v_min_u32_e32 v97, 32, v97
	v_cmp_eq_u32_e32 vcc_lo, 0, v102
	s_delay_alu instid0(VALU_DEP_2) | instskip(SKIP_1) | instid1(VALU_DEP_2)
	v_subrev_nc_u32_e32 v100, 29, v97
	v_sub_nc_u32_e32 v97, 30, v97
	v_lshlrev_b32_e32 v100, v100, v49
	s_delay_alu instid0(VALU_DEP_1) | instskip(SKIP_1) | instid1(VALU_DEP_2)
	v_dual_cndmask_b32 v97, v102, v97 :: v_dual_and_b32 v100, 3, v100
	v_lshlrev_b32_e32 v49, 24, v49
	v_lshl_add_u32 v97, v97, 23, 0x37800000
	s_delay_alu instid0(VALU_DEP_2) | instskip(NEXT) | instid1(VALU_DEP_1)
	v_dual_cndmask_b32 v50, v50, v100 :: v_dual_and_b32 v49, 0x80000000, v49
	v_lshlrev_b32_e32 v50, 21, v50
	s_delay_alu instid0(VALU_DEP_1)
	v_or3_b32 v50, v49, v97, v50
.LBB2_2231:                             ;   in Loop: Header=BB2_2111 Depth=2
	s_or_b32 exec_lo, exec_lo, s23
	s_delay_alu instid0(VALU_DEP_1) | instskip(NEXT) | instid1(VALU_DEP_1)
	v_mul_f32_e32 v49, v53, v50
	v_and_b32_e32 v50, 0x7f800000, v49
	s_delay_alu instid0(VALU_DEP_1)
	v_cmp_ne_u32_e32 vcc_lo, 0x7f800000, v50
	v_mov_b32_e32 v50, 0x80
	s_and_saveexec_b32 s23, vcc_lo
	s_cbranch_execz .LBB2_2110
; %bb.2232:                             ;   in Loop: Header=BB2_2111 Depth=2
	v_mov_b32_e32 v50, 0
	s_mov_b32 s24, exec_lo
	v_cmpx_ne_u32_e32 0, v49
	s_cbranch_execz .LBB2_2109
; %bb.2233:                             ;   in Loop: Header=BB2_2111 Depth=2
	v_bfe_u32 v50, v49, 23, 8
	v_and_b32_e32 v53, 0x7fffff, v49
	s_delay_alu instid0(VALU_DEP_2) | instskip(SKIP_1) | instid1(VALU_DEP_3)
	v_sub_nc_u32_e32 v97, 0x70, v50
	v_cmp_gt_u32_e32 vcc_lo, 0x71, v50
	v_or_b32_e32 v100, 0x800000, v53
	s_delay_alu instid0(VALU_DEP_3) | instskip(SKIP_2) | instid1(VALU_DEP_3)
	v_cndmask_b32_e32 v97, 0, v97, vcc_lo
	v_cmp_eq_u32_e32 vcc_lo, 0, v50
	v_add_nc_u32_e32 v50, 0xffffff91, v50
	v_cndmask_b32_e64 v97, v97, 0x6f, vcc_lo
	v_cndmask_b32_e32 v53, v100, v53, vcc_lo
	s_delay_alu instid0(VALU_DEP_3) | instskip(NEXT) | instid1(VALU_DEP_3)
	v_cndmask_b32_e64 v50, v50, 0xffffff92, vcc_lo
	v_lshl_add_u32 v100, 0x200000, v97, -1
	s_delay_alu instid0(VALU_DEP_3) | instskip(SKIP_1) | instid1(VALU_DEP_4)
	v_lshrrev_b32_e32 v102, v97, v53
	v_lshlrev_b32_e64 v112, v97, 0x100000
	v_add_nc_u32_e32 v97, v97, v50
	s_delay_alu instid0(VALU_DEP_4) | instskip(NEXT) | instid1(VALU_DEP_4)
	v_and_b32_e32 v53, v100, v53
	v_bfe_u32 v103, v102, 21, 1
	s_delay_alu instid0(VALU_DEP_2) | instskip(NEXT) | instid1(VALU_DEP_2)
	v_cmp_eq_u32_e64 s7, v53, v112
	v_add_nc_u32_e32 v100, -1, v103
	s_delay_alu instid0(VALU_DEP_1) | instskip(SKIP_2) | instid1(VALU_DEP_2)
	v_cndmask_b32_e64 v53, 0, v100, s7
	v_lshrrev_b32_e32 v100, 23, v102
	s_mov_b32 s7, exec_lo
	v_add_nc_u32_e32 v53, v53, v102
	s_delay_alu instid0(VALU_DEP_2) | instskip(NEXT) | instid1(VALU_DEP_2)
	v_xor_b32_e32 v100, 1, v100
	v_and_b32_e32 v50, 0x1fffff, v53
	s_delay_alu instid0(VALU_DEP_1) | instskip(NEXT) | instid1(VALU_DEP_3)
	v_add_nc_u32_e32 v53, v50, v102
                                        ; implicit-def: $vgpr50
	v_cmpx_ne_u32_e64 v97, v100
	s_xor_b32 s7, exec_lo, s7
; %bb.2234:                             ;   in Loop: Header=BB2_2111 Depth=2
	s_delay_alu instid0(VALU_DEP_2) | instskip(SKIP_2) | instid1(VALU_DEP_2)
	v_cmp_lt_u32_e32 vcc_lo, 0xffffff, v53
	v_sub_nc_u32_e32 v50, v97, v100
	v_cndmask_b32_e64 v97, 0, 1, vcc_lo
	v_add_co_ci_u32_e32 v50, vcc_lo, 0, v50, vcc_lo
	s_delay_alu instid0(VALU_DEP_2)
	v_lshrrev_b32_e32 v53, v97, v53
; %bb.2235:                             ;   in Loop: Header=BB2_2111 Depth=2
	s_and_not1_saveexec_b32 s7, s7
	s_cbranch_execz .LBB2_2108
; %bb.2236:                             ;   in Loop: Header=BB2_2111 Depth=2
	s_delay_alu instid0(VALU_DEP_1)
	v_bfe_u32 v50, v53, 23, 1
	s_branch .LBB2_2108
.LBB2_2237:                             ;   in Loop: Header=BB2_2111 Depth=2
	s_mov_b32 s7, -1
	s_mov_b32 s25, exec_lo
                                        ; implicit-def: $sgpr23
	v_cmpx_eq_u16_e32 0x80, v114
; %bb.2238:                             ;   in Loop: Header=BB2_2111 Depth=2
	s_mov_b32 s23, 0x7f800001
	s_xor_b32 s7, exec_lo, -1
; %bb.2239:                             ;   in Loop: Header=BB2_2111 Depth=2
	s_or_b32 exec_lo, exec_lo, s25
	s_delay_alu instid0(SALU_CYCLE_1)
	s_and_b32 s7, s7, exec_lo
	s_or_saveexec_b32 s24, s24
	v_mov_b32_e32 v113, s23
	s_xor_b32 exec_lo, exec_lo, s24
	s_cbranch_execz .LBB2_2113
.LBB2_2240:                             ;   in Loop: Header=BB2_2111 Depth=2
	v_cmp_ne_u16_e32 vcc_lo, 0, v114
	v_mov_b32_e32 v113, 0
	s_and_not1_b32 s7, s7, exec_lo
	s_and_b32 s23, vcc_lo, exec_lo
	s_delay_alu instid0(SALU_CYCLE_1)
	s_or_b32 s7, s7, s23
	s_or_b32 exec_lo, exec_lo, s24
	s_and_saveexec_b32 s23, s7
	s_cbranch_execnz .LBB2_2114
	s_branch .LBB2_2115
.LBB2_2241:                             ;   in Loop: Header=BB2_2111 Depth=2
	s_mov_b32 s7, -1
	s_mov_b32 s25, exec_lo
                                        ; implicit-def: $sgpr23
	v_cmpx_eq_u16_e32 0x80, v115
; %bb.2242:                             ;   in Loop: Header=BB2_2111 Depth=2
	s_mov_b32 s23, 0x7f800001
	s_xor_b32 s7, exec_lo, -1
; %bb.2243:                             ;   in Loop: Header=BB2_2111 Depth=2
	s_or_b32 exec_lo, exec_lo, s25
	s_delay_alu instid0(SALU_CYCLE_1)
	s_and_b32 s7, s7, exec_lo
                                        ; implicit-def: $vgpr115
	s_or_saveexec_b32 s24, s24
	v_mov_b32_e32 v114, s23
	s_xor_b32 exec_lo, exec_lo, s24
	s_cbranch_execz .LBB2_2117
.LBB2_2244:                             ;   in Loop: Header=BB2_2111 Depth=2
	v_cmp_ne_u16_e32 vcc_lo, 0, v115
	v_mov_b32_e32 v114, 0
	s_and_not1_b32 s7, s7, exec_lo
	s_and_b32 s23, vcc_lo, exec_lo
	s_delay_alu instid0(SALU_CYCLE_1)
	s_or_b32 s7, s7, s23
	s_or_b32 exec_lo, exec_lo, s24
	s_and_saveexec_b32 s23, s7
	s_cbranch_execnz .LBB2_2118
	s_branch .LBB2_2119
.LBB2_2245:                             ;   in Loop: Header=BB2_2111 Depth=2
	s_mov_b32 s7, -1
	s_mov_b32 s25, exec_lo
                                        ; implicit-def: $sgpr23
	v_cmpx_eq_u16_e32 0x80, v114
; %bb.2246:                             ;   in Loop: Header=BB2_2111 Depth=2
	s_mov_b32 s23, 0x7f800001
	s_xor_b32 s7, exec_lo, -1
; %bb.2247:                             ;   in Loop: Header=BB2_2111 Depth=2
	s_or_b32 exec_lo, exec_lo, s25
	s_delay_alu instid0(SALU_CYCLE_1)
	s_and_b32 s7, s7, exec_lo
                                        ; implicit-def: $vgpr114
	s_or_saveexec_b32 s24, s24
	v_mov_b32_e32 v113, s23
	s_xor_b32 exec_lo, exec_lo, s24
	s_cbranch_execz .LBB2_2129
.LBB2_2248:                             ;   in Loop: Header=BB2_2111 Depth=2
	v_cmp_ne_u16_e32 vcc_lo, 0, v114
	v_mov_b32_e32 v113, 0
	s_and_not1_b32 s7, s7, exec_lo
	s_and_b32 s23, vcc_lo, exec_lo
	s_delay_alu instid0(SALU_CYCLE_1)
	s_or_b32 s7, s7, s23
	s_or_b32 exec_lo, exec_lo, s24
	s_and_saveexec_b32 s23, s7
	s_cbranch_execnz .LBB2_2130
	s_branch .LBB2_2131
.LBB2_2249:                             ;   in Loop: Header=BB2_2111 Depth=2
	s_mov_b32 s7, -1
	s_mov_b32 s25, exec_lo
                                        ; implicit-def: $sgpr23
	v_cmpx_eq_u16_e32 0x80, v114
; %bb.2250:                             ;   in Loop: Header=BB2_2111 Depth=2
	s_mov_b32 s23, 0x7f800001
	s_xor_b32 s7, exec_lo, -1
; %bb.2251:                             ;   in Loop: Header=BB2_2111 Depth=2
	s_or_b32 exec_lo, exec_lo, s25
	s_delay_alu instid0(SALU_CYCLE_1)
	s_and_b32 s7, s7, exec_lo
                                        ; implicit-def: $vgpr114
	s_or_saveexec_b32 s24, s24
	v_mov_b32_e32 v112, s23
	s_xor_b32 exec_lo, exec_lo, s24
	s_cbranch_execz .LBB2_2133
.LBB2_2252:                             ;   in Loop: Header=BB2_2111 Depth=2
	v_cmp_ne_u16_e32 vcc_lo, 0, v114
	v_mov_b32_e32 v112, 0
	s_and_not1_b32 s7, s7, exec_lo
	s_and_b32 s23, vcc_lo, exec_lo
	s_delay_alu instid0(SALU_CYCLE_1)
	s_or_b32 s7, s7, s23
	s_or_b32 exec_lo, exec_lo, s24
	s_and_saveexec_b32 s23, s7
	s_cbranch_execnz .LBB2_2134
	s_branch .LBB2_2135
.LBB2_2253:                             ;   in Loop: Header=BB2_2111 Depth=2
	s_mov_b32 s7, -1
	s_mov_b32 s25, exec_lo
                                        ; implicit-def: $sgpr23
	v_cmpx_eq_u16_e32 0x80, v113
; %bb.2254:                             ;   in Loop: Header=BB2_2111 Depth=2
	s_mov_b32 s23, 0x7f800001
	s_xor_b32 s7, exec_lo, -1
; %bb.2255:                             ;   in Loop: Header=BB2_2111 Depth=2
	s_or_b32 exec_lo, exec_lo, s25
	s_delay_alu instid0(SALU_CYCLE_1)
	s_and_b32 s7, s7, exec_lo
                                        ; implicit-def: $vgpr113
	s_or_saveexec_b32 s24, s24
	v_mov_b32_e32 v112, s23
	s_xor_b32 exec_lo, exec_lo, s24
	s_cbranch_execz .LBB2_2145
.LBB2_2256:                             ;   in Loop: Header=BB2_2111 Depth=2
	v_cmp_ne_u16_e32 vcc_lo, 0, v113
	v_mov_b32_e32 v112, 0
	s_and_not1_b32 s7, s7, exec_lo
	s_and_b32 s23, vcc_lo, exec_lo
	s_delay_alu instid0(SALU_CYCLE_1)
	s_or_b32 s7, s7, s23
	s_or_b32 exec_lo, exec_lo, s24
	s_and_saveexec_b32 s23, s7
	s_cbranch_execnz .LBB2_2146
	s_branch .LBB2_2147
.LBB2_2257:                             ;   in Loop: Header=BB2_2111 Depth=2
	s_mov_b32 s7, -1
	s_mov_b32 s25, exec_lo
                                        ; implicit-def: $sgpr23
	v_cmpx_eq_u16_e32 0x80, v113
; %bb.2258:                             ;   in Loop: Header=BB2_2111 Depth=2
	s_mov_b32 s23, 0x7f800001
	s_xor_b32 s7, exec_lo, -1
; %bb.2259:                             ;   in Loop: Header=BB2_2111 Depth=2
	s_or_b32 exec_lo, exec_lo, s25
	s_delay_alu instid0(SALU_CYCLE_1)
	s_and_b32 s7, s7, exec_lo
                                        ; implicit-def: $vgpr113
	s_or_saveexec_b32 s24, s24
	v_mov_b32_e32 v103, s23
	s_xor_b32 exec_lo, exec_lo, s24
	s_cbranch_execz .LBB2_2149
.LBB2_2260:                             ;   in Loop: Header=BB2_2111 Depth=2
	v_cmp_ne_u16_e32 vcc_lo, 0, v113
	v_mov_b32_e32 v103, 0
	s_and_not1_b32 s7, s7, exec_lo
	s_and_b32 s23, vcc_lo, exec_lo
	s_delay_alu instid0(SALU_CYCLE_1)
	s_or_b32 s7, s7, s23
	s_or_b32 exec_lo, exec_lo, s24
	s_and_saveexec_b32 s23, s7
	s_cbranch_execnz .LBB2_2150
	s_branch .LBB2_2151
.LBB2_2261:                             ;   in Loop: Header=BB2_2111 Depth=2
	s_mov_b32 s7, -1
	s_mov_b32 s25, exec_lo
                                        ; implicit-def: $sgpr23
	v_cmpx_eq_u16_e32 0x80, v112
; %bb.2262:                             ;   in Loop: Header=BB2_2111 Depth=2
	s_mov_b32 s23, 0x7f800001
	s_xor_b32 s7, exec_lo, -1
; %bb.2263:                             ;   in Loop: Header=BB2_2111 Depth=2
	s_or_b32 exec_lo, exec_lo, s25
	s_delay_alu instid0(SALU_CYCLE_1)
	s_and_b32 s7, s7, exec_lo
                                        ; implicit-def: $vgpr112
	s_or_saveexec_b32 s24, s24
	v_mov_b32_e32 v103, s23
	s_xor_b32 exec_lo, exec_lo, s24
	s_cbranch_execz .LBB2_2161
.LBB2_2264:                             ;   in Loop: Header=BB2_2111 Depth=2
	v_cmp_ne_u16_e32 vcc_lo, 0, v112
	v_mov_b32_e32 v103, 0
	s_and_not1_b32 s7, s7, exec_lo
	s_and_b32 s23, vcc_lo, exec_lo
	s_delay_alu instid0(SALU_CYCLE_1)
	s_or_b32 s7, s7, s23
	s_or_b32 exec_lo, exec_lo, s24
	s_and_saveexec_b32 s23, s7
	s_cbranch_execnz .LBB2_2162
	s_branch .LBB2_2163
.LBB2_2265:                             ;   in Loop: Header=BB2_2111 Depth=2
	s_mov_b32 s7, -1
	s_mov_b32 s25, exec_lo
                                        ; implicit-def: $sgpr23
	v_cmpx_eq_u16_e32 0x80, v112
; %bb.2266:                             ;   in Loop: Header=BB2_2111 Depth=2
	s_mov_b32 s23, 0x7f800001
	s_xor_b32 s7, exec_lo, -1
; %bb.2267:                             ;   in Loop: Header=BB2_2111 Depth=2
	s_or_b32 exec_lo, exec_lo, s25
	s_delay_alu instid0(SALU_CYCLE_1)
	s_and_b32 s7, s7, exec_lo
                                        ; implicit-def: $vgpr112
	s_or_saveexec_b32 s24, s24
	v_mov_b32_e32 v102, s23
	s_xor_b32 exec_lo, exec_lo, s24
	s_cbranch_execz .LBB2_2165
.LBB2_2268:                             ;   in Loop: Header=BB2_2111 Depth=2
	v_cmp_ne_u16_e32 vcc_lo, 0, v112
	v_mov_b32_e32 v102, 0
	s_and_not1_b32 s7, s7, exec_lo
	s_and_b32 s23, vcc_lo, exec_lo
	s_delay_alu instid0(SALU_CYCLE_1)
	s_or_b32 s7, s7, s23
	s_or_b32 exec_lo, exec_lo, s24
	s_and_saveexec_b32 s23, s7
	s_cbranch_execnz .LBB2_2166
	s_branch .LBB2_2167
.LBB2_2269:                             ;   in Loop: Header=BB2_2111 Depth=2
	s_mov_b32 s7, -1
	s_mov_b32 s25, exec_lo
                                        ; implicit-def: $sgpr23
	v_cmpx_eq_u16_e32 0x80, v103
; %bb.2270:                             ;   in Loop: Header=BB2_2111 Depth=2
	s_mov_b32 s23, 0x7f800001
	s_xor_b32 s7, exec_lo, -1
; %bb.2271:                             ;   in Loop: Header=BB2_2111 Depth=2
	s_or_b32 exec_lo, exec_lo, s25
	s_delay_alu instid0(SALU_CYCLE_1)
	s_and_b32 s7, s7, exec_lo
                                        ; implicit-def: $vgpr103
	s_or_saveexec_b32 s24, s24
	v_mov_b32_e32 v102, s23
	s_xor_b32 exec_lo, exec_lo, s24
	s_cbranch_execz .LBB2_2177
.LBB2_2272:                             ;   in Loop: Header=BB2_2111 Depth=2
	v_cmp_ne_u16_e32 vcc_lo, 0, v103
	v_mov_b32_e32 v102, 0
	s_and_not1_b32 s7, s7, exec_lo
	s_and_b32 s23, vcc_lo, exec_lo
	s_delay_alu instid0(SALU_CYCLE_1)
	s_or_b32 s7, s7, s23
	s_or_b32 exec_lo, exec_lo, s24
	s_and_saveexec_b32 s23, s7
	s_cbranch_execnz .LBB2_2178
	s_branch .LBB2_2179
.LBB2_2273:                             ;   in Loop: Header=BB2_2111 Depth=2
	s_mov_b32 s7, -1
	s_mov_b32 s25, exec_lo
                                        ; implicit-def: $sgpr23
	v_cmpx_eq_u16_e32 0x80, v103
; %bb.2274:                             ;   in Loop: Header=BB2_2111 Depth=2
	s_mov_b32 s23, 0x7f800001
	s_xor_b32 s7, exec_lo, -1
; %bb.2275:                             ;   in Loop: Header=BB2_2111 Depth=2
	s_or_b32 exec_lo, exec_lo, s25
	s_delay_alu instid0(SALU_CYCLE_1)
	s_and_b32 s7, s7, exec_lo
                                        ; implicit-def: $vgpr103
	s_or_saveexec_b32 s24, s24
	v_mov_b32_e32 v100, s23
	s_xor_b32 exec_lo, exec_lo, s24
	s_cbranch_execz .LBB2_2181
.LBB2_2276:                             ;   in Loop: Header=BB2_2111 Depth=2
	v_cmp_ne_u16_e32 vcc_lo, 0, v103
	v_mov_b32_e32 v100, 0
	s_and_not1_b32 s7, s7, exec_lo
	s_and_b32 s23, vcc_lo, exec_lo
	s_delay_alu instid0(SALU_CYCLE_1)
	s_or_b32 s7, s7, s23
	s_or_b32 exec_lo, exec_lo, s24
	s_and_saveexec_b32 s23, s7
	s_cbranch_execnz .LBB2_2182
	s_branch .LBB2_2183
.LBB2_2277:                             ;   in Loop: Header=BB2_2111 Depth=2
	s_mov_b32 s7, -1
	s_mov_b32 s25, exec_lo
                                        ; implicit-def: $sgpr23
	v_cmpx_eq_u16_e32 0x80, v102
; %bb.2278:                             ;   in Loop: Header=BB2_2111 Depth=2
	s_mov_b32 s23, 0x7f800001
	s_xor_b32 s7, exec_lo, -1
; %bb.2279:                             ;   in Loop: Header=BB2_2111 Depth=2
	s_or_b32 exec_lo, exec_lo, s25
	s_delay_alu instid0(SALU_CYCLE_1)
	s_and_b32 s7, s7, exec_lo
                                        ; implicit-def: $vgpr102
	s_or_saveexec_b32 s24, s24
	v_mov_b32_e32 v100, s23
	s_xor_b32 exec_lo, exec_lo, s24
	s_cbranch_execz .LBB2_2193
.LBB2_2280:                             ;   in Loop: Header=BB2_2111 Depth=2
	v_cmp_ne_u16_e32 vcc_lo, 0, v102
	v_mov_b32_e32 v100, 0
	s_and_not1_b32 s7, s7, exec_lo
	s_and_b32 s23, vcc_lo, exec_lo
	s_delay_alu instid0(SALU_CYCLE_1)
	s_or_b32 s7, s7, s23
	s_or_b32 exec_lo, exec_lo, s24
	s_and_saveexec_b32 s23, s7
	s_cbranch_execnz .LBB2_2194
	s_branch .LBB2_2195
.LBB2_2281:                             ;   in Loop: Header=BB2_2111 Depth=2
	s_mov_b32 s7, -1
	s_mov_b32 s25, exec_lo
                                        ; implicit-def: $sgpr23
	v_cmpx_eq_u16_e32 0x80, v102
; %bb.2282:                             ;   in Loop: Header=BB2_2111 Depth=2
	s_mov_b32 s23, 0x7f800001
	s_xor_b32 s7, exec_lo, -1
; %bb.2283:                             ;   in Loop: Header=BB2_2111 Depth=2
	s_or_b32 exec_lo, exec_lo, s25
	s_delay_alu instid0(SALU_CYCLE_1)
	s_and_b32 s7, s7, exec_lo
                                        ; implicit-def: $vgpr102
	s_or_saveexec_b32 s24, s24
	v_mov_b32_e32 v97, s23
	s_xor_b32 exec_lo, exec_lo, s24
	s_cbranch_execz .LBB2_2197
.LBB2_2284:                             ;   in Loop: Header=BB2_2111 Depth=2
	v_cmp_ne_u16_e32 vcc_lo, 0, v102
	v_mov_b32_e32 v97, 0
	s_and_not1_b32 s7, s7, exec_lo
	s_and_b32 s23, vcc_lo, exec_lo
	s_delay_alu instid0(SALU_CYCLE_1)
	s_or_b32 s7, s7, s23
	s_or_b32 exec_lo, exec_lo, s24
	s_and_saveexec_b32 s23, s7
	s_cbranch_execnz .LBB2_2198
	s_branch .LBB2_2199
.LBB2_2285:                             ;   in Loop: Header=BB2_2111 Depth=2
	s_mov_b32 s7, -1
	s_mov_b32 s25, exec_lo
                                        ; implicit-def: $sgpr23
	v_cmpx_eq_u16_e32 0x80, v100
; %bb.2286:                             ;   in Loop: Header=BB2_2111 Depth=2
	s_mov_b32 s23, 0x7f800001
	s_xor_b32 s7, exec_lo, -1
; %bb.2287:                             ;   in Loop: Header=BB2_2111 Depth=2
	s_or_b32 exec_lo, exec_lo, s25
	s_delay_alu instid0(SALU_CYCLE_1)
	s_and_b32 s7, s7, exec_lo
                                        ; implicit-def: $vgpr100
	s_or_saveexec_b32 s24, s24
	v_mov_b32_e32 v97, s23
	s_xor_b32 exec_lo, exec_lo, s24
	s_cbranch_execz .LBB2_2209
.LBB2_2288:                             ;   in Loop: Header=BB2_2111 Depth=2
	v_cmp_ne_u16_e32 vcc_lo, 0, v100
	v_mov_b32_e32 v97, 0
	s_and_not1_b32 s7, s7, exec_lo
	s_and_b32 s23, vcc_lo, exec_lo
	s_delay_alu instid0(SALU_CYCLE_1)
	s_or_b32 s7, s7, s23
	s_or_b32 exec_lo, exec_lo, s24
	s_and_saveexec_b32 s23, s7
	s_cbranch_execnz .LBB2_2210
	s_branch .LBB2_2211
.LBB2_2289:                             ;   in Loop: Header=BB2_2111 Depth=2
	s_mov_b32 s7, -1
	s_mov_b32 s25, exec_lo
                                        ; implicit-def: $sgpr23
	v_cmpx_eq_u16_e32 0x80, v100
; %bb.2290:                             ;   in Loop: Header=BB2_2111 Depth=2
	s_mov_b32 s23, 0x7f800001
	s_xor_b32 s7, exec_lo, -1
; %bb.2291:                             ;   in Loop: Header=BB2_2111 Depth=2
	s_or_b32 exec_lo, exec_lo, s25
	s_delay_alu instid0(SALU_CYCLE_1)
	s_and_b32 s7, s7, exec_lo
                                        ; implicit-def: $vgpr100
	s_or_saveexec_b32 s24, s24
	v_mov_b32_e32 v53, s23
	s_xor_b32 exec_lo, exec_lo, s24
	s_cbranch_execz .LBB2_2213
.LBB2_2292:                             ;   in Loop: Header=BB2_2111 Depth=2
	v_cmp_ne_u16_e32 vcc_lo, 0, v100
	v_mov_b32_e32 v53, 0
	s_and_not1_b32 s7, s7, exec_lo
	s_and_b32 s23, vcc_lo, exec_lo
	s_delay_alu instid0(SALU_CYCLE_1)
	s_or_b32 s7, s7, s23
	s_or_b32 exec_lo, exec_lo, s24
	s_and_saveexec_b32 s23, s7
	s_cbranch_execnz .LBB2_2214
	s_branch .LBB2_2215
.LBB2_2293:                             ;   in Loop: Header=BB2_2111 Depth=2
	s_mov_b32 s7, -1
	s_mov_b32 s25, exec_lo
                                        ; implicit-def: $sgpr23
	v_cmpx_eq_u16_e32 0x80, v97
; %bb.2294:                             ;   in Loop: Header=BB2_2111 Depth=2
	s_mov_b32 s23, 0x7f800001
	s_xor_b32 s7, exec_lo, -1
; %bb.2295:                             ;   in Loop: Header=BB2_2111 Depth=2
	s_or_b32 exec_lo, exec_lo, s25
	s_delay_alu instid0(SALU_CYCLE_1)
	s_and_b32 s7, s7, exec_lo
                                        ; implicit-def: $vgpr97
	s_or_saveexec_b32 s24, s24
	v_mov_b32_e32 v53, s23
	s_xor_b32 exec_lo, exec_lo, s24
	s_cbranch_execz .LBB2_2225
.LBB2_2296:                             ;   in Loop: Header=BB2_2111 Depth=2
	v_cmp_ne_u16_e32 vcc_lo, 0, v97
	v_mov_b32_e32 v53, 0
	s_and_not1_b32 s7, s7, exec_lo
	s_and_b32 s23, vcc_lo, exec_lo
	s_delay_alu instid0(SALU_CYCLE_1)
	s_or_b32 s7, s7, s23
	s_or_b32 exec_lo, exec_lo, s24
	s_and_saveexec_b32 s23, s7
	s_cbranch_execnz .LBB2_2226
	s_branch .LBB2_2227
.LBB2_2297:                             ;   in Loop: Header=BB2_2111 Depth=2
	s_mov_b32 s7, -1
	s_mov_b32 s25, exec_lo
                                        ; implicit-def: $sgpr23
	v_cmpx_eq_u16_e32 0x80, v97
; %bb.2298:                             ;   in Loop: Header=BB2_2111 Depth=2
	s_mov_b32 s23, 0x7f800001
	s_xor_b32 s7, exec_lo, -1
; %bb.2299:                             ;   in Loop: Header=BB2_2111 Depth=2
	s_or_b32 exec_lo, exec_lo, s25
	s_delay_alu instid0(SALU_CYCLE_1)
	s_and_b32 s7, s7, exec_lo
                                        ; implicit-def: $vgpr97
	s_or_saveexec_b32 s24, s24
	v_mov_b32_e32 v50, s23
	s_xor_b32 exec_lo, exec_lo, s24
	s_cbranch_execz .LBB2_2229
.LBB2_2300:                             ;   in Loop: Header=BB2_2111 Depth=2
	v_cmp_ne_u16_e32 vcc_lo, 0, v97
	v_mov_b32_e32 v50, 0
	s_and_not1_b32 s7, s7, exec_lo
	s_and_b32 s23, vcc_lo, exec_lo
	s_delay_alu instid0(SALU_CYCLE_1)
	s_or_b32 s7, s7, s23
	s_or_b32 exec_lo, exec_lo, s24
	s_and_saveexec_b32 s23, s7
	s_cbranch_execnz .LBB2_2230
	s_branch .LBB2_2231
.LBB2_2301:                             ;   in Loop: Header=BB2_1243 Depth=1
	s_or_b32 exec_lo, exec_lo, s22
.LBB2_2302:                             ;   in Loop: Header=BB2_1243 Depth=1
	s_delay_alu instid0(SALU_CYCLE_1) | instskip(SKIP_1) | instid1(VALU_DEP_1)
	s_or_b32 exec_lo, exec_lo, s21
	v_and_b32_e32 v10, 0xffffff00, v86
	v_cmp_ne_u32_e32 vcc_lo, v86, v10
	s_and_b32 exec_lo, exec_lo, vcc_lo
	s_cbranch_execz .LBB2_2331
; %bb.2303:                             ;   in Loop: Header=BB2_1243 Depth=1
	v_lshlrev_b32_e32 v11, 5, v17
	v_lshlrev_b32_e32 v12, 5, v48
	s_delay_alu instid0(VALU_DEP_2) | instskip(NEXT) | instid1(VALU_DEP_1)
	v_sub_nc_u32_e32 v11, v16, v11
	v_sub_nc_u32_e32 v11, v11, v12
	v_and_b32_e32 v12, 0xff, v86
	s_delay_alu instid0(VALU_DEP_1) | instskip(NEXT) | instid1(VALU_DEP_1)
	v_sub_nc_u32_e32 v16, v12, v11
	v_cmp_lt_i32_e32 vcc_lo, 0, v16
	s_and_b32 exec_lo, exec_lo, vcc_lo
	s_cbranch_execz .LBB2_2331
; %bb.2304:                             ;   in Loop: Header=BB2_1243 Depth=1
	s_cbranch_execnz .LBB2_2861
; %bb.2305:                             ;   in Loop: Header=BB2_1243 Depth=1
	ds_load_b128 v[12:15], v0
	ds_load_b64 v[48:49], v0
	v_add3_u32 v17, v10, v85, v11
	s_mov_b32 s21, 0
	s_delay_alu instid0(VALU_DEP_1) | instskip(SKIP_2) | instid1(VALU_DEP_2)
	v_ashrrev_i32_e32 v50, 31, v17
	s_waitcnt lgkmcnt(1)
	v_add_co_u32 v10, vcc_lo, v12, v17
	v_add_co_ci_u32_e32 v11, vcc_lo, v13, v50, vcc_lo
	v_add_co_u32 v12, vcc_lo, v14, v17
	v_add_co_ci_u32_e32 v13, vcc_lo, v15, v50, vcc_lo
	s_waitcnt lgkmcnt(0)
	v_add_co_u32 v14, vcc_lo, v48, v17
	v_add_co_ci_u32_e32 v15, vcc_lo, v49, v50, vcc_lo
	s_branch .LBB2_2309
.LBB2_2306:                             ;   in Loop: Header=BB2_2309 Depth=2
	s_or_b32 exec_lo, exec_lo, s7
	s_delay_alu instid0(VALU_DEP_1) | instskip(NEXT) | instid1(VALU_DEP_2)
	v_lshrrev_b32_e32 v49, 21, v49
	v_cmp_gt_i32_e32 vcc_lo, 32, v48
	v_lshrrev_b32_e32 v17, 24, v17
	v_min_i32_e32 v50, 31, v48
	s_delay_alu instid0(VALU_DEP_4) | instskip(NEXT) | instid1(VALU_DEP_3)
	v_cndmask_b32_e32 v49, 3, v49, vcc_lo
	v_and_b32_e32 v17, 0x80, v17
	s_delay_alu instid0(VALU_DEP_3) | instskip(NEXT) | instid1(VALU_DEP_3)
	v_lshlrev_b32_e32 v50, 2, v50
	v_and_b32_e32 v51, 3, v49
	v_or_b32_e32 v48, v48, v49
	s_delay_alu instid0(VALU_DEP_2) | instskip(NEXT) | instid1(VALU_DEP_2)
	v_or3_b32 v17, v50, v17, v51
	v_cmp_ne_u32_e32 vcc_lo, 0, v48
	s_delay_alu instid0(VALU_DEP_2)
	v_cndmask_b32_e32 v48, 0, v17, vcc_lo
.LBB2_2307:                             ;   in Loop: Header=BB2_2309 Depth=2
	s_or_b32 exec_lo, exec_lo, s23
.LBB2_2308:                             ;   in Loop: Header=BB2_2309 Depth=2
	s_delay_alu instid0(SALU_CYCLE_1)
	s_or_b32 exec_lo, exec_lo, s22
	v_add_co_u32 v10, vcc_lo, v10, v80
	v_sub_nc_u32_e32 v16, v16, v80
	v_add_co_ci_u32_e32 v11, vcc_lo, v11, v83, vcc_lo
	v_add_co_u32 v12, vcc_lo, v12, v80
	v_add_co_ci_u32_e32 v13, vcc_lo, v13, v83, vcc_lo
	flat_store_b8 v[14:15], v48 glc slc dlc
	v_cmp_gt_i32_e32 vcc_lo, 1, v16
	v_add_co_u32 v14, s7, v14, v80
	s_delay_alu instid0(VALU_DEP_1) | instskip(SKIP_1) | instid1(SALU_CYCLE_1)
	v_add_co_ci_u32_e64 v15, s7, v15, v83, s7
	s_or_b32 s21, vcc_lo, s21
	s_and_not1_b32 exec_lo, exec_lo, s21
	s_cbranch_execz .LBB2_2331
.LBB2_2309:                             ;   Parent Loop BB2_1243 Depth=1
                                        ; =>  This Inner Loop Header: Depth=2
	flat_load_u8 v49, v[10:11] slc dlc
	flat_load_u8 v17, v[12:13] slc dlc
	s_mov_b32 s7, 0
	s_mov_b32 s23, exec_lo
                                        ; implicit-def: $sgpr22
	s_waitcnt vmcnt(1) lgkmcnt(1)
	v_cmpx_lt_i16_e32 0x7f, v49
	s_xor_b32 s23, exec_lo, s23
	s_cbranch_execnz .LBB2_2323
; %bb.2310:                             ;   in Loop: Header=BB2_2309 Depth=2
	s_or_saveexec_b32 s23, s23
	v_mov_b32_e32 v48, s22
	s_xor_b32 exec_lo, exec_lo, s23
	s_cbranch_execnz .LBB2_2326
.LBB2_2311:                             ;   in Loop: Header=BB2_2309 Depth=2
	s_or_b32 exec_lo, exec_lo, s23
	s_and_saveexec_b32 s22, s7
	s_cbranch_execz .LBB2_2313
.LBB2_2312:                             ;   in Loop: Header=BB2_2309 Depth=2
	v_and_b32_e32 v48, 0xffff, v49
	s_delay_alu instid0(VALU_DEP_1) | instskip(NEXT) | instid1(VALU_DEP_1)
	v_and_b32_e32 v50, 3, v48
	v_clz_i32_u32_e32 v51, v50
	s_delay_alu instid0(VALU_DEP_1) | instskip(NEXT) | instid1(VALU_DEP_1)
	v_min_u32_e32 v51, 32, v51
	v_subrev_nc_u32_e32 v52, 29, v51
	v_sub_nc_u32_e32 v51, 30, v51
	s_delay_alu instid0(VALU_DEP_2) | instskip(SKIP_1) | instid1(VALU_DEP_2)
	v_lshlrev_b32_e32 v52, v52, v48
	v_bfe_u32 v48, v48, 2, 5
	v_and_b32_e32 v52, 3, v52
	s_delay_alu instid0(VALU_DEP_2) | instskip(SKIP_1) | instid1(VALU_DEP_1)
	v_cmp_eq_u32_e32 vcc_lo, 0, v48
	v_dual_cndmask_b32 v48, v48, v51 :: v_dual_lshlrev_b32 v49, 24, v49
	v_dual_cndmask_b32 v50, v50, v52 :: v_dual_and_b32 v49, 0x80000000, v49
	s_delay_alu instid0(VALU_DEP_2) | instskip(NEXT) | instid1(VALU_DEP_2)
	v_lshl_add_u32 v48, v48, 23, 0x37800000
	v_lshlrev_b32_e32 v50, 21, v50
	s_delay_alu instid0(VALU_DEP_1)
	v_or3_b32 v48, v49, v48, v50
.LBB2_2313:                             ;   in Loop: Header=BB2_2309 Depth=2
	s_or_b32 exec_lo, exec_lo, s22
	s_waitcnt vmcnt(0) lgkmcnt(0)
	v_and_b32_e32 v50, 0xff, v17
	s_mov_b32 s7, 0
	s_mov_b32 s23, exec_lo
                                        ; implicit-def: $sgpr22
	s_delay_alu instid0(VALU_DEP_1)
	v_cmpx_lt_i16_e32 0x7f, v50
	s_xor_b32 s23, exec_lo, s23
	s_cbranch_execnz .LBB2_2327
; %bb.2314:                             ;   in Loop: Header=BB2_2309 Depth=2
	s_or_saveexec_b32 s23, s23
	v_mov_b32_e32 v49, s22
	s_xor_b32 exec_lo, exec_lo, s23
	s_cbranch_execnz .LBB2_2330
.LBB2_2315:                             ;   in Loop: Header=BB2_2309 Depth=2
	s_or_b32 exec_lo, exec_lo, s23
	s_and_saveexec_b32 s22, s7
	s_cbranch_execz .LBB2_2317
.LBB2_2316:                             ;   in Loop: Header=BB2_2309 Depth=2
	v_lshrrev_b16 v52, 2, v17
	s_delay_alu instid0(VALU_DEP_1) | instskip(NEXT) | instid1(VALU_DEP_1)
	v_and_b32_e32 v52, 31, v52
	v_cmp_eq_u32_e32 vcc_lo, 0, v52
	v_and_b32_e32 v49, 3, v17
	s_delay_alu instid0(VALU_DEP_1) | instskip(NEXT) | instid1(VALU_DEP_1)
	v_clz_i32_u32_e32 v50, v49
	v_min_u32_e32 v50, 32, v50
	s_delay_alu instid0(VALU_DEP_1) | instskip(SKIP_1) | instid1(VALU_DEP_1)
	v_subrev_nc_u32_e32 v51, 29, v50
	v_sub_nc_u32_e32 v50, 30, v50
	v_dual_cndmask_b32 v50, v52, v50 :: v_dual_lshlrev_b32 v51, v51, v17
	v_lshlrev_b32_e32 v17, 24, v17
	s_delay_alu instid0(VALU_DEP_2) | instskip(NEXT) | instid1(VALU_DEP_3)
	v_and_b32_e32 v51, 3, v51
	v_lshl_add_u32 v50, v50, 23, 0x37800000
	s_delay_alu instid0(VALU_DEP_3) | instskip(NEXT) | instid1(VALU_DEP_3)
	v_and_b32_e32 v17, 0x80000000, v17
	v_cndmask_b32_e32 v49, v49, v51, vcc_lo
	s_delay_alu instid0(VALU_DEP_1) | instskip(NEXT) | instid1(VALU_DEP_1)
	v_lshlrev_b32_e32 v49, 21, v49
	v_or3_b32 v49, v17, v50, v49
.LBB2_2317:                             ;   in Loop: Header=BB2_2309 Depth=2
	s_or_b32 exec_lo, exec_lo, s22
	s_delay_alu instid0(VALU_DEP_1) | instskip(NEXT) | instid1(VALU_DEP_1)
	v_mul_f32_e32 v17, v48, v49
	v_and_b32_e32 v48, 0x7f800000, v17
	s_delay_alu instid0(VALU_DEP_1)
	v_cmp_ne_u32_e32 vcc_lo, 0x7f800000, v48
	v_mov_b32_e32 v48, 0x80
	s_and_saveexec_b32 s22, vcc_lo
	s_cbranch_execz .LBB2_2308
; %bb.2318:                             ;   in Loop: Header=BB2_2309 Depth=2
	v_mov_b32_e32 v48, 0
	s_mov_b32 s23, exec_lo
	v_cmpx_ne_u32_e32 0, v17
	s_cbranch_execz .LBB2_2307
; %bb.2319:                             ;   in Loop: Header=BB2_2309 Depth=2
	v_bfe_u32 v48, v17, 23, 8
	s_delay_alu instid0(VALU_DEP_1) | instskip(SKIP_1) | instid1(VALU_DEP_2)
	v_sub_nc_u32_e32 v50, 0x70, v48
	v_cmp_gt_u32_e32 vcc_lo, 0x71, v48
	v_dual_cndmask_b32 v50, 0, v50 :: v_dual_and_b32 v49, 0x7fffff, v17
	s_delay_alu instid0(VALU_DEP_1) | instskip(SKIP_2) | instid1(VALU_DEP_4)
	v_or_b32_e32 v51, 0x800000, v49
	v_cmp_eq_u32_e32 vcc_lo, 0, v48
	v_add_nc_u32_e32 v48, 0xffffff91, v48
	v_cndmask_b32_e64 v50, v50, 0x6f, vcc_lo
	s_delay_alu instid0(VALU_DEP_4) | instskip(NEXT) | instid1(VALU_DEP_3)
	v_cndmask_b32_e32 v49, v51, v49, vcc_lo
	v_cndmask_b32_e64 v48, v48, 0xffffff92, vcc_lo
	s_delay_alu instid0(VALU_DEP_3) | instskip(NEXT) | instid1(VALU_DEP_3)
	v_lshl_add_u32 v51, 0x200000, v50, -1
	v_lshrrev_b32_e32 v52, v50, v49
	v_lshlrev_b32_e64 v85, v50, 0x100000
	s_delay_alu instid0(VALU_DEP_4) | instskip(NEXT) | instid1(VALU_DEP_4)
	v_add_nc_u32_e32 v50, v50, v48
	v_and_b32_e32 v49, v51, v49
	s_delay_alu instid0(VALU_DEP_4) | instskip(NEXT) | instid1(VALU_DEP_2)
	v_bfe_u32 v53, v52, 21, 1
	v_cmp_eq_u32_e64 s7, v49, v85
	s_delay_alu instid0(VALU_DEP_2) | instskip(NEXT) | instid1(VALU_DEP_1)
	v_add_nc_u32_e32 v51, -1, v53
	v_cndmask_b32_e64 v49, 0, v51, s7
	v_lshrrev_b32_e32 v51, 23, v52
	s_mov_b32 s7, exec_lo
	s_delay_alu instid0(VALU_DEP_2) | instskip(NEXT) | instid1(VALU_DEP_2)
	v_add_nc_u32_e32 v49, v49, v52
	v_xor_b32_e32 v51, 1, v51
	s_delay_alu instid0(VALU_DEP_2) | instskip(NEXT) | instid1(VALU_DEP_1)
	v_and_b32_e32 v48, 0x1fffff, v49
	v_add_nc_u32_e32 v49, v48, v52
                                        ; implicit-def: $vgpr48
	s_delay_alu instid0(VALU_DEP_3)
	v_cmpx_ne_u32_e64 v50, v51
	s_xor_b32 s7, exec_lo, s7
; %bb.2320:                             ;   in Loop: Header=BB2_2309 Depth=2
	s_delay_alu instid0(VALU_DEP_2) | instskip(SKIP_2) | instid1(VALU_DEP_2)
	v_cmp_lt_u32_e32 vcc_lo, 0xffffff, v49
	v_sub_nc_u32_e32 v48, v50, v51
	v_cndmask_b32_e64 v50, 0, 1, vcc_lo
	v_add_co_ci_u32_e32 v48, vcc_lo, 0, v48, vcc_lo
	s_delay_alu instid0(VALU_DEP_2)
	v_lshrrev_b32_e32 v49, v50, v49
; %bb.2321:                             ;   in Loop: Header=BB2_2309 Depth=2
	s_and_not1_saveexec_b32 s7, s7
	s_cbranch_execz .LBB2_2306
; %bb.2322:                             ;   in Loop: Header=BB2_2309 Depth=2
	s_delay_alu instid0(VALU_DEP_1)
	v_bfe_u32 v48, v49, 23, 1
	s_branch .LBB2_2306
.LBB2_2323:                             ;   in Loop: Header=BB2_2309 Depth=2
	s_mov_b32 s7, -1
	s_mov_b32 s24, exec_lo
                                        ; implicit-def: $sgpr22
	v_cmpx_eq_u16_e32 0x80, v49
; %bb.2324:                             ;   in Loop: Header=BB2_2309 Depth=2
	s_mov_b32 s22, 0x7f800001
	s_xor_b32 s7, exec_lo, -1
; %bb.2325:                             ;   in Loop: Header=BB2_2309 Depth=2
	s_or_b32 exec_lo, exec_lo, s24
	s_delay_alu instid0(SALU_CYCLE_1)
	s_and_b32 s7, s7, exec_lo
	s_or_saveexec_b32 s23, s23
	v_mov_b32_e32 v48, s22
	s_xor_b32 exec_lo, exec_lo, s23
	s_cbranch_execz .LBB2_2311
.LBB2_2326:                             ;   in Loop: Header=BB2_2309 Depth=2
	v_cmp_ne_u16_e32 vcc_lo, 0, v49
	v_mov_b32_e32 v48, 0
	s_and_not1_b32 s7, s7, exec_lo
	s_and_b32 s22, vcc_lo, exec_lo
	s_delay_alu instid0(SALU_CYCLE_1)
	s_or_b32 s7, s7, s22
	s_or_b32 exec_lo, exec_lo, s23
	s_and_saveexec_b32 s22, s7
	s_cbranch_execnz .LBB2_2312
	s_branch .LBB2_2313
.LBB2_2327:                             ;   in Loop: Header=BB2_2309 Depth=2
	s_mov_b32 s7, -1
	s_mov_b32 s24, exec_lo
                                        ; implicit-def: $sgpr22
	v_cmpx_eq_u16_e32 0x80, v50
; %bb.2328:                             ;   in Loop: Header=BB2_2309 Depth=2
	s_mov_b32 s22, 0x7f800001
	s_xor_b32 s7, exec_lo, -1
; %bb.2329:                             ;   in Loop: Header=BB2_2309 Depth=2
	s_or_b32 exec_lo, exec_lo, s24
	s_delay_alu instid0(SALU_CYCLE_1)
	s_and_b32 s7, s7, exec_lo
                                        ; implicit-def: $vgpr50
	s_or_saveexec_b32 s23, s23
	v_mov_b32_e32 v49, s22
	s_xor_b32 exec_lo, exec_lo, s23
	s_cbranch_execz .LBB2_2315
.LBB2_2330:                             ;   in Loop: Header=BB2_2309 Depth=2
	v_cmp_ne_u16_e32 vcc_lo, 0, v50
	v_mov_b32_e32 v49, 0
	s_and_not1_b32 s7, s7, exec_lo
	s_and_b32 s22, vcc_lo, exec_lo
	s_delay_alu instid0(SALU_CYCLE_1)
	s_or_b32 s7, s7, s22
	s_or_b32 exec_lo, exec_lo, s23
	s_and_saveexec_b32 s22, s7
	s_cbranch_execnz .LBB2_2316
	s_branch .LBB2_2317
.LBB2_2331:                             ;   in Loop: Header=BB2_1243 Depth=1
	s_or_b32 exec_lo, exec_lo, s10
	v_cmp_ne_u32_e64 s7, 0, v34
.LBB2_2332:                             ;   in Loop: Header=BB2_1243 Depth=1
	s_and_saveexec_b32 s10, s2
	s_cbranch_execz .LBB2_2354
; %bb.2333:                             ;   in Loop: Header=BB2_1243 Depth=1
	s_and_saveexec_b32 s21, s3
	s_delay_alu instid0(SALU_CYCLE_1)
	s_xor_b32 s21, exec_lo, s21
	s_cbranch_execz .LBB2_2351
; %bb.2334:                             ;   in Loop: Header=BB2_1243 Depth=1
	s_and_saveexec_b32 s22, s4
	s_cbranch_execz .LBB2_2350
; %bb.2335:                             ;   in Loop: Header=BB2_1243 Depth=1
	s_mov_b32 s24, exec_lo
	s_mov_b32 s23, exec_lo
	v_mbcnt_lo_u32_b32 v10, s24, 0
	s_waitcnt lgkmcnt(0)
	s_waitcnt_vscnt null, 0x0
	buffer_gl1_inv
	buffer_gl0_inv
	v_cmpx_eq_u32_e32 0, v10
	s_cbranch_execz .LBB2_2337
; %bb.2336:                             ;   in Loop: Header=BB2_1243 Depth=1
	s_bcnt1_i32_b32 s24, s24
	s_delay_alu instid0(SALU_CYCLE_1)
	v_mov_b32_e32 v34, s24
	ds_add_u64 v0, v[34:35]
	s_cbranch_execnz .LBB2_2849
.LBB2_2337:                             ;   in Loop: Header=BB2_1243 Depth=1
	s_or_b32 exec_lo, exec_lo, s23
	s_cbranch_execnz .LBB2_2827
; %bb.2338:                             ;   in Loop: Header=BB2_1243 Depth=1
	ds_load_b64 v[10:11], v0
	v_add_co_u32 v28, vcc_lo, v28, v54
	v_add_co_ci_u32_e32 v29, vcc_lo, 0, v29, vcc_lo
	s_mov_b32 s23, exec_lo
	s_waitcnt lgkmcnt(0)
	s_delay_alu instid0(VALU_DEP_1)
	v_cmpx_lt_u64_e64 v[10:11], v[28:29]
	s_cbranch_execz .LBB2_2349
; %bb.2339:                             ;   in Loop: Header=BB2_1243 Depth=1
	s_mov_b32 s24, 0
	s_mov_b32 s27, 0
                                        ; implicit-def: $sgpr25
                                        ; implicit-def: $sgpr26
	s_branch .LBB2_2341
.LBB2_2340:                             ;   in Loop: Header=BB2_2341 Depth=2
	s_or_b32 exec_lo, exec_lo, vcc_hi
	s_delay_alu instid0(SALU_CYCLE_1) | instskip(NEXT) | instid1(SALU_CYCLE_1)
	s_and_b32 s28, exec_lo, s29
	s_or_b32 s24, s28, s24
	s_and_not1_b32 s25, s25, exec_lo
	s_and_b32 s28, s26, exec_lo
	s_delay_alu instid0(SALU_CYCLE_1)
	s_or_b32 s25, s25, s28
	s_and_not1_b32 exec_lo, exec_lo, s24
	s_cbranch_execz .LBB2_2347
.LBB2_2341:                             ;   Parent Loop BB2_1243 Depth=1
                                        ; =>  This Inner Loop Header: Depth=2
	s_add_i32 s27, s27, 1
                                        ; implicit-def: $sgpr29
	s_delay_alu instid0(SALU_CYCLE_1) | instskip(SKIP_1) | instid1(SALU_CYCLE_1)
	s_cmpk_lg_i32 s27, 0x2710
	s_cselect_b32 s28, -1, 0
	s_and_b32 vcc_lo, exec_lo, s28
	s_cbranch_vccz .LBB2_2345
.LBB2_2342:                             ;   in Loop: Header=BB2_2341 Depth=2
	s_and_not1_b32 s26, s26, exec_lo
	s_and_b32 vcc_lo, s29, exec_lo
	s_mov_b32 s29, -1
	s_or_b32 s26, s26, vcc_lo
	s_and_saveexec_b32 vcc_hi, s28
	s_cbranch_execz .LBB2_2340
; %bb.2343:                             ;   in Loop: Header=BB2_2341 Depth=2
	s_sleep 1
	s_cbranch_execnz .LBB2_2871
; %bb.2344:                             ;   in Loop: Header=BB2_2341 Depth=2
	ds_load_b64 v[10:11], v0
	s_and_not1_b32 s26, s26, exec_lo
	s_waitcnt lgkmcnt(0)
	v_cmp_ge_u64_e32 vcc_lo, v[10:11], v[28:29]
	s_or_not1_b32 s29, vcc_lo, exec_lo
	s_branch .LBB2_2340
.LBB2_2345:                             ;   in Loop: Header=BB2_2341 Depth=2
	s_cbranch_execnz .LBB2_2877
; %bb.2346:                             ;   in Loop: Header=BB2_2341 Depth=2
	ds_load_b64 v[10:11], v0
	s_and_not1_b32 s28, s28, exec_lo
	s_mov_b32 s27, 0
	s_mov_b32 s29, -1
	s_waitcnt lgkmcnt(0)
	flat_load_b32 v10, v[10:11] glc
	s_waitcnt vmcnt(0) lgkmcnt(0)
	buffer_gl1_inv
	buffer_gl0_inv
	v_cmp_eq_u32_e32 vcc_lo, 0, v10
	s_and_b32 vcc_lo, vcc_lo, exec_lo
	s_delay_alu instid0(SALU_CYCLE_1)
	s_or_b32 s28, s28, vcc_lo
	s_branch .LBB2_2342
.LBB2_2347:                             ;   in Loop: Header=BB2_1243 Depth=1
	s_or_b32 exec_lo, exec_lo, s24
	s_and_saveexec_b32 s24, s25
	s_delay_alu instid0(SALU_CYCLE_1)
	s_xor_b32 s24, exec_lo, s24
	s_cbranch_execz .LBB2_2349
; %bb.2348:                             ;   in Loop: Header=BB2_1243 Depth=1
	ds_store_b32 v0, v84
	s_cbranch_execnz .LBB2_2901
.LBB2_2349:                             ;   in Loop: Header=BB2_1243 Depth=1
	s_or_b32 exec_lo, exec_lo, s23
	;;#ASMSTART
	s_wakeup
	;;#ASMEND
.LBB2_2350:                             ;   in Loop: Header=BB2_1243 Depth=1
	s_or_b32 exec_lo, exec_lo, s22
.LBB2_2351:                             ;   in Loop: Header=BB2_1243 Depth=1
	s_and_not1_saveexec_b32 s21, s21
	s_cbranch_execz .LBB2_2353
; %bb.2352:                             ;   in Loop: Header=BB2_1243 Depth=1
	s_waitcnt lgkmcnt(0)
	s_waitcnt_vscnt null, 0x0
	buffer_gl1_inv
	buffer_gl0_inv
	s_barrier
.LBB2_2353:                             ;   in Loop: Header=BB2_1243 Depth=1
	s_or_b32 exec_lo, exec_lo, s21
.LBB2_2354:                             ;   in Loop: Header=BB2_1243 Depth=1
	s_delay_alu instid0(SALU_CYCLE_1) | instskip(SKIP_1) | instid1(VALU_DEP_1)
	s_or_b32 exec_lo, exec_lo, s10
	v_and_b32_e32 v10, 16, v64
	v_cmp_ne_u32_e32 vcc_lo, 0, v10
	s_and_b32 s10, vcc_lo, s7
	s_delay_alu instid0(SALU_CYCLE_1)
	s_and_saveexec_b32 s7, s10
	s_cbranch_execz .LBB2_2356
; %bb.2355:                             ;   in Loop: Header=BB2_1243 Depth=1
	s_waitcnt lgkmcnt(0)
	s_waitcnt_vscnt null, 0x0
	buffer_gl1_inv
	buffer_gl0_inv
.LBB2_2356:                             ;   in Loop: Header=BB2_1243 Depth=1
	s_or_b32 exec_lo, exec_lo, s7
	v_and_b32_e32 v10, 32, v64
	s_mov_b32 s7, exec_lo
	s_delay_alu instid0(VALU_DEP_1)
	v_cmpx_ne_u32_e32 0, v10
	s_cbranch_execz .LBB2_2358
; %bb.2357:                             ;   in Loop: Header=BB2_1243 Depth=1
	v_add_co_u32 v8, vcc_lo, v8, 1
	v_add_co_ci_u32_e32 v9, vcc_lo, 0, v9, vcc_lo
	s_waitcnt lgkmcnt(0)
	s_waitcnt_vscnt null, 0x0
	flat_store_b64 v[22:23], v[8:9]
.LBB2_2358:                             ;   in Loop: Header=BB2_1243 Depth=1
	s_or_b32 exec_lo, exec_lo, s7
	v_mov_b32_e32 v14, v39
.LBB2_2359:                             ;   in Loop: Header=BB2_1243 Depth=1
	s_or_b32 exec_lo, exec_lo, s20
	s_and_saveexec_b32 s10, s19
	s_cbranch_execz .LBB2_2412
; %bb.2360:                             ;   in Loop: Header=BB2_1243 Depth=1
	v_and_b32_e32 v10, 4, v64
	s_mov_b32 s19, -1
	s_mov_b32 s7, exec_lo
	s_delay_alu instid0(VALU_DEP_1)
	v_cmpx_ne_u32_e32 0, v10
	s_cbranch_execz .LBB2_2374
; %bb.2361:                             ;   in Loop: Header=BB2_1243 Depth=1
	v_add_co_u32 v10, vcc_lo, v8, 1
	v_add_co_ci_u32_e32 v11, vcc_lo, 0, v9, vcc_lo
	v_mov_b32_e32 v12, 1
	s_mov_b32 s19, exec_lo
	s_delay_alu instid0(VALU_DEP_2)
	v_cmpx_lt_u64_e64 v[26:27], v[10:11]
	s_cbranch_execz .LBB2_2373
; %bb.2362:                             ;   in Loop: Header=BB2_1243 Depth=1
	v_mov_b32_e32 v12, 0
	s_mov_b32 s20, 0
                                        ; implicit-def: $sgpr21
	s_branch .LBB2_2366
.LBB2_2363:                             ;   in Loop: Header=BB2_2366 Depth=2
	s_or_b32 exec_lo, exec_lo, s25
	v_mov_b32_e32 v13, 0
	s_or_not1_b32 s24, s24, exec_lo
.LBB2_2364:                             ;   in Loop: Header=BB2_2366 Depth=2
	s_or_b32 exec_lo, exec_lo, s23
	s_delay_alu instid0(VALU_DEP_1) | instskip(SKIP_2) | instid1(SALU_CYCLE_1)
	v_mov_b32_e32 v12, v13
	s_and_not1_b32 s21, s21, exec_lo
	s_and_b32 s23, s24, exec_lo
	s_or_b32 s21, s21, s23
.LBB2_2365:                             ;   in Loop: Header=BB2_2366 Depth=2
	s_or_b32 exec_lo, exec_lo, s22
	s_waitcnt vmcnt(0) lgkmcnt(0)
	v_cmp_ge_u64_e32 vcc_lo, v[26:27], v[10:11]
	s_xor_b32 s22, s21, -1
	s_delay_alu instid0(SALU_CYCLE_1) | instskip(NEXT) | instid1(SALU_CYCLE_1)
	s_or_b32 s22, s22, vcc_lo
	s_and_b32 s22, exec_lo, s22
	s_delay_alu instid0(SALU_CYCLE_1) | instskip(NEXT) | instid1(SALU_CYCLE_1)
	s_or_b32 s20, s22, s20
	s_and_not1_b32 exec_lo, exec_lo, s20
	s_cbranch_execz .LBB2_2372
.LBB2_2366:                             ;   Parent Loop BB2_1243 Depth=1
                                        ; =>  This Inner Loop Header: Depth=2
	s_sleep 1
	flat_load_b64 v[26:27], v[22:23] glc
	v_and_b32_e32 v13, 64, v64
	s_and_not1_b32 s21, s21, exec_lo
	s_mov_b32 s22, exec_lo
	s_delay_alu instid0(VALU_DEP_1)
	v_cmpx_eq_u32_e32 0, v13
	s_cbranch_execz .LBB2_2365
; %bb.2367:                             ;   in Loop: Header=BB2_2366 Depth=2
	v_add_nc_u32_e32 v13, 1, v12
	s_mov_b32 s24, -1
	s_mov_b32 s23, exec_lo
	v_cmpx_lt_i32_e32 0x270e, v12
	s_cbranch_execz .LBB2_2364
; %bb.2368:                             ;   in Loop: Header=BB2_2366 Depth=2
	s_cbranch_execnz .LBB2_2731
; %bb.2369:                             ;   in Loop: Header=BB2_2366 Depth=2
	ds_load_b64 v[12:13], v0
	s_mov_b32 s25, exec_lo
	s_waitcnt vmcnt(0) lgkmcnt(0)
	s_waitcnt_vscnt null, 0x0
	flat_load_b32 v12, v[12:13] glc
	s_waitcnt vmcnt(0) lgkmcnt(0)
	buffer_gl1_inv
	buffer_gl0_inv
	v_cmpx_ne_u32_e32 0, v12
	s_cbranch_execz .LBB2_2363
; %bb.2370:                             ;   in Loop: Header=BB2_2366 Depth=2
	ds_store_b32 v0, v12
	s_cbranch_execnz .LBB2_2761
; %bb.2371:                             ;   in Loop: Header=BB2_2366 Depth=2
	v_or_b32_e32 v64, 64, v64
	s_xor_b32 s24, exec_lo, -1
	s_branch .LBB2_2363
.LBB2_2372:                             ;   in Loop: Header=BB2_1243 Depth=1
	s_or_b32 exec_lo, exec_lo, s20
	v_and_b32_e32 v12, 4, v64
.LBB2_2373:                             ;   in Loop: Header=BB2_1243 Depth=1
	s_or_b32 exec_lo, exec_lo, s19
	s_delay_alu instid0(VALU_DEP_1)
	v_cmp_eq_u32_e32 vcc_lo, 0, v12
	;;#ASMSTART
	s_wakeup
	;;#ASMEND
	s_or_not1_b32 s19, vcc_lo, exec_lo
.LBB2_2374:                             ;   in Loop: Header=BB2_1243 Depth=1
	s_or_b32 exec_lo, exec_lo, s7
	s_xor_b32 s7, s19, -1
	s_delay_alu instid0(SALU_CYCLE_1)
	s_and_saveexec_b32 s19, s7
	s_cbranch_execz .LBB2_2384
; %bb.2375:                             ;   in Loop: Header=BB2_1243 Depth=1
	v_and_b32_e32 v10, 0x100, v64
	v_and_b32_e32 v15, 7, v8
	s_mov_b32 s7, -1
	s_delay_alu instid0(VALU_DEP_2)
	v_cmp_ne_u32_e32 vcc_lo, 0, v10
                                        ; implicit-def: $vgpr10_vgpr11
	s_and_saveexec_b32 s20, vcc_lo
	s_cbranch_execz .LBB2_2379
; %bb.2376:                             ;   in Loop: Header=BB2_1243 Depth=1
	v_mad_u64_u32 v[12:13], null, v15, 24, v[6:7]
	flat_load_b32 v10, v[12:13]
	s_waitcnt vmcnt(0) lgkmcnt(0)
	v_cmp_ne_u32_e32 vcc_lo, 1, v10
	v_cmp_eq_u32_e64 s7, 1, v10
                                        ; implicit-def: $vgpr10_vgpr11
	s_delay_alu instid0(VALU_DEP_1)
	s_and_saveexec_b32 s21, s7
	s_cbranch_execz .LBB2_2378
; %bb.2377:                             ;   in Loop: Header=BB2_1243 Depth=1
	flat_load_b32 v10, v[12:13] offset:4 glc
	s_waitcnt vmcnt(0) lgkmcnt(0)
	v_ashrrev_i32_e32 v11, 31, v10
.LBB2_2378:                             ;   in Loop: Header=BB2_1243 Depth=1
	s_or_b32 exec_lo, exec_lo, s21
	s_delay_alu instid0(SALU_CYCLE_1)
	s_or_not1_b32 s7, vcc_lo, exec_lo
.LBB2_2379:                             ;   in Loop: Header=BB2_1243 Depth=1
	s_or_b32 exec_lo, exec_lo, s20
	s_and_saveexec_b32 s20, s7
; %bb.2380:                             ;   in Loop: Header=BB2_1243 Depth=1
	v_mad_i64_i32 v[10:11], null, v15, v65, 0
; %bb.2381:                             ;   in Loop: Header=BB2_1243 Depth=1
	s_or_b32 exec_lo, exec_lo, s20
	s_delay_alu instid0(VALU_DEP_1) | instskip(SKIP_1) | instid1(VALU_DEP_3)
	v_add_co_u32 v10, vcc_lo, v24, v10
	v_and_b32_e32 v12, 0x2000, v64
	v_add_co_ci_u32_e32 v11, vcc_lo, v25, v11, vcc_lo
	s_mov_b32 s7, exec_lo
	ds_store_b64 v0, v[10:11] offset:728
	v_cmpx_ne_u32_e32 0, v12
	s_cbranch_execz .LBB2_2383
; %bb.2382:                             ;   in Loop: Header=BB2_1243 Depth=1
	ds_load_b64 v[10:11], v0 offset:584
	s_waitcnt lgkmcnt(0)
	v_add_co_u32 v10, vcc_lo, v10, 1
	v_add_co_ci_u32_e32 v11, vcc_lo, 0, v11, vcc_lo
	ds_store_b64 v0, v[10:11] offset:584
.LBB2_2383:                             ;   in Loop: Header=BB2_1243 Depth=1
	s_or_b32 exec_lo, exec_lo, s7
	v_add_co_u32 v8, vcc_lo, v8, 1
	v_add_co_ci_u32_e32 v9, vcc_lo, 0, v9, vcc_lo
.LBB2_2384:                             ;   in Loop: Header=BB2_1243 Depth=1
	s_or_b32 exec_lo, exec_lo, s19
	s_and_saveexec_b32 s7, s2
	s_cbranch_execz .LBB2_2406
; %bb.2385:                             ;   in Loop: Header=BB2_1243 Depth=1
	s_and_saveexec_b32 s19, s3
	s_delay_alu instid0(SALU_CYCLE_1)
	s_xor_b32 s19, exec_lo, s19
	s_cbranch_execz .LBB2_2403
; %bb.2386:                             ;   in Loop: Header=BB2_1243 Depth=1
	s_and_saveexec_b32 s20, s4
	s_cbranch_execz .LBB2_2402
; %bb.2387:                             ;   in Loop: Header=BB2_1243 Depth=1
	s_mov_b32 s22, exec_lo
	s_mov_b32 s21, exec_lo
	v_mbcnt_lo_u32_b32 v10, s22, 0
	s_waitcnt lgkmcnt(0)
	s_waitcnt_vscnt null, 0x0
	buffer_gl1_inv
	buffer_gl0_inv
	v_cmpx_eq_u32_e32 0, v10
	s_cbranch_execz .LBB2_2389
; %bb.2388:                             ;   in Loop: Header=BB2_1243 Depth=1
	s_bcnt1_i32_b32 s22, s22
	s_delay_alu instid0(SALU_CYCLE_1)
	v_mov_b32_e32 v34, s22
	ds_add_u64 v0, v[34:35]
	s_cbranch_execnz .LBB2_2777
.LBB2_2389:                             ;   in Loop: Header=BB2_1243 Depth=1
	s_or_b32 exec_lo, exec_lo, s21
	s_cbranch_execnz .LBB2_2763
; %bb.2390:                             ;   in Loop: Header=BB2_1243 Depth=1
	ds_load_b64 v[10:11], v0
	v_add_co_u32 v28, vcc_lo, v28, v54
	v_add_co_ci_u32_e32 v29, vcc_lo, 0, v29, vcc_lo
	s_mov_b32 s21, exec_lo
	s_waitcnt lgkmcnt(0)
	s_delay_alu instid0(VALU_DEP_1)
	v_cmpx_lt_u64_e64 v[10:11], v[28:29]
	s_cbranch_execz .LBB2_2401
; %bb.2391:                             ;   in Loop: Header=BB2_1243 Depth=1
	s_mov_b32 s22, 0
	s_mov_b32 s25, 0
                                        ; implicit-def: $sgpr23
                                        ; implicit-def: $sgpr24
	s_branch .LBB2_2393
.LBB2_2392:                             ;   in Loop: Header=BB2_2393 Depth=2
	s_or_b32 exec_lo, exec_lo, s28
	s_delay_alu instid0(SALU_CYCLE_1) | instskip(NEXT) | instid1(SALU_CYCLE_1)
	s_and_b32 s26, exec_lo, s27
	s_or_b32 s22, s26, s22
	s_and_not1_b32 s23, s23, exec_lo
	s_and_b32 s26, s24, exec_lo
	s_delay_alu instid0(SALU_CYCLE_1)
	s_or_b32 s23, s23, s26
	s_and_not1_b32 exec_lo, exec_lo, s22
	s_cbranch_execz .LBB2_2399
.LBB2_2393:                             ;   Parent Loop BB2_1243 Depth=1
                                        ; =>  This Inner Loop Header: Depth=2
	s_add_i32 s25, s25, 1
                                        ; implicit-def: $sgpr27
	s_delay_alu instid0(SALU_CYCLE_1) | instskip(SKIP_1) | instid1(SALU_CYCLE_1)
	s_cmpk_lg_i32 s25, 0x2710
	s_cselect_b32 s26, -1, 0
	s_and_b32 vcc_lo, exec_lo, s26
	s_cbranch_vccz .LBB2_2397
.LBB2_2394:                             ;   in Loop: Header=BB2_2393 Depth=2
	s_and_not1_b32 s24, s24, exec_lo
	s_and_b32 s28, s27, exec_lo
	s_mov_b32 s27, -1
	s_or_b32 s24, s24, s28
	s_and_saveexec_b32 s28, s26
	s_cbranch_execz .LBB2_2392
; %bb.2395:                             ;   in Loop: Header=BB2_2393 Depth=2
	s_sleep 1
	s_cbranch_execnz .LBB2_2821
; %bb.2396:                             ;   in Loop: Header=BB2_2393 Depth=2
	ds_load_b64 v[10:11], v0
	s_and_not1_b32 s24, s24, exec_lo
	s_waitcnt lgkmcnt(0)
	v_cmp_ge_u64_e32 vcc_lo, v[10:11], v[28:29]
	s_or_not1_b32 s27, vcc_lo, exec_lo
	s_branch .LBB2_2392
.LBB2_2397:                             ;   in Loop: Header=BB2_2393 Depth=2
	s_cbranch_execnz .LBB2_2843
; %bb.2398:                             ;   in Loop: Header=BB2_2393 Depth=2
	ds_load_b64 v[10:11], v0
	s_and_not1_b32 s26, s26, exec_lo
	s_mov_b32 s25, 0
	s_mov_b32 s27, -1
	s_waitcnt lgkmcnt(0)
	flat_load_b32 v10, v[10:11] glc
	s_waitcnt vmcnt(0) lgkmcnt(0)
	buffer_gl1_inv
	buffer_gl0_inv
	v_cmp_eq_u32_e32 vcc_lo, 0, v10
	s_and_b32 s28, vcc_lo, exec_lo
	s_delay_alu instid0(SALU_CYCLE_1)
	s_or_b32 s26, s26, s28
	s_branch .LBB2_2394
.LBB2_2399:                             ;   in Loop: Header=BB2_1243 Depth=1
	s_or_b32 exec_lo, exec_lo, s22
	s_and_saveexec_b32 s22, s23
	s_delay_alu instid0(SALU_CYCLE_1)
	s_xor_b32 s22, exec_lo, s22
	s_cbranch_execz .LBB2_2401
; %bb.2400:                             ;   in Loop: Header=BB2_1243 Depth=1
	ds_store_b32 v0, v84
	s_cbranch_execnz .LBB2_2891
.LBB2_2401:                             ;   in Loop: Header=BB2_1243 Depth=1
	s_or_b32 exec_lo, exec_lo, s21
	;;#ASMSTART
	s_wakeup
	;;#ASMEND
.LBB2_2402:                             ;   in Loop: Header=BB2_1243 Depth=1
	s_or_b32 exec_lo, exec_lo, s20
.LBB2_2403:                             ;   in Loop: Header=BB2_1243 Depth=1
	s_and_not1_saveexec_b32 s19, s19
	s_cbranch_execz .LBB2_2405
; %bb.2404:                             ;   in Loop: Header=BB2_1243 Depth=1
	s_waitcnt lgkmcnt(0)
	s_waitcnt_vscnt null, 0x0
	buffer_gl1_inv
	buffer_gl0_inv
	s_barrier
.LBB2_2405:                             ;   in Loop: Header=BB2_1243 Depth=1
	s_or_b32 exec_lo, exec_lo, s19
.LBB2_2406:                             ;   in Loop: Header=BB2_1243 Depth=1
	s_delay_alu instid0(SALU_CYCLE_1)
	s_or_b32 exec_lo, exec_lo, s7
	s_cbranch_execnz .LBB2_2702
; %bb.2407:                             ;   in Loop: Header=BB2_1243 Depth=1
	ds_load_b32 v10, v0
	v_sub_nc_u32_e32 v11, v38, v14
	s_delay_alu instid0(VALU_DEP_1) | instskip(NEXT) | instid1(VALU_DEP_1)
	v_min_i32_e32 v11, v39, v11
	v_cmp_lt_i32_e32 vcc_lo, 0, v11
	s_waitcnt lgkmcnt(0)
	v_readfirstlane_b32 s7, v10
	v_and_b32_e32 v10, 16, v64
	s_delay_alu instid0(VALU_DEP_2) | instskip(NEXT) | instid1(VALU_DEP_1)
	s_cmp_eq_u32 s7, 0
	v_cmp_ne_u32_e64 s7, 0, v10
	s_cselect_b32 s19, -1, 0
	s_delay_alu instid0(SALU_CYCLE_1)
	s_and_b32 s19, vcc_lo, s19
	s_delay_alu instid0(VALU_DEP_1) | instid1(SALU_CYCLE_1)
	s_and_b32 s19, s7, s19
	s_delay_alu instid0(SALU_CYCLE_1)
	s_and_saveexec_b32 s7, s19
	s_cbranch_execz .LBB2_2409
; %bb.2408:                             ;   in Loop: Header=BB2_1243 Depth=1
	s_waitcnt_vscnt null, 0x0
	buffer_gl1_inv
	buffer_gl0_inv
.LBB2_2409:                             ;   in Loop: Header=BB2_1243 Depth=1
	s_or_b32 exec_lo, exec_lo, s7
	v_and_b32_e32 v10, 32, v64
	s_mov_b32 s7, exec_lo
	s_delay_alu instid0(VALU_DEP_1)
	v_cmpx_ne_u32_e32 0, v10
	s_cbranch_execz .LBB2_2411
; %bb.2410:                             ;   in Loop: Header=BB2_1243 Depth=1
	v_add_co_u32 v8, vcc_lo, v8, 1
	v_add_co_ci_u32_e32 v9, vcc_lo, 0, v9, vcc_lo
	s_waitcnt_vscnt null, 0x0
	flat_store_b64 v[22:23], v[8:9]
.LBB2_2411:                             ;   in Loop: Header=BB2_1243 Depth=1
	s_or_b32 exec_lo, exec_lo, s7
.LBB2_2412:                             ;   in Loop: Header=BB2_1243 Depth=1
	s_delay_alu instid0(SALU_CYCLE_1) | instskip(SKIP_2) | instid1(VALU_DEP_1)
	s_or_b32 exec_lo, exec_lo, s10
	v_add_co_u32 v36, vcc_lo, v36, v32
	v_add_co_ci_u32_e32 v37, vcc_lo, 0, v37, vcc_lo
	v_cmp_ge_u64_e32 vcc_lo, v[36:37], v[4:5]
	s_or_b32 s16, vcc_lo, s16
	s_delay_alu instid0(SALU_CYCLE_1)
	s_and_not1_b32 exec_lo, exec_lo, s16
	s_cbranch_execnz .LBB2_1243
; %bb.2413:
	s_or_b32 exec_lo, exec_lo, s16
.LBB2_2414:
	s_delay_alu instid0(SALU_CYCLE_1)
	s_or_b32 exec_lo, exec_lo, s12
.LBB2_2415:
	s_delay_alu instid0(SALU_CYCLE_1)
	s_or_b32 exec_lo, exec_lo, s11
                                        ; implicit-def: $vgpr18_vgpr19
                                        ; implicit-def: $vgpr4_vgpr5
                                        ; implicit-def: $vgpr34_vgpr35
                                        ; implicit-def: $vgpr65
                                        ; implicit-def: $vgpr26_vgpr27
                                        ; implicit-def: $vgpr24_vgpr25
                                        ; implicit-def: $vgpr22_vgpr23
                                        ; implicit-def: $vgpr0
                                        ; implicit-def: $vgpr17
                                        ; implicit-def: $vgpr32_vgpr33
.LBB2_2416:
	s_and_not1_saveexec_b32 s12, s15
	s_cbranch_execz .LBB2_2614
; %bb.2417:
	v_mov_b32_e32 v28, 0
	v_mov_b32_e32 v29, 0
	s_mov_b32 s15, exec_lo
	v_cmpx_ne_u64_e32 0, v[4:5]
	s_cbranch_execz .LBB2_2613
; %bb.2418:
	v_cmp_ge_i32_e64 s1, v0, v1
	s_cbranch_execnz .LBB2_2643
; %bb.2419:
	v_ashrrev_i32_e32 v10, 31, v0
	v_lshrrev_b32_e32 v48, 5, v1
	v_and_b32_e32 v12, 31, v31
	s_ashr_i32 s4, s14, 31
	v_and_b32_e32 v66, 0xffffffe0, v1
	v_lshrrev_b32_e32 v10, 27, v10
	v_lshlrev_b32_e32 v50, 9, v48
	v_lshl_add_u32 v16, v48, 8, 0xffffff00
	s_lshr_b32 s4, s4, 24
	v_cmp_eq_u32_e32 vcc_lo, 32, v1
	v_dual_mov_b32 v11, 0 :: v_dual_add_nc_u32 v10, v0, v10
	v_add_nc_u32_e32 v15, 0xfffffe00, v50
	s_add_i32 s14, s14, s4
	v_cmp_ne_u32_e64 s2, 32, v1
	s_delay_alu instid0(VALU_DEP_3)
	v_and_b32_e32 v13, 0xffffffe0, v10
	v_ashrrev_i32_e32 v49, 5, v10
	v_lshl_add_u32 v10, v48, 10, 0xfffffc00
	v_add_co_u32 v54, s7, 0x200, v15
	v_cmp_ne_u32_e64 s3, v30, v1
	v_ashrrev_i32_e32 v69, 31, v66
	s_delay_alu instid0(VALU_DEP_4) | instskip(SKIP_3) | instid1(VALU_DEP_4)
	v_ashrrev_i32_e32 v14, 31, v10
	v_add_co_u32 v52, s5, 0x400, v10
	v_ashrrev_i32_e32 v10, 31, v15
	v_mov_b32_e32 v70, 1
	v_add_co_ci_u32_e64 v53, s5, 0, v14, s5
	v_mov_b32_e32 v14, 0
	v_sub_nc_u32_e32 v51, v0, v13
	v_lshlrev_b32_e32 v13, 10, v49
	v_add_co_ci_u32_e64 v55, s7, 0, v10, s7
	v_ashrrev_i32_e32 v10, 31, v16
	v_mov_b32_e32 v15, 0
	v_cmp_eq_u32_e64 s4, 0, v12
	v_lshl_add_u32 v12, v51, 4, v13
	v_add_co_u32 v67, s7, 0x100, v16
	s_delay_alu instid0(VALU_DEP_1)
	v_add_co_ci_u32_e64 v68, s7, 0, v10, s7
	v_cmp_ne_u64_e64 s7, 0, v[34:35]
	v_mov_b32_e32 v29, v15
	v_cmp_gt_i32_e64 s5, 1, v51
	v_cmp_lt_i32_e64 s6, v51, v17
	v_ashrrev_i32_e32 v13, 31, v12
	v_mov_b32_e32 v28, v14
	s_ashr_i32 s16, s14, 8
	s_mov_b32 s14, 0
	s_xor_b32 s17, vcc_lo, -1
.LBB2_2420:                             ; =>This Loop Header: Depth=1
                                        ;     Child Loop BB2_2430 Depth 2
                                        ;     Child Loop BB2_2457 Depth 2
	;; [unrolled: 1-line block ×10, first 2 shown]
	v_sub_co_u32 v16, vcc_lo, v4, v14
	v_sub_co_ci_u32_e32 v17, vcc_lo, v5, v15, vcc_lo
	s_delay_alu instid0(VALU_DEP_1) | instskip(SKIP_2) | instid1(VALU_DEP_1)
	v_cmp_lt_u64_e32 vcc_lo, v[32:33], v[16:17]
	v_cndmask_b32_e64 v17, v17, 0, vcc_lo
	v_cndmask_b32_e32 v16, v16, v32, vcc_lo
	v_cmp_eq_u64_e32 vcc_lo, 0, v[16:17]
	v_dual_mov_b32 v17, 0 :: v_dual_add_nc_u32 v10, 15, v16
	s_or_b32 s18, s1, vcc_lo
	s_delay_alu instid0(VALU_DEP_1) | instskip(SKIP_1) | instid1(VALU_DEP_1)
	v_and_b32_e32 v10, 0x7ffffff0, v10
	s_xor_b32 s10, s18, -1
	v_max_i32_e32 v10, s16, v10
	s_and_saveexec_b32 s19, s10
	s_cbranch_execz .LBB2_2556
; %bb.2421:                             ;   in Loop: Header=BB2_2420 Depth=1
	s_and_saveexec_b32 s10, s0
	s_cbranch_execz .LBB2_2424
; %bb.2422:                             ;   in Loop: Header=BB2_2420 Depth=1
	s_cbranch_execnz .LBB2_2684
; %bb.2423:                             ;   in Loop: Header=BB2_2420 Depth=1
	ds_load_b64 v[36:37], v0
	s_waitcnt lgkmcnt(0)
	v_add_co_u32 v17, vcc_lo, v36, v18
	v_add_co_ci_u32_e32 v37, vcc_lo, v37, v19, vcc_lo
	v_mov_b32_e32 v36, v11
	s_delay_alu instid0(VALU_DEP_3) | instskip(NEXT) | instid1(VALU_DEP_3)
	v_add_co_u32 v38, vcc_lo, v17, v14
	v_add_co_ci_u32_e32 v39, vcc_lo, v37, v15, vcc_lo
	v_mov_b32_e32 v37, v11
	ds_store_b64 v0, v[38:39]
	ds_store_b64 v0, v[36:37]
.LBB2_2424:                             ;   in Loop: Header=BB2_2420 Depth=1
	s_or_b32 exec_lo, exec_lo, s10
	v_and_b32_e32 v17, 8, v64
	s_mov_b32 s11, -1
	s_mov_b32 s10, exec_lo
	s_delay_alu instid0(VALU_DEP_1)
	v_cmpx_ne_u32_e32 0, v17
	s_cbranch_execz .LBB2_2438
; %bb.2425:                             ;   in Loop: Header=BB2_2420 Depth=1
	v_add_co_u32 v38, vcc_lo, v26, 8
	v_add_co_ci_u32_e32 v39, vcc_lo, 0, v27, vcc_lo
	v_add_co_u32 v36, vcc_lo, v8, 1
	v_add_co_ci_u32_e32 v37, vcc_lo, 0, v9, vcc_lo
	v_mov_b32_e32 v17, 1
	s_mov_b32 s11, exec_lo
	s_delay_alu instid0(VALU_DEP_2)
	v_cmpx_lt_u64_e64 v[38:39], v[36:37]
	s_cbranch_execz .LBB2_2437
; %bb.2426:                             ;   in Loop: Header=BB2_2420 Depth=1
	v_mov_b32_e32 v17, 0
	s_mov_b32 s20, 0
                                        ; implicit-def: $sgpr21
	s_branch .LBB2_2430
.LBB2_2427:                             ;   in Loop: Header=BB2_2430 Depth=2
	s_or_b32 exec_lo, exec_lo, s25
	v_mov_b32_e32 v38, 0
	s_or_not1_b32 s24, s24, exec_lo
.LBB2_2428:                             ;   in Loop: Header=BB2_2430 Depth=2
	s_or_b32 exec_lo, exec_lo, s23
	s_delay_alu instid0(VALU_DEP_1) | instskip(SKIP_2) | instid1(SALU_CYCLE_1)
	v_mov_b32_e32 v17, v38
	s_and_not1_b32 s21, s21, exec_lo
	s_and_b32 s23, s24, exec_lo
	s_or_b32 s21, s21, s23
.LBB2_2429:                             ;   in Loop: Header=BB2_2430 Depth=2
	s_or_b32 exec_lo, exec_lo, s22
	s_waitcnt vmcnt(0) lgkmcnt(0)
	v_add_co_u32 v38, vcc_lo, v26, 8
	v_add_co_ci_u32_e32 v39, vcc_lo, 0, v27, vcc_lo
	s_xor_b32 s22, s21, -1
	s_delay_alu instid0(VALU_DEP_1) | instskip(SKIP_1) | instid1(SALU_CYCLE_1)
	v_cmp_ge_u64_e32 vcc_lo, v[38:39], v[36:37]
	s_or_b32 s22, s22, vcc_lo
	s_and_b32 s22, exec_lo, s22
	s_delay_alu instid0(SALU_CYCLE_1) | instskip(NEXT) | instid1(SALU_CYCLE_1)
	s_or_b32 s20, s22, s20
	s_and_not1_b32 exec_lo, exec_lo, s20
	s_cbranch_execz .LBB2_2436
.LBB2_2430:                             ;   Parent Loop BB2_2420 Depth=1
                                        ; =>  This Inner Loop Header: Depth=2
	s_sleep 1
	flat_load_b64 v[26:27], v[22:23] glc
	v_and_b32_e32 v38, 64, v64
	s_and_not1_b32 s21, s21, exec_lo
	s_mov_b32 s22, exec_lo
	s_delay_alu instid0(VALU_DEP_1)
	v_cmpx_eq_u32_e32 0, v38
	s_cbranch_execz .LBB2_2429
; %bb.2431:                             ;   in Loop: Header=BB2_2430 Depth=2
	v_add_nc_u32_e32 v38, 1, v17
	s_mov_b32 s24, -1
	s_mov_b32 s23, exec_lo
	v_cmpx_lt_i32_e32 0x270e, v17
	s_cbranch_execz .LBB2_2428
; %bb.2432:                             ;   in Loop: Header=BB2_2430 Depth=2
	s_cbranch_execnz .LBB2_2690
; %bb.2433:                             ;   in Loop: Header=BB2_2430 Depth=2
	ds_load_b64 v[38:39], v0
	s_mov_b32 s25, exec_lo
	s_waitcnt vmcnt(0) lgkmcnt(0)
	s_waitcnt_vscnt null, 0x0
	flat_load_b32 v17, v[38:39] glc
	s_waitcnt vmcnt(0) lgkmcnt(0)
	buffer_gl1_inv
	buffer_gl0_inv
	v_cmpx_ne_u32_e32 0, v17
	s_cbranch_execz .LBB2_2427
; %bb.2434:                             ;   in Loop: Header=BB2_2430 Depth=2
	ds_store_b32 v0, v17
	s_cbranch_execnz .LBB2_2733
; %bb.2435:                             ;   in Loop: Header=BB2_2430 Depth=2
	v_or_b32_e32 v64, 64, v64
	s_xor_b32 s24, exec_lo, -1
	s_branch .LBB2_2427
.LBB2_2436:                             ;   in Loop: Header=BB2_2420 Depth=1
	s_or_b32 exec_lo, exec_lo, s20
	v_and_b32_e32 v17, 8, v64
.LBB2_2437:                             ;   in Loop: Header=BB2_2420 Depth=1
	s_or_b32 exec_lo, exec_lo, s11
	s_delay_alu instid0(VALU_DEP_1)
	v_cmp_eq_u32_e32 vcc_lo, 0, v17
	;;#ASMSTART
	s_wakeup
	;;#ASMEND
	s_or_not1_b32 s11, vcc_lo, exec_lo
.LBB2_2438:                             ;   in Loop: Header=BB2_2420 Depth=1
	s_or_b32 exec_lo, exec_lo, s10
	v_min_u32_e32 v10, v10, v16
	s_xor_b32 s10, s11, -1
	s_delay_alu instid0(SALU_CYCLE_1)
	s_and_saveexec_b32 s11, s10
	s_cbranch_execz .LBB2_2448
; %bb.2439:                             ;   in Loop: Header=BB2_2420 Depth=1
	v_and_b32_e32 v17, 0x100, v64
	s_mov_b32 s10, -1
                                        ; implicit-def: $vgpr36_vgpr37
	s_delay_alu instid0(VALU_DEP_1)
	v_cmp_ne_u32_e32 vcc_lo, 0, v17
	v_and_b32_e32 v17, 7, v8
	s_and_saveexec_b32 s20, vcc_lo
	s_cbranch_execz .LBB2_2443
; %bb.2440:                             ;   in Loop: Header=BB2_2420 Depth=1
	s_delay_alu instid0(VALU_DEP_1)
	v_mad_u64_u32 v[38:39], null, v17, 24, v[6:7]
	flat_load_b32 v36, v[38:39]
	flat_store_b64 v[38:39], v[10:11] offset:8
	s_waitcnt vmcnt(0) lgkmcnt(1)
	v_cmp_ne_u32_e32 vcc_lo, 1, v36
	v_cmp_eq_u32_e64 s10, 1, v36
                                        ; implicit-def: $vgpr36_vgpr37
	s_delay_alu instid0(VALU_DEP_1)
	s_and_saveexec_b32 s21, s10
	s_cbranch_execz .LBB2_2442
; %bb.2441:                             ;   in Loop: Header=BB2_2420 Depth=1
	flat_load_b32 v36, v[38:39] offset:4 glc
	s_waitcnt vmcnt(0) lgkmcnt(0)
	v_ashrrev_i32_e32 v37, 31, v36
.LBB2_2442:                             ;   in Loop: Header=BB2_2420 Depth=1
	s_or_b32 exec_lo, exec_lo, s21
	s_delay_alu instid0(SALU_CYCLE_1)
	s_or_not1_b32 s10, vcc_lo, exec_lo
.LBB2_2443:                             ;   in Loop: Header=BB2_2420 Depth=1
	s_or_b32 exec_lo, exec_lo, s20
	s_and_saveexec_b32 s20, s10
; %bb.2444:                             ;   in Loop: Header=BB2_2420 Depth=1
	v_mad_i64_i32 v[36:37], null, v17, v65, 0
; %bb.2445:                             ;   in Loop: Header=BB2_2420 Depth=1
	s_or_b32 exec_lo, exec_lo, s20
	s_delay_alu instid0(VALU_DEP_1) | instskip(SKIP_1) | instid1(VALU_DEP_3)
	v_add_co_u32 v36, vcc_lo, v24, v36
	v_and_b32_e32 v17, 0x2000, v64
	v_add_co_ci_u32_e32 v37, vcc_lo, v25, v37, vcc_lo
	s_mov_b32 s10, exec_lo
	ds_store_b64 v0, v[36:37] offset:784
	v_cmpx_ne_u32_e32 0, v17
	s_cbranch_execz .LBB2_2447
; %bb.2446:                             ;   in Loop: Header=BB2_2420 Depth=1
	ds_load_b64 v[36:37], v0 offset:584
	s_waitcnt lgkmcnt(0)
	v_add_co_u32 v36, vcc_lo, v36, 1
	v_add_co_ci_u32_e32 v37, vcc_lo, 0, v37, vcc_lo
	ds_store_b64 v0, v[36:37] offset:584
.LBB2_2447:                             ;   in Loop: Header=BB2_2420 Depth=1
	s_or_b32 exec_lo, exec_lo, s10
	v_add_co_u32 v8, vcc_lo, v8, 1
	v_add_co_ci_u32_e32 v9, vcc_lo, 0, v9, vcc_lo
.LBB2_2448:                             ;   in Loop: Header=BB2_2420 Depth=1
	s_or_b32 exec_lo, exec_lo, s11
	s_and_saveexec_b32 s10, s2
	s_cbranch_execz .LBB2_2470
; %bb.2449:                             ;   in Loop: Header=BB2_2420 Depth=1
	s_and_saveexec_b32 s11, s3
	s_delay_alu instid0(SALU_CYCLE_1)
	s_xor_b32 s11, exec_lo, s11
	s_cbranch_execz .LBB2_2467
; %bb.2450:                             ;   in Loop: Header=BB2_2420 Depth=1
	s_and_saveexec_b32 s20, s4
	s_cbranch_execz .LBB2_2466
; %bb.2451:                             ;   in Loop: Header=BB2_2420 Depth=1
	s_mov_b32 s22, exec_lo
	s_mov_b32 s21, exec_lo
	v_mbcnt_lo_u32_b32 v17, s22, 0
	s_waitcnt lgkmcnt(0)
	s_waitcnt_vscnt null, 0x0
	buffer_gl1_inv
	buffer_gl0_inv
	v_cmpx_eq_u32_e32 0, v17
	s_cbranch_execz .LBB2_2453
; %bb.2452:                             ;   in Loop: Header=BB2_2420 Depth=1
	s_bcnt1_i32_b32 s22, s22
	s_delay_alu instid0(SALU_CYCLE_1)
	v_dual_mov_b32 v37, v11 :: v_dual_mov_b32 v36, s22
	ds_add_u64 v0, v[36:37]
	s_cbranch_execnz .LBB2_2745
.LBB2_2453:                             ;   in Loop: Header=BB2_2420 Depth=1
	s_or_b32 exec_lo, exec_lo, s21
	s_cbranch_execnz .LBB2_2735
; %bb.2454:                             ;   in Loop: Header=BB2_2420 Depth=1
	ds_load_b64 v[36:37], v0
	v_add_co_u32 v28, vcc_lo, v28, v48
	v_add_co_ci_u32_e32 v29, vcc_lo, 0, v29, vcc_lo
	s_mov_b32 s21, exec_lo
	s_waitcnt lgkmcnt(0)
	s_delay_alu instid0(VALU_DEP_1)
	v_cmpx_lt_u64_e64 v[36:37], v[28:29]
	s_cbranch_execz .LBB2_2465
; %bb.2455:                             ;   in Loop: Header=BB2_2420 Depth=1
	s_mov_b32 s22, 0
	s_mov_b32 s25, 0
                                        ; implicit-def: $sgpr23
                                        ; implicit-def: $sgpr24
	s_branch .LBB2_2457
.LBB2_2456:                             ;   in Loop: Header=BB2_2457 Depth=2
	s_or_b32 exec_lo, exec_lo, s28
	s_delay_alu instid0(SALU_CYCLE_1) | instskip(NEXT) | instid1(SALU_CYCLE_1)
	s_and_b32 s26, exec_lo, s27
	s_or_b32 s22, s26, s22
	s_and_not1_b32 s23, s23, exec_lo
	s_and_b32 s26, s24, exec_lo
	s_delay_alu instid0(SALU_CYCLE_1)
	s_or_b32 s23, s23, s26
	s_and_not1_b32 exec_lo, exec_lo, s22
	s_cbranch_execz .LBB2_2463
.LBB2_2457:                             ;   Parent Loop BB2_2420 Depth=1
                                        ; =>  This Inner Loop Header: Depth=2
	s_add_i32 s25, s25, 1
                                        ; implicit-def: $sgpr27
	s_delay_alu instid0(SALU_CYCLE_1) | instskip(SKIP_1) | instid1(SALU_CYCLE_1)
	s_cmpk_lg_i32 s25, 0x2710
	s_cselect_b32 s26, -1, 0
	s_and_b32 vcc_lo, exec_lo, s26
	s_cbranch_vccz .LBB2_2461
.LBB2_2458:                             ;   in Loop: Header=BB2_2457 Depth=2
	s_and_not1_b32 s24, s24, exec_lo
	s_and_b32 s28, s27, exec_lo
	s_mov_b32 s27, -1
	s_or_b32 s24, s24, s28
	s_and_saveexec_b32 s28, s26
	s_cbranch_execz .LBB2_2456
; %bb.2459:                             ;   in Loop: Header=BB2_2457 Depth=2
	s_sleep 1
	s_cbranch_execnz .LBB2_2773
; %bb.2460:                             ;   in Loop: Header=BB2_2457 Depth=2
	ds_load_b64 v[36:37], v0
	s_and_not1_b32 s24, s24, exec_lo
	s_waitcnt lgkmcnt(0)
	v_cmp_ge_u64_e32 vcc_lo, v[36:37], v[28:29]
	s_or_not1_b32 s27, vcc_lo, exec_lo
	s_branch .LBB2_2456
.LBB2_2461:                             ;   in Loop: Header=BB2_2457 Depth=2
	s_cbranch_execnz .LBB2_2783
; %bb.2462:                             ;   in Loop: Header=BB2_2457 Depth=2
	ds_load_b64 v[36:37], v0
	s_and_not1_b32 s26, s26, exec_lo
	s_mov_b32 s25, 0
	s_mov_b32 s27, -1
	s_waitcnt lgkmcnt(0)
	flat_load_b32 v17, v[36:37] glc
	s_waitcnt vmcnt(0) lgkmcnt(0)
	buffer_gl1_inv
	buffer_gl0_inv
	v_cmp_eq_u32_e32 vcc_lo, 0, v17
	s_and_b32 s28, vcc_lo, exec_lo
	s_delay_alu instid0(SALU_CYCLE_1)
	s_or_b32 s26, s26, s28
	s_branch .LBB2_2458
.LBB2_2463:                             ;   in Loop: Header=BB2_2420 Depth=1
	s_or_b32 exec_lo, exec_lo, s22
	s_and_saveexec_b32 s22, s23
	s_delay_alu instid0(SALU_CYCLE_1)
	s_xor_b32 s22, exec_lo, s22
	s_cbranch_execz .LBB2_2465
; %bb.2464:                             ;   in Loop: Header=BB2_2420 Depth=1
	ds_store_b32 v0, v70
	s_cbranch_execnz .LBB2_2881
.LBB2_2465:                             ;   in Loop: Header=BB2_2420 Depth=1
	s_or_b32 exec_lo, exec_lo, s21
	;;#ASMSTART
	s_wakeup
	;;#ASMEND
.LBB2_2466:                             ;   in Loop: Header=BB2_2420 Depth=1
	s_or_b32 exec_lo, exec_lo, s20
.LBB2_2467:                             ;   in Loop: Header=BB2_2420 Depth=1
	s_and_not1_saveexec_b32 s11, s11
	s_cbranch_execz .LBB2_2469
; %bb.2468:                             ;   in Loop: Header=BB2_2420 Depth=1
	s_waitcnt lgkmcnt(0)
	s_waitcnt_vscnt null, 0x0
	buffer_gl1_inv
	buffer_gl0_inv
	s_barrier
.LBB2_2469:                             ;   in Loop: Header=BB2_2420 Depth=1
	s_or_b32 exec_lo, exec_lo, s11
.LBB2_2470:                             ;   in Loop: Header=BB2_2420 Depth=1
	s_delay_alu instid0(SALU_CYCLE_1)
	s_or_b32 exec_lo, exec_lo, s10
	s_cbranch_execnz .LBB2_2682
; %bb.2471:                             ;   in Loop: Header=BB2_2420 Depth=1
	ds_load_b32 v17, v0
	v_and_b32_e32 v36, 0x4000, v64
	s_delay_alu instid0(VALU_DEP_1) | instskip(SKIP_1) | instid1(SALU_CYCLE_1)
	v_cmp_ne_u32_e32 vcc_lo, 0, v36
	s_and_b32 s11, s17, vcc_lo
	s_and_saveexec_b32 s10, s11
	s_cbranch_execz .LBB2_2493
; %bb.2472:                             ;   in Loop: Header=BB2_2420 Depth=1
	s_and_saveexec_b32 s11, s3
	s_delay_alu instid0(SALU_CYCLE_1)
	s_xor_b32 s11, exec_lo, s11
	s_cbranch_execz .LBB2_2490
; %bb.2473:                             ;   in Loop: Header=BB2_2420 Depth=1
	s_and_saveexec_b32 s20, s4
	s_cbranch_execz .LBB2_2489
; %bb.2474:                             ;   in Loop: Header=BB2_2420 Depth=1
	s_mov_b32 s22, exec_lo
	s_mov_b32 s21, exec_lo
	v_mbcnt_lo_u32_b32 v36, s22, 0
	s_waitcnt lgkmcnt(0)
	s_waitcnt_vscnt null, 0x0
	buffer_gl1_inv
	buffer_gl0_inv
	v_cmpx_eq_u32_e32 0, v36
	s_cbranch_execz .LBB2_2476
; %bb.2475:                             ;   in Loop: Header=BB2_2420 Depth=1
	s_bcnt1_i32_b32 s22, s22
	s_delay_alu instid0(SALU_CYCLE_1)
	v_dual_mov_b32 v37, v11 :: v_dual_mov_b32 v36, s22
	ds_add_u64 v0, v[36:37]
	s_cbranch_execnz .LBB2_2771
.LBB2_2476:                             ;   in Loop: Header=BB2_2420 Depth=1
	s_or_b32 exec_lo, exec_lo, s21
	s_cbranch_execnz .LBB2_2759
; %bb.2477:                             ;   in Loop: Header=BB2_2420 Depth=1
	ds_load_b64 v[36:37], v0
	v_add_co_u32 v28, vcc_lo, v28, v48
	v_add_co_ci_u32_e32 v29, vcc_lo, 0, v29, vcc_lo
	s_mov_b32 s21, exec_lo
	s_waitcnt lgkmcnt(0)
	s_delay_alu instid0(VALU_DEP_1)
	v_cmpx_lt_u64_e64 v[36:37], v[28:29]
	s_cbranch_execz .LBB2_2488
; %bb.2478:                             ;   in Loop: Header=BB2_2420 Depth=1
	s_mov_b32 s22, 0
	s_mov_b32 s25, 0
                                        ; implicit-def: $sgpr23
                                        ; implicit-def: $sgpr24
	s_branch .LBB2_2480
.LBB2_2479:                             ;   in Loop: Header=BB2_2480 Depth=2
	s_or_b32 exec_lo, exec_lo, s28
	s_delay_alu instid0(SALU_CYCLE_1) | instskip(NEXT) | instid1(SALU_CYCLE_1)
	s_and_b32 s26, exec_lo, s27
	s_or_b32 s22, s26, s22
	s_and_not1_b32 s23, s23, exec_lo
	s_and_b32 s26, s24, exec_lo
	s_delay_alu instid0(SALU_CYCLE_1)
	s_or_b32 s23, s23, s26
	s_and_not1_b32 exec_lo, exec_lo, s22
	s_cbranch_execz .LBB2_2486
.LBB2_2480:                             ;   Parent Loop BB2_2420 Depth=1
                                        ; =>  This Inner Loop Header: Depth=2
	s_add_i32 s25, s25, 1
                                        ; implicit-def: $sgpr27
	s_delay_alu instid0(SALU_CYCLE_1) | instskip(SKIP_1) | instid1(SALU_CYCLE_1)
	s_cmpk_lg_i32 s25, 0x2710
	s_cselect_b32 s26, -1, 0
	s_and_b32 vcc_lo, exec_lo, s26
	s_cbranch_vccz .LBB2_2484
.LBB2_2481:                             ;   in Loop: Header=BB2_2480 Depth=2
	s_and_not1_b32 s24, s24, exec_lo
	s_and_b32 s28, s27, exec_lo
	s_mov_b32 s27, -1
	s_or_b32 s24, s24, s28
	s_and_saveexec_b32 s28, s26
	s_cbranch_execz .LBB2_2479
; %bb.2482:                             ;   in Loop: Header=BB2_2480 Depth=2
	s_sleep 1
	s_cbranch_execnz .LBB2_2803
; %bb.2483:                             ;   in Loop: Header=BB2_2480 Depth=2
	ds_load_b64 v[36:37], v0
	s_and_not1_b32 s24, s24, exec_lo
	s_waitcnt lgkmcnt(0)
	v_cmp_ge_u64_e32 vcc_lo, v[36:37], v[28:29]
	s_or_not1_b32 s27, vcc_lo, exec_lo
	s_branch .LBB2_2479
.LBB2_2484:                             ;   in Loop: Header=BB2_2480 Depth=2
	s_cbranch_execnz .LBB2_2817
; %bb.2485:                             ;   in Loop: Header=BB2_2480 Depth=2
	ds_load_b64 v[36:37], v0
	s_and_not1_b32 s26, s26, exec_lo
	s_mov_b32 s25, 0
	s_mov_b32 s27, -1
	s_waitcnt lgkmcnt(0)
	flat_load_b32 v36, v[36:37] glc
	s_waitcnt vmcnt(0) lgkmcnt(0)
	buffer_gl1_inv
	buffer_gl0_inv
	v_cmp_eq_u32_e32 vcc_lo, 0, v36
	s_and_b32 s28, vcc_lo, exec_lo
	s_delay_alu instid0(SALU_CYCLE_1)
	s_or_b32 s26, s26, s28
	s_branch .LBB2_2481
.LBB2_2486:                             ;   in Loop: Header=BB2_2420 Depth=1
	s_or_b32 exec_lo, exec_lo, s22
	s_and_saveexec_b32 s22, s23
	s_delay_alu instid0(SALU_CYCLE_1)
	s_xor_b32 s22, exec_lo, s22
	s_cbranch_execz .LBB2_2488
; %bb.2487:                             ;   in Loop: Header=BB2_2420 Depth=1
	ds_store_b32 v0, v70
	s_cbranch_execnz .LBB2_2889
.LBB2_2488:                             ;   in Loop: Header=BB2_2420 Depth=1
	s_or_b32 exec_lo, exec_lo, s21
	;;#ASMSTART
	s_wakeup
	;;#ASMEND
.LBB2_2489:                             ;   in Loop: Header=BB2_2420 Depth=1
	s_or_b32 exec_lo, exec_lo, s20
.LBB2_2490:                             ;   in Loop: Header=BB2_2420 Depth=1
	s_and_not1_saveexec_b32 s11, s11
	s_cbranch_execz .LBB2_2492
; %bb.2491:                             ;   in Loop: Header=BB2_2420 Depth=1
	s_waitcnt lgkmcnt(0)
	s_waitcnt_vscnt null, 0x0
	buffer_gl1_inv
	buffer_gl0_inv
	s_barrier
.LBB2_2492:                             ;   in Loop: Header=BB2_2420 Depth=1
	s_or_b32 exec_lo, exec_lo, s11
.LBB2_2493:                             ;   in Loop: Header=BB2_2420 Depth=1
	s_delay_alu instid0(SALU_CYCLE_1)
	s_or_b32 exec_lo, exec_lo, s10
	s_cbranch_execnz .LBB2_2698
; %bb.2494:                             ;   in Loop: Header=BB2_2420 Depth=1
	ds_load_b64 v[36:37], v0
	s_waitcnt lgkmcnt(0)
	v_cmp_eq_u64_e32 vcc_lo, 0, v[36:37]
	s_or_b32 s10, vcc_lo, vcc_lo
	s_delay_alu instid0(SALU_CYCLE_1)
	s_and_b32 vcc_lo, exec_lo, s10
	s_mov_b32 s10, 0
	s_cbranch_vccnz .LBB2_2527
; %bb.2495:                             ;   in Loop: Header=BB2_2420 Depth=1
	s_mov_b32 s10, -1
	s_and_saveexec_b32 s11, s5
	s_cbranch_execz .LBB2_2497
; %bb.2496:                             ;   in Loop: Header=BB2_2420 Depth=1
	ds_load_b32 v36, v0 offset:720
	s_waitcnt lgkmcnt(0)
	v_and_b32_e32 v36, 15, v36
	s_delay_alu instid0(VALU_DEP_1)
	v_cmp_eq_u32_e32 vcc_lo, 0, v36
	s_or_not1_b32 s10, vcc_lo, exec_lo
.LBB2_2497:                             ;   in Loop: Header=BB2_2420 Depth=1
	s_or_b32 exec_lo, exec_lo, s11
	s_and_saveexec_b32 s11, s6
	s_cbranch_execz .LBB2_2499
; %bb.2498:                             ;   in Loop: Header=BB2_2420 Depth=1
	ds_load_b32 v36, v0 offset:784
	s_waitcnt lgkmcnt(0)
	v_and_b32_e32 v36, 15, v36
	s_delay_alu instid0(VALU_DEP_1) | instskip(SKIP_3) | instid1(SALU_CYCLE_1)
	v_cmp_eq_u32_e32 vcc_lo, 0, v36
	s_and_b32 s20, s10, vcc_lo
	s_and_not1_b32 s10, s10, exec_lo
	s_and_b32 s20, s20, exec_lo
	s_or_b32 s10, s10, s20
.LBB2_2499:                             ;   in Loop: Header=BB2_2420 Depth=1
	s_or_b32 exec_lo, exec_lo, s11
	v_cmp_eq_u32_e32 vcc_lo, 0, v17
	s_xor_b32 s10, s10, -1
	v_dual_mov_b32 v81, v0 :: v_dual_mov_b32 v84, v49
	v_cndmask_b32_e64 v36, 0, 1, s10
	v_dual_cndmask_b32 v17, 0, v10 :: v_dual_mov_b32 v80, 0
	;;#ASMSTART
	;;#ASMEND
	s_delay_alu instid0(VALU_DEP_2) | instskip(SKIP_1) | instid1(VALU_DEP_2)
	v_cmp_ne_u32_e32 vcc_lo, 0, v36
	s_mov_b32 s10, -1
	v_mov_b32_e32 v71, v17
	s_cbranch_vccnz .LBB2_2515
; %bb.2500:                             ;   in Loop: Header=BB2_2420 Depth=1
	v_lshrrev_b32_e32 v36, 10, v17
	s_mov_b32 s11, exec_lo
	s_delay_alu instid0(VALU_DEP_1) | instskip(NEXT) | instid1(VALU_DEP_1)
	v_sub_nc_u32_e32 v82, v36, v49
	v_cmpx_lt_i32_e32 0, v82
	s_cbranch_execz .LBB2_2505
; %bb.2501:                             ;   in Loop: Header=BB2_2420 Depth=1
	s_cbranch_execnz .LBB2_2787
; %bb.2502:                             ;   in Loop: Header=BB2_2420 Depth=1
	ds_load_b64 v[36:37], v0
	v_dual_mov_b32 v39, v13 :: v_dual_mov_b32 v38, v12
	s_mov_b32 s20, 0
.LBB2_2503:                             ;   Parent Loop BB2_2420 Depth=1
                                        ; =>  This Inner Loop Header: Depth=2
	s_waitcnt lgkmcnt(0)
	s_delay_alu instid0(VALU_DEP_1) | instskip(NEXT) | instid1(VALU_DEP_2)
	v_add_co_u32 v80, vcc_lo, v36, v38
	v_add_co_ci_u32_e32 v81, vcc_lo, v37, v39, vcc_lo
	v_sub_nc_u32_e32 v82, v82, v48
	v_add_co_u32 v38, s10, v38, v52
	s_clause 0x1
	global_load_b128 v[83:86], v[80:81], off slc dlc
	global_load_b128 v[96:99], v[80:81], off offset:512 slc dlc
	v_add_co_ci_u32_e64 v39, s10, v39, v53, s10
	v_cmp_gt_i32_e32 vcc_lo, 1, v82
	s_waitcnt vmcnt(1)
	global_store_b128 v[80:81], v[83:86], off glc slc dlc
	s_waitcnt vmcnt(0)
	global_store_b128 v[80:81], v[96:99], off offset:512 glc slc dlc
	s_or_b32 s20, vcc_lo, s20
	s_delay_alu instid0(SALU_CYCLE_1)
	s_and_not1_b32 exec_lo, exec_lo, s20
	s_cbranch_execnz .LBB2_2503
; %bb.2504:                             ;   in Loop: Header=BB2_2420 Depth=1
	s_or_b32 exec_lo, exec_lo, s20
.LBB2_2505:                             ;   in Loop: Header=BB2_2420 Depth=1
	s_delay_alu instid0(SALU_CYCLE_1) | instskip(SKIP_3) | instid1(VALU_DEP_1)
	s_or_b32 exec_lo, exec_lo, s11
	v_dual_mov_b32 v80, 0 :: v_dual_and_b32 v83, 0x3ffffc00, v17
	s_mov_b32 s10, 0
	s_mov_b32 s20, exec_lo
                                        ; implicit-def: $vgpr71
                                        ; implicit-def: $vgpr81
                                        ; implicit-def: $vgpr84
	v_cmpx_ne_u32_e64 v83, v17
	s_cbranch_execz .LBB2_2514
; %bb.2506:                             ;   in Loop: Header=BB2_2420 Depth=1
	v_lshlrev_b32_e32 v36, 5, v82
	v_and_b32_e32 v39, 0x200, v17
	v_bfe_u32 v81, v17, 9, 1
	s_mov_b32 s21, exec_lo
	s_delay_alu instid0(VALU_DEP_3) | instskip(NEXT) | instid1(VALU_DEP_1)
	v_sub_nc_u32_e32 v36, v51, v36
	v_ashrrev_i32_e32 v37, 31, v36
	s_delay_alu instid0(VALU_DEP_1) | instskip(NEXT) | instid1(VALU_DEP_1)
	v_lshrrev_b32_e32 v37, 27, v37
	v_add_nc_u32_e32 v37, v36, v37
	s_delay_alu instid0(VALU_DEP_1) | instskip(SKIP_1) | instid1(VALU_DEP_2)
	v_and_b32_e32 v38, 0xffffffe0, v37
	v_ashrrev_i32_e32 v37, 5, v37
	v_sub_nc_u32_e32 v38, v36, v38
	v_and_b32_e32 v36, 0x3ff, v17
	s_delay_alu instid0(VALU_DEP_2) | instskip(NEXT) | instid1(VALU_DEP_2)
	v_lshlrev_b32_e32 v71, 4, v38
	v_sub_nc_u32_e32 v39, v36, v39
	s_delay_alu instid0(VALU_DEP_2) | instskip(NEXT) | instid1(VALU_DEP_2)
	v_lshl_add_u32 v80, v37, 9, v71
	v_cmp_lt_i32_e32 vcc_lo, 15, v39
	s_delay_alu instid0(VALU_DEP_2) | instskip(SKIP_1) | instid1(VALU_DEP_1)
	v_sub_nc_u32_e32 v71, v36, v80
	v_add_co_ci_u32_e64 v81, s10, 0, v81, vcc_lo
	v_sub_nc_u32_e32 v82, v81, v37
	s_delay_alu instid0(VALU_DEP_3)
	v_cmpx_lt_i32_e32 15, v71
	s_cbranch_execz .LBB2_2511
; %bb.2507:                             ;   in Loop: Header=BB2_2420 Depth=1
	s_cbranch_execnz .LBB2_2841
; %bb.2508:                             ;   in Loop: Header=BB2_2420 Depth=1
	ds_load_b64 v[36:37], v0
	v_add_nc_u32_e32 v80, v80, v83
	s_mov_b32 s22, 0
	s_delay_alu instid0(VALU_DEP_1)
	v_ashrrev_i32_e32 v81, 31, v80
.LBB2_2509:                             ;   Parent Loop BB2_2420 Depth=1
                                        ; =>  This Inner Loop Header: Depth=2
	s_waitcnt lgkmcnt(0)
	v_add_co_u32 v96, s10, v36, v80
	s_delay_alu instid0(VALU_DEP_1)
	v_add_co_ci_u32_e64 v97, s10, v37, v81, s10
	v_sub_nc_u32_e32 v71, v71, v50
	v_add_co_u32 v80, s11, v80, v54
	global_load_b128 v[83:86], v[96:97], off slc dlc
	v_sub_nc_u32_e32 v82, v82, v48
	v_cmp_gt_i32_e64 s10, 16, v71
	v_add_co_ci_u32_e64 v81, s11, v81, v55, s11
	s_delay_alu instid0(VALU_DEP_2)
	s_or_b32 s22, s10, s22
	s_waitcnt vmcnt(0)
	global_store_b128 v[96:97], v[83:86], off glc slc dlc
	s_and_not1_b32 exec_lo, exec_lo, s22
	s_cbranch_execnz .LBB2_2509
; %bb.2510:                             ;   in Loop: Header=BB2_2420 Depth=1
	s_or_b32 exec_lo, exec_lo, s22
.LBB2_2511:                             ;   in Loop: Header=BB2_2420 Depth=1
	s_delay_alu instid0(SALU_CYCLE_1) | instskip(SKIP_3) | instid1(VALU_DEP_1)
	s_or_b32 exec_lo, exec_lo, s21
	v_and_b32_e32 v36, 15, v17
	s_mov_b32 s11, 0
	s_mov_b32 s21, exec_lo
                                        ; implicit-def: $vgpr81
                                        ; implicit-def: $vgpr84
	v_dual_mov_b32 v80, 0 :: v_dual_cndmask_b32 v71, v39, v36
	s_delay_alu instid0(VALU_DEP_1)
	v_cmpx_ne_u32_e32 0, v71
	s_cbranch_execz .LBB2_2513
; %bb.2512:                             ;   in Loop: Header=BB2_2420 Depth=1
	v_cmp_lt_i32_e64 s10, 0, v82
	v_sub_nc_u32_e32 v36, v39, v36
	s_mov_b32 s11, exec_lo
	s_delay_alu instid0(VALU_DEP_2) | instskip(NEXT) | instid1(VALU_DEP_1)
	v_cndmask_b32_e64 v37, 0, v48, s10
	v_sub_nc_u32_e32 v37, v37, v82
	s_delay_alu instid0(VALU_DEP_1) | instskip(SKIP_1) | instid1(VALU_DEP_2)
	v_lshl_add_u32 v81, v37, 5, v38
	v_and_b32_e32 v38, 0x3ffffe00, v17
	v_ashrrev_i32_e32 v37, 31, v81
	s_delay_alu instid0(VALU_DEP_1) | instskip(NEXT) | instid1(VALU_DEP_1)
	v_lshrrev_b32_e32 v37, 27, v37
	v_dual_cndmask_b32 v36, 0, v36 :: v_dual_add_nc_u32 v37, v81, v37
	s_delay_alu instid0(VALU_DEP_1) | instskip(NEXT) | instid1(VALU_DEP_2)
	v_add_nc_u32_e32 v80, v36, v38
	v_ashrrev_i32_e32 v84, 5, v37
.LBB2_2513:                             ;   in Loop: Header=BB2_2420 Depth=1
	s_or_b32 exec_lo, exec_lo, s21
	s_delay_alu instid0(SALU_CYCLE_1)
	s_and_b32 s10, s11, exec_lo
.LBB2_2514:                             ;   in Loop: Header=BB2_2420 Depth=1
	s_or_b32 exec_lo, exec_lo, s20
.LBB2_2515:                             ;   in Loop: Header=BB2_2420 Depth=1
	s_and_saveexec_b32 s11, s10
	s_cbranch_execz .LBB2_2526
; %bb.2516:                             ;   in Loop: Header=BB2_2420 Depth=1
	s_delay_alu instid0(VALU_DEP_1) | instskip(SKIP_1) | instid1(VALU_DEP_1)
	v_ashrrev_i32_e32 v36, 31, v71
	s_mov_b32 s10, exec_lo
	v_lshrrev_b32_e32 v36, 24, v36
	s_delay_alu instid0(VALU_DEP_1) | instskip(NEXT) | instid1(VALU_DEP_1)
	v_add_nc_u32_e32 v36, v71, v36
	v_ashrrev_i32_e32 v83, 8, v36
	s_delay_alu instid0(VALU_DEP_1) | instskip(NEXT) | instid1(VALU_DEP_1)
	v_sub_nc_u32_e32 v82, v83, v84
	v_cmpx_lt_i32_e32 0, v82
	s_cbranch_execz .LBB2_2521
; %bb.2517:                             ;   in Loop: Header=BB2_2420 Depth=1
	s_cbranch_execnz .LBB2_2775
; %bb.2518:                             ;   in Loop: Header=BB2_2420 Depth=1
	v_ashrrev_i32_e32 v36, 31, v81
	s_mov_b32 s20, 0
	s_delay_alu instid0(VALU_DEP_1) | instskip(NEXT) | instid1(VALU_DEP_1)
	v_lshrrev_b32_e32 v36, 27, v36
	v_add_nc_u32_e32 v38, v81, v36
	ds_load_b64 v[36:37], v0
	v_lshlrev_b32_e32 v39, 8, v84
	v_and_b32_e32 v38, 0xffffffe0, v38
	s_delay_alu instid0(VALU_DEP_1) | instskip(NEXT) | instid1(VALU_DEP_1)
	v_sub_nc_u32_e32 v38, v81, v38
	v_add3_u32 v84, v80, v38, v39
	s_delay_alu instid0(VALU_DEP_1)
	v_ashrrev_i32_e32 v85, 31, v84
	s_waitcnt lgkmcnt(0)
	v_dual_mov_b32 v39, v37 :: v_dual_mov_b32 v38, v36
.LBB2_2519:                             ;   Parent Loop BB2_2420 Depth=1
                                        ; =>  This Inner Loop Header: Depth=2
	s_delay_alu instid0(VALU_DEP_1) | instskip(NEXT) | instid1(VALU_DEP_2)
	v_add_co_u32 v86, vcc_lo, v84, v38
	v_add_co_ci_u32_e32 v87, vcc_lo, v85, v39, vcc_lo
	v_sub_nc_u32_e32 v82, v82, v48
	s_clause 0x7
	flat_load_u8 v96, v[86:87] slc dlc
	flat_load_u8 v97, v[86:87] offset:32 slc dlc
	flat_load_u8 v98, v[86:87] offset:64 slc dlc
	;; [unrolled: 1-line block ×7, first 2 shown]
	v_add_co_u32 v86, vcc_lo, v84, v36
	v_add_co_ci_u32_e32 v87, vcc_lo, v85, v37, vcc_lo
	v_add_co_u32 v38, vcc_lo, v38, v67
	v_add_co_ci_u32_e32 v39, vcc_lo, v39, v68, vcc_lo
	;; [unrolled: 2-line block ×3, first 2 shown]
	v_cmp_gt_i32_e32 vcc_lo, 1, v82
	s_waitcnt vmcnt(7) lgkmcnt(7)
	flat_store_b8 v[86:87], v96 glc slc dlc
	s_waitcnt vmcnt(6) lgkmcnt(7)
	flat_store_b8 v[86:87], v97 offset:32 glc slc dlc
	s_waitcnt vmcnt(5) lgkmcnt(7)
	flat_store_b8 v[86:87], v98 offset:64 glc slc dlc
	;; [unrolled: 2-line block ×7, first 2 shown]
	s_or_b32 s20, vcc_lo, s20
	s_delay_alu instid0(SALU_CYCLE_1)
	s_and_not1_b32 exec_lo, exec_lo, s20
	s_cbranch_execnz .LBB2_2519
; %bb.2520:                             ;   in Loop: Header=BB2_2420 Depth=1
	s_or_b32 exec_lo, exec_lo, s20
.LBB2_2521:                             ;   in Loop: Header=BB2_2420 Depth=1
	s_delay_alu instid0(SALU_CYCLE_1) | instskip(SKIP_1) | instid1(VALU_DEP_1)
	s_or_b32 exec_lo, exec_lo, s10
	v_lshlrev_b32_e32 v36, 8, v83
	v_cmp_ne_u32_e32 vcc_lo, v71, v36
	s_and_b32 exec_lo, exec_lo, vcc_lo
	s_cbranch_execz .LBB2_2526
; %bb.2522:                             ;   in Loop: Header=BB2_2420 Depth=1
	v_ashrrev_i32_e32 v37, 31, v81
	v_lshlrev_b32_e32 v38, 5, v82
	s_delay_alu instid0(VALU_DEP_2) | instskip(NEXT) | instid1(VALU_DEP_1)
	v_lshrrev_b32_e32 v37, 27, v37
	v_add_nc_u32_e32 v37, v81, v37
	s_delay_alu instid0(VALU_DEP_1) | instskip(NEXT) | instid1(VALU_DEP_1)
	v_and_b32_e32 v37, 0xffffffe0, v37
	v_sub_nc_u32_e32 v37, v81, v37
	s_delay_alu instid0(VALU_DEP_1) | instskip(NEXT) | instid1(VALU_DEP_1)
	v_sub_nc_u32_e32 v37, v37, v38
	v_add_nc_u32_e32 v39, v36, v37
	s_delay_alu instid0(VALU_DEP_1) | instskip(NEXT) | instid1(VALU_DEP_1)
	v_sub_nc_u32_e32 v38, v71, v39
	v_cmp_lt_i32_e32 vcc_lo, 0, v38
	s_and_b32 exec_lo, exec_lo, vcc_lo
	s_cbranch_execz .LBB2_2526
; %bb.2523:                             ;   in Loop: Header=BB2_2420 Depth=1
	s_cbranch_execnz .LBB2_2823
; %bb.2524:                             ;   in Loop: Header=BB2_2420 Depth=1
	ds_load_b64 v[36:37], v0
	v_add_nc_u32_e32 v39, v39, v80
	s_mov_b32 s20, 0
	s_delay_alu instid0(VALU_DEP_1)
	v_ashrrev_i32_e32 v71, 31, v39
.LBB2_2525:                             ;   Parent Loop BB2_2420 Depth=1
                                        ; =>  This Inner Loop Header: Depth=2
	s_waitcnt lgkmcnt(0)
	v_add_co_u32 v80, vcc_lo, v36, v39
	s_delay_alu instid0(VALU_DEP_2)
	v_add_co_ci_u32_e32 v81, vcc_lo, v37, v71, vcc_lo
	v_sub_nc_u32_e32 v38, v38, v66
	v_add_co_u32 v39, s10, v39, v66
	flat_load_u8 v82, v[80:81] slc dlc
	v_add_co_ci_u32_e64 v71, s10, v71, v69, s10
	v_cmp_gt_i32_e32 vcc_lo, 1, v38
	s_or_b32 s20, vcc_lo, s20
	s_waitcnt vmcnt(0) lgkmcnt(0)
	flat_store_b8 v[80:81], v82 glc slc dlc
	s_and_not1_b32 exec_lo, exec_lo, s20
	s_cbranch_execnz .LBB2_2525
.LBB2_2526:                             ;   in Loop: Header=BB2_2420 Depth=1
	s_or_b32 exec_lo, exec_lo, s11
	v_cmp_ne_u32_e64 s10, 0, v17
.LBB2_2527:                             ;   in Loop: Header=BB2_2420 Depth=1
	s_and_saveexec_b32 s11, s2
	s_cbranch_execz .LBB2_2549
; %bb.2528:                             ;   in Loop: Header=BB2_2420 Depth=1
	s_and_saveexec_b32 s20, s3
	s_delay_alu instid0(SALU_CYCLE_1)
	s_xor_b32 s20, exec_lo, s20
	s_cbranch_execz .LBB2_2546
; %bb.2529:                             ;   in Loop: Header=BB2_2420 Depth=1
	s_and_saveexec_b32 s21, s4
	s_cbranch_execz .LBB2_2545
; %bb.2530:                             ;   in Loop: Header=BB2_2420 Depth=1
	s_mov_b32 s23, exec_lo
	s_mov_b32 s22, exec_lo
	v_mbcnt_lo_u32_b32 v17, s23, 0
	s_waitcnt lgkmcnt(0)
	s_waitcnt_vscnt null, 0x0
	buffer_gl1_inv
	buffer_gl0_inv
	v_cmpx_eq_u32_e32 0, v17
	s_cbranch_execz .LBB2_2532
; %bb.2531:                             ;   in Loop: Header=BB2_2420 Depth=1
	s_bcnt1_i32_b32 s23, s23
	s_delay_alu instid0(SALU_CYCLE_1)
	v_dual_mov_b32 v37, v11 :: v_dual_mov_b32 v36, s23
	ds_add_u64 v0, v[36:37]
	s_cbranch_execnz .LBB2_2805
.LBB2_2532:                             ;   in Loop: Header=BB2_2420 Depth=1
	s_or_b32 exec_lo, exec_lo, s22
	s_cbranch_execnz .LBB2_2791
; %bb.2533:                             ;   in Loop: Header=BB2_2420 Depth=1
	ds_load_b64 v[36:37], v0
	v_add_co_u32 v28, vcc_lo, v28, v48
	v_add_co_ci_u32_e32 v29, vcc_lo, 0, v29, vcc_lo
	s_mov_b32 s22, exec_lo
	s_waitcnt lgkmcnt(0)
	s_delay_alu instid0(VALU_DEP_1)
	v_cmpx_lt_u64_e64 v[36:37], v[28:29]
	s_cbranch_execz .LBB2_2544
; %bb.2534:                             ;   in Loop: Header=BB2_2420 Depth=1
	s_mov_b32 s23, 0
	s_mov_b32 s26, 0
                                        ; implicit-def: $sgpr24
                                        ; implicit-def: $sgpr25
	s_branch .LBB2_2536
.LBB2_2535:                             ;   in Loop: Header=BB2_2536 Depth=2
	s_or_b32 exec_lo, exec_lo, s29
	s_delay_alu instid0(SALU_CYCLE_1) | instskip(NEXT) | instid1(SALU_CYCLE_1)
	s_and_b32 s27, exec_lo, s28
	s_or_b32 s23, s27, s23
	s_and_not1_b32 s24, s24, exec_lo
	s_and_b32 s27, s25, exec_lo
	s_delay_alu instid0(SALU_CYCLE_1)
	s_or_b32 s24, s24, s27
	s_and_not1_b32 exec_lo, exec_lo, s23
	s_cbranch_execz .LBB2_2542
.LBB2_2536:                             ;   Parent Loop BB2_2420 Depth=1
                                        ; =>  This Inner Loop Header: Depth=2
	s_add_i32 s26, s26, 1
                                        ; implicit-def: $sgpr28
	s_delay_alu instid0(SALU_CYCLE_1) | instskip(SKIP_1) | instid1(SALU_CYCLE_1)
	s_cmpk_lg_i32 s26, 0x2710
	s_cselect_b32 s27, -1, 0
	s_and_b32 vcc_lo, exec_lo, s27
	s_cbranch_vccz .LBB2_2540
.LBB2_2537:                             ;   in Loop: Header=BB2_2536 Depth=2
	s_and_not1_b32 s25, s25, exec_lo
	s_and_b32 s29, s28, exec_lo
	s_mov_b32 s28, -1
	s_or_b32 s25, s25, s29
	s_and_saveexec_b32 s29, s27
	s_cbranch_execz .LBB2_2535
; %bb.2538:                             ;   in Loop: Header=BB2_2536 Depth=2
	s_sleep 1
	s_cbranch_execnz .LBB2_2855
; %bb.2539:                             ;   in Loop: Header=BB2_2536 Depth=2
	ds_load_b64 v[36:37], v0
	s_and_not1_b32 s25, s25, exec_lo
	s_waitcnt lgkmcnt(0)
	v_cmp_ge_u64_e32 vcc_lo, v[36:37], v[28:29]
	s_or_not1_b32 s28, vcc_lo, exec_lo
	s_branch .LBB2_2535
.LBB2_2540:                             ;   in Loop: Header=BB2_2536 Depth=2
	s_cbranch_execnz .LBB2_2865
; %bb.2541:                             ;   in Loop: Header=BB2_2536 Depth=2
	ds_load_b64 v[36:37], v0
	s_and_not1_b32 s27, s27, exec_lo
	s_mov_b32 s26, 0
	s_mov_b32 s28, -1
	s_waitcnt lgkmcnt(0)
	flat_load_b32 v17, v[36:37] glc
	s_waitcnt vmcnt(0) lgkmcnt(0)
	buffer_gl1_inv
	buffer_gl0_inv
	v_cmp_eq_u32_e32 vcc_lo, 0, v17
	s_and_b32 s29, vcc_lo, exec_lo
	s_delay_alu instid0(SALU_CYCLE_1)
	s_or_b32 s27, s27, s29
	s_branch .LBB2_2537
.LBB2_2542:                             ;   in Loop: Header=BB2_2420 Depth=1
	s_or_b32 exec_lo, exec_lo, s23
	s_and_saveexec_b32 s23, s24
	s_delay_alu instid0(SALU_CYCLE_1)
	s_xor_b32 s23, exec_lo, s23
	s_cbranch_execz .LBB2_2544
; %bb.2543:                             ;   in Loop: Header=BB2_2420 Depth=1
	ds_store_b32 v0, v70
	s_cbranch_execnz .LBB2_2899
.LBB2_2544:                             ;   in Loop: Header=BB2_2420 Depth=1
	s_or_b32 exec_lo, exec_lo, s22
	;;#ASMSTART
	s_wakeup
	;;#ASMEND
.LBB2_2545:                             ;   in Loop: Header=BB2_2420 Depth=1
	s_or_b32 exec_lo, exec_lo, s21
.LBB2_2546:                             ;   in Loop: Header=BB2_2420 Depth=1
	s_and_not1_saveexec_b32 s20, s20
	s_cbranch_execz .LBB2_2548
; %bb.2547:                             ;   in Loop: Header=BB2_2420 Depth=1
	s_waitcnt lgkmcnt(0)
	s_waitcnt_vscnt null, 0x0
	buffer_gl1_inv
	buffer_gl0_inv
	s_barrier
.LBB2_2548:                             ;   in Loop: Header=BB2_2420 Depth=1
	s_or_b32 exec_lo, exec_lo, s20
.LBB2_2549:                             ;   in Loop: Header=BB2_2420 Depth=1
	s_delay_alu instid0(SALU_CYCLE_1) | instskip(SKIP_1) | instid1(VALU_DEP_1)
	s_or_b32 exec_lo, exec_lo, s11
	v_and_b32_e32 v17, 16, v64
	v_cmp_ne_u32_e32 vcc_lo, 0, v17
	s_and_b32 s11, vcc_lo, s10
	s_delay_alu instid0(SALU_CYCLE_1)
	s_and_saveexec_b32 s10, s11
	s_cbranch_execz .LBB2_2551
; %bb.2550:                             ;   in Loop: Header=BB2_2420 Depth=1
	s_waitcnt lgkmcnt(0)
	s_waitcnt_vscnt null, 0x0
	buffer_gl1_inv
	buffer_gl0_inv
.LBB2_2551:                             ;   in Loop: Header=BB2_2420 Depth=1
	s_or_b32 exec_lo, exec_lo, s10
	s_delay_alu instid0(SALU_CYCLE_1)
	s_mov_b32 s10, exec_lo
	v_cmpx_ne_u32_e32 0, v17
	s_cbranch_execz .LBB2_2555
; %bb.2552:                             ;   in Loop: Header=BB2_2420 Depth=1
	s_and_saveexec_b32 s11, s7
	s_cbranch_execz .LBB2_2554
; %bb.2553:                             ;   in Loop: Header=BB2_2420 Depth=1
	s_waitcnt lgkmcnt(0)
	s_waitcnt_vscnt null, 0x0
	flat_store_b32 v[34:35], v70
.LBB2_2554:                             ;   in Loop: Header=BB2_2420 Depth=1
	s_or_b32 exec_lo, exec_lo, s11
	v_add_co_u32 v8, vcc_lo, v8, 1
	v_add_co_ci_u32_e32 v9, vcc_lo, 0, v9, vcc_lo
	s_waitcnt lgkmcnt(0)
	s_waitcnt_vscnt null, 0x0
	flat_store_b64 v[22:23], v[8:9]
.LBB2_2555:                             ;   in Loop: Header=BB2_2420 Depth=1
	s_or_b32 exec_lo, exec_lo, s10
	v_mov_b32_e32 v17, v10
.LBB2_2556:                             ;   in Loop: Header=BB2_2420 Depth=1
	s_or_b32 exec_lo, exec_lo, s19
	s_and_saveexec_b32 s11, s18
	s_cbranch_execz .LBB2_2611
; %bb.2557:                             ;   in Loop: Header=BB2_2420 Depth=1
	v_and_b32_e32 v36, 8, v64
	s_mov_b32 s18, -1
	s_mov_b32 s10, exec_lo
	s_delay_alu instid0(VALU_DEP_1)
	v_cmpx_ne_u32_e32 0, v36
	s_cbranch_execz .LBB2_2571
; %bb.2558:                             ;   in Loop: Header=BB2_2420 Depth=1
	v_add_co_u32 v38, vcc_lo, v26, 8
	v_add_co_ci_u32_e32 v39, vcc_lo, 0, v27, vcc_lo
	v_add_co_u32 v36, vcc_lo, v8, 1
	v_add_co_ci_u32_e32 v37, vcc_lo, 0, v9, vcc_lo
	s_delay_alu instid0(VALU_DEP_1)
	v_cmp_lt_u64_e32 vcc_lo, v[38:39], v[36:37]
	v_mov_b32_e32 v38, 1
	s_and_saveexec_b32 s18, vcc_lo
	s_cbranch_execz .LBB2_2570
; %bb.2559:                             ;   in Loop: Header=BB2_2420 Depth=1
	v_mov_b32_e32 v38, 0
	s_mov_b32 s19, 0
                                        ; implicit-def: $sgpr20
	s_branch .LBB2_2563
.LBB2_2560:                             ;   in Loop: Header=BB2_2563 Depth=2
	s_or_b32 exec_lo, exec_lo, s24
	v_mov_b32_e32 v39, 0
	s_or_not1_b32 s23, s23, exec_lo
.LBB2_2561:                             ;   in Loop: Header=BB2_2563 Depth=2
	s_or_b32 exec_lo, exec_lo, s22
	s_delay_alu instid0(VALU_DEP_1) | instskip(SKIP_2) | instid1(SALU_CYCLE_1)
	v_mov_b32_e32 v38, v39
	s_and_not1_b32 s20, s20, exec_lo
	s_and_b32 s22, s23, exec_lo
	s_or_b32 s20, s20, s22
.LBB2_2562:                             ;   in Loop: Header=BB2_2563 Depth=2
	s_or_b32 exec_lo, exec_lo, s21
	s_waitcnt vmcnt(0) lgkmcnt(0)
	v_add_co_u32 v80, vcc_lo, v26, 8
	v_add_co_ci_u32_e32 v81, vcc_lo, 0, v27, vcc_lo
	s_xor_b32 s21, s20, -1
	s_delay_alu instid0(VALU_DEP_1) | instskip(SKIP_1) | instid1(SALU_CYCLE_1)
	v_cmp_ge_u64_e32 vcc_lo, v[80:81], v[36:37]
	s_or_b32 s21, s21, vcc_lo
	s_and_b32 s21, exec_lo, s21
	s_delay_alu instid0(SALU_CYCLE_1) | instskip(NEXT) | instid1(SALU_CYCLE_1)
	s_or_b32 s19, s21, s19
	s_and_not1_b32 exec_lo, exec_lo, s19
	s_cbranch_execz .LBB2_2569
.LBB2_2563:                             ;   Parent Loop BB2_2420 Depth=1
                                        ; =>  This Inner Loop Header: Depth=2
	s_sleep 1
	flat_load_b64 v[26:27], v[22:23] glc
	v_and_b32_e32 v39, 64, v64
	s_and_not1_b32 s20, s20, exec_lo
	s_mov_b32 s21, exec_lo
	s_delay_alu instid0(VALU_DEP_1)
	v_cmpx_eq_u32_e32 0, v39
	s_cbranch_execz .LBB2_2562
; %bb.2564:                             ;   in Loop: Header=BB2_2563 Depth=2
	v_add_nc_u32_e32 v39, 1, v38
	s_mov_b32 s23, -1
	s_mov_b32 s22, exec_lo
	v_cmpx_lt_i32_e32 0x270e, v38
	s_cbranch_execz .LBB2_2561
; %bb.2565:                             ;   in Loop: Header=BB2_2563 Depth=2
	s_cbranch_execnz .LBB2_2700
; %bb.2566:                             ;   in Loop: Header=BB2_2563 Depth=2
	ds_load_b64 v[38:39], v0
	s_mov_b32 s24, exec_lo
	s_waitcnt vmcnt(0) lgkmcnt(0)
	s_waitcnt_vscnt null, 0x0
	flat_load_b32 v38, v[38:39] glc
	s_waitcnt vmcnt(0) lgkmcnt(0)
	buffer_gl1_inv
	buffer_gl0_inv
	v_cmpx_ne_u32_e32 0, v38
	s_cbranch_execz .LBB2_2560
; %bb.2567:                             ;   in Loop: Header=BB2_2563 Depth=2
	ds_store_b32 v0, v38
	s_cbranch_execnz .LBB2_2737
; %bb.2568:                             ;   in Loop: Header=BB2_2563 Depth=2
	v_or_b32_e32 v64, 64, v64
	s_xor_b32 s23, exec_lo, -1
	s_branch .LBB2_2560
.LBB2_2569:                             ;   in Loop: Header=BB2_2420 Depth=1
	s_or_b32 exec_lo, exec_lo, s19
	v_and_b32_e32 v38, 8, v64
.LBB2_2570:                             ;   in Loop: Header=BB2_2420 Depth=1
	s_or_b32 exec_lo, exec_lo, s18
	s_delay_alu instid0(VALU_DEP_1)
	v_cmp_eq_u32_e32 vcc_lo, 0, v38
	;;#ASMSTART
	s_wakeup
	;;#ASMEND
	s_or_not1_b32 s18, vcc_lo, exec_lo
.LBB2_2571:                             ;   in Loop: Header=BB2_2420 Depth=1
	s_or_b32 exec_lo, exec_lo, s10
	v_sub_nc_u32_e32 v16, v16, v17
	s_xor_b32 s10, s18, -1
	s_delay_alu instid0(VALU_DEP_1)
	v_min_i32_e32 v16, v10, v16
	s_and_saveexec_b32 s18, s10
	s_cbranch_execz .LBB2_2581
; %bb.2572:                             ;   in Loop: Header=BB2_2420 Depth=1
	v_and_b32_e32 v10, 0x100, v64
	s_mov_b32 s10, -1
                                        ; implicit-def: $vgpr36_vgpr37
	s_delay_alu instid0(VALU_DEP_1)
	v_cmp_ne_u32_e32 vcc_lo, 0, v10
	v_and_b32_e32 v10, 7, v8
	s_and_saveexec_b32 s19, vcc_lo
	s_cbranch_execz .LBB2_2576
; %bb.2573:                             ;   in Loop: Header=BB2_2420 Depth=1
	s_delay_alu instid0(VALU_DEP_1)
	v_mad_u64_u32 v[38:39], null, v10, 24, v[6:7]
	v_ashrrev_i32_e32 v17, 31, v16
	flat_load_b32 v36, v[38:39]
	flat_store_b64 v[38:39], v[16:17] offset:8
	s_waitcnt vmcnt(0) lgkmcnt(1)
	v_cmp_ne_u32_e32 vcc_lo, 1, v36
	v_cmp_eq_u32_e64 s10, 1, v36
                                        ; implicit-def: $vgpr36_vgpr37
	s_delay_alu instid0(VALU_DEP_1)
	s_and_saveexec_b32 s20, s10
	s_cbranch_execz .LBB2_2575
; %bb.2574:                             ;   in Loop: Header=BB2_2420 Depth=1
	flat_load_b32 v36, v[38:39] offset:4 glc
	s_waitcnt vmcnt(0) lgkmcnt(0)
	v_ashrrev_i32_e32 v37, 31, v36
.LBB2_2575:                             ;   in Loop: Header=BB2_2420 Depth=1
	s_or_b32 exec_lo, exec_lo, s20
	s_delay_alu instid0(SALU_CYCLE_1)
	s_or_not1_b32 s10, vcc_lo, exec_lo
.LBB2_2576:                             ;   in Loop: Header=BB2_2420 Depth=1
	s_or_b32 exec_lo, exec_lo, s19
	s_and_saveexec_b32 s19, s10
; %bb.2577:                             ;   in Loop: Header=BB2_2420 Depth=1
	v_mad_i64_i32 v[36:37], null, v10, v65, 0
; %bb.2578:                             ;   in Loop: Header=BB2_2420 Depth=1
	s_or_b32 exec_lo, exec_lo, s19
	s_delay_alu instid0(VALU_DEP_1) | instskip(SKIP_1) | instid1(VALU_DEP_3)
	v_add_co_u32 v36, vcc_lo, v24, v36
	v_and_b32_e32 v10, 0x2000, v64
	v_add_co_ci_u32_e32 v37, vcc_lo, v25, v37, vcc_lo
	s_mov_b32 s10, exec_lo
	ds_store_b64 v0, v[36:37] offset:784
	v_cmpx_ne_u32_e32 0, v10
	s_cbranch_execz .LBB2_2580
; %bb.2579:                             ;   in Loop: Header=BB2_2420 Depth=1
	ds_load_b64 v[36:37], v0 offset:584
	s_waitcnt lgkmcnt(0)
	v_add_co_u32 v36, vcc_lo, v36, 1
	v_add_co_ci_u32_e32 v37, vcc_lo, 0, v37, vcc_lo
	ds_store_b64 v0, v[36:37] offset:584
.LBB2_2580:                             ;   in Loop: Header=BB2_2420 Depth=1
	s_or_b32 exec_lo, exec_lo, s10
	v_add_co_u32 v8, vcc_lo, v8, 1
	v_add_co_ci_u32_e32 v9, vcc_lo, 0, v9, vcc_lo
.LBB2_2581:                             ;   in Loop: Header=BB2_2420 Depth=1
	s_or_b32 exec_lo, exec_lo, s18
	s_and_saveexec_b32 s10, s2
	s_cbranch_execz .LBB2_2603
; %bb.2582:                             ;   in Loop: Header=BB2_2420 Depth=1
	s_and_saveexec_b32 s18, s3
	s_delay_alu instid0(SALU_CYCLE_1)
	s_xor_b32 s18, exec_lo, s18
	s_cbranch_execz .LBB2_2600
; %bb.2583:                             ;   in Loop: Header=BB2_2420 Depth=1
	s_and_saveexec_b32 s19, s4
	s_cbranch_execz .LBB2_2599
; %bb.2584:                             ;   in Loop: Header=BB2_2420 Depth=1
	s_mov_b32 s21, exec_lo
	s_mov_b32 s20, exec_lo
	v_mbcnt_lo_u32_b32 v10, s21, 0
	s_waitcnt lgkmcnt(0)
	s_waitcnt_vscnt null, 0x0
	buffer_gl1_inv
	buffer_gl0_inv
	v_cmpx_eq_u32_e32 0, v10
	s_cbranch_execz .LBB2_2586
; %bb.2585:                             ;   in Loop: Header=BB2_2420 Depth=1
	s_bcnt1_i32_b32 s21, s21
	s_delay_alu instid0(SALU_CYCLE_1)
	v_mov_b32_e32 v10, s21
	ds_add_u64 v0, v[10:11]
	s_cbranch_execnz .LBB2_2753
.LBB2_2586:                             ;   in Loop: Header=BB2_2420 Depth=1
	s_or_b32 exec_lo, exec_lo, s20
	s_cbranch_execnz .LBB2_2741
; %bb.2587:                             ;   in Loop: Header=BB2_2420 Depth=1
	ds_load_b64 v[36:37], v0
	v_add_co_u32 v28, vcc_lo, v28, v48
	v_add_co_ci_u32_e32 v29, vcc_lo, 0, v29, vcc_lo
	s_mov_b32 s20, exec_lo
	s_waitcnt lgkmcnt(0)
	s_delay_alu instid0(VALU_DEP_1)
	v_cmpx_lt_u64_e64 v[36:37], v[28:29]
	s_cbranch_execz .LBB2_2598
; %bb.2588:                             ;   in Loop: Header=BB2_2420 Depth=1
	s_mov_b32 s21, 0
	s_mov_b32 s24, 0
                                        ; implicit-def: $sgpr22
                                        ; implicit-def: $sgpr23
	s_branch .LBB2_2590
.LBB2_2589:                             ;   in Loop: Header=BB2_2590 Depth=2
	s_or_b32 exec_lo, exec_lo, s27
	s_delay_alu instid0(SALU_CYCLE_1) | instskip(NEXT) | instid1(SALU_CYCLE_1)
	s_and_b32 s25, exec_lo, s26
	s_or_b32 s21, s25, s21
	s_and_not1_b32 s22, s22, exec_lo
	s_and_b32 s25, s23, exec_lo
	s_delay_alu instid0(SALU_CYCLE_1)
	s_or_b32 s22, s22, s25
	s_and_not1_b32 exec_lo, exec_lo, s21
	s_cbranch_execz .LBB2_2596
.LBB2_2590:                             ;   Parent Loop BB2_2420 Depth=1
                                        ; =>  This Inner Loop Header: Depth=2
	s_add_i32 s24, s24, 1
                                        ; implicit-def: $sgpr26
	s_delay_alu instid0(SALU_CYCLE_1) | instskip(SKIP_1) | instid1(SALU_CYCLE_1)
	s_cmpk_lg_i32 s24, 0x2710
	s_cselect_b32 s25, -1, 0
	s_and_b32 vcc_lo, exec_lo, s25
	s_cbranch_vccz .LBB2_2594
.LBB2_2591:                             ;   in Loop: Header=BB2_2590 Depth=2
	s_and_not1_b32 s23, s23, exec_lo
	s_and_b32 s27, s26, exec_lo
	s_mov_b32 s26, -1
	s_or_b32 s23, s23, s27
	s_and_saveexec_b32 s27, s25
	s_cbranch_execz .LBB2_2589
; %bb.2592:                             ;   in Loop: Header=BB2_2590 Depth=2
	s_sleep 1
	s_cbranch_execnz .LBB2_2789
; %bb.2593:                             ;   in Loop: Header=BB2_2590 Depth=2
	ds_load_b64 v[36:37], v0
	s_and_not1_b32 s23, s23, exec_lo
	s_waitcnt lgkmcnt(0)
	v_cmp_ge_u64_e32 vcc_lo, v[36:37], v[28:29]
	s_or_not1_b32 s26, vcc_lo, exec_lo
	s_branch .LBB2_2589
.LBB2_2594:                             ;   in Loop: Header=BB2_2590 Depth=2
	s_cbranch_execnz .LBB2_2793
; %bb.2595:                             ;   in Loop: Header=BB2_2590 Depth=2
	ds_load_b64 v[36:37], v0
	s_and_not1_b32 s25, s25, exec_lo
	s_mov_b32 s24, 0
	s_mov_b32 s26, -1
	s_waitcnt lgkmcnt(0)
	flat_load_b32 v10, v[36:37] glc
	s_waitcnt vmcnt(0) lgkmcnt(0)
	buffer_gl1_inv
	buffer_gl0_inv
	v_cmp_eq_u32_e32 vcc_lo, 0, v10
	s_and_b32 s27, vcc_lo, exec_lo
	s_delay_alu instid0(SALU_CYCLE_1)
	s_or_b32 s25, s25, s27
	s_branch .LBB2_2591
.LBB2_2596:                             ;   in Loop: Header=BB2_2420 Depth=1
	s_or_b32 exec_lo, exec_lo, s21
	s_and_saveexec_b32 s21, s22
	s_delay_alu instid0(SALU_CYCLE_1)
	s_xor_b32 s21, exec_lo, s21
	s_cbranch_execz .LBB2_2598
; %bb.2597:                             ;   in Loop: Header=BB2_2420 Depth=1
	ds_store_b32 v0, v70
	s_cbranch_execnz .LBB2_2883
.LBB2_2598:                             ;   in Loop: Header=BB2_2420 Depth=1
	s_or_b32 exec_lo, exec_lo, s20
	;;#ASMSTART
	s_wakeup
	;;#ASMEND
.LBB2_2599:                             ;   in Loop: Header=BB2_2420 Depth=1
	s_or_b32 exec_lo, exec_lo, s19
.LBB2_2600:                             ;   in Loop: Header=BB2_2420 Depth=1
	s_and_not1_saveexec_b32 s18, s18
	s_cbranch_execz .LBB2_2602
; %bb.2601:                             ;   in Loop: Header=BB2_2420 Depth=1
	s_waitcnt lgkmcnt(0)
	s_waitcnt_vscnt null, 0x0
	buffer_gl1_inv
	buffer_gl0_inv
	s_barrier
.LBB2_2602:                             ;   in Loop: Header=BB2_2420 Depth=1
	s_or_b32 exec_lo, exec_lo, s18
.LBB2_2603:                             ;   in Loop: Header=BB2_2420 Depth=1
	s_delay_alu instid0(SALU_CYCLE_1)
	s_or_b32 exec_lo, exec_lo, s10
	s_cbranch_execnz .LBB2_2686
; %bb.2604:                             ;   in Loop: Header=BB2_2420 Depth=1
	ds_load_b32 v10, v0
	v_cmp_lt_i32_e32 vcc_lo, 0, v16
	s_waitcnt lgkmcnt(0)
	v_readfirstlane_b32 s10, v10
	v_and_b32_e32 v10, 16, v64
	s_delay_alu instid0(VALU_DEP_2) | instskip(NEXT) | instid1(VALU_DEP_1)
	s_cmp_eq_u32 s10, 0
	v_cmp_ne_u32_e64 s10, 0, v10
	s_cselect_b32 s18, -1, 0
	s_delay_alu instid0(SALU_CYCLE_1)
	s_and_b32 s18, vcc_lo, s18
	s_delay_alu instid0(VALU_DEP_1) | instid1(SALU_CYCLE_1)
	s_and_b32 s18, s10, s18
	s_delay_alu instid0(SALU_CYCLE_1)
	s_and_saveexec_b32 s10, s18
	s_cbranch_execz .LBB2_2606
; %bb.2605:                             ;   in Loop: Header=BB2_2420 Depth=1
	s_waitcnt_vscnt null, 0x0
	buffer_gl1_inv
	buffer_gl0_inv
.LBB2_2606:                             ;   in Loop: Header=BB2_2420 Depth=1
	s_or_b32 exec_lo, exec_lo, s10
	s_delay_alu instid0(SALU_CYCLE_1)
	s_mov_b32 s10, exec_lo
	v_cmpx_ne_u32_e32 0, v10
	s_cbranch_execz .LBB2_2610
; %bb.2607:                             ;   in Loop: Header=BB2_2420 Depth=1
	s_and_saveexec_b32 s18, s7
	s_cbranch_execz .LBB2_2609
; %bb.2608:                             ;   in Loop: Header=BB2_2420 Depth=1
	s_waitcnt_vscnt null, 0x0
	flat_store_b32 v[34:35], v70
.LBB2_2609:                             ;   in Loop: Header=BB2_2420 Depth=1
	s_or_b32 exec_lo, exec_lo, s18
	v_add_co_u32 v8, vcc_lo, v8, 1
	v_add_co_ci_u32_e32 v9, vcc_lo, 0, v9, vcc_lo
	s_waitcnt lgkmcnt(0)
	s_waitcnt_vscnt null, 0x0
	flat_store_b64 v[22:23], v[8:9]
.LBB2_2610:                             ;   in Loop: Header=BB2_2420 Depth=1
	s_or_b32 exec_lo, exec_lo, s10
.LBB2_2611:                             ;   in Loop: Header=BB2_2420 Depth=1
	s_delay_alu instid0(SALU_CYCLE_1) | instskip(SKIP_2) | instid1(VALU_DEP_1)
	s_or_b32 exec_lo, exec_lo, s11
	v_add_co_u32 v14, vcc_lo, v14, v32
	v_add_co_ci_u32_e32 v15, vcc_lo, 0, v15, vcc_lo
	v_cmp_ge_u64_e32 vcc_lo, v[14:15], v[4:5]
	s_or_b32 s14, vcc_lo, s14
	s_delay_alu instid0(SALU_CYCLE_1)
	s_and_not1_b32 exec_lo, exec_lo, s14
	s_cbranch_execnz .LBB2_2420
; %bb.2612:
	s_or_b32 exec_lo, exec_lo, s14
.LBB2_2613:
	s_delay_alu instid0(SALU_CYCLE_1)
	s_or_b32 exec_lo, exec_lo, s15
.LBB2_2614:
	s_delay_alu instid0(SALU_CYCLE_1) | instskip(SKIP_2) | instid1(VALU_DEP_1)
	s_or_b32 exec_lo, exec_lo, s12
	v_and_b32_e32 v0, 0x800, v64
	s_mov_b32 s0, exec_lo
	v_cmpx_eq_u32_e32 0, v0
	s_cbranch_execz .LBB2_2837
; %bb.2615:
	v_and_b32_e32 v0, 48, v64
	s_mov_b32 s1, exec_lo
	s_delay_alu instid0(VALU_DEP_1)
	v_cmpx_ne_u32_e32 0, v0
	s_cbranch_execz .LBB2_2617
; %bb.2616:
	flat_store_b64 v[20:21], v[8:9] offset:104
.LBB2_2617:
	s_or_b32 exec_lo, exec_lo, s1
	v_and_b32_e32 v0, 0x88, v64
	s_mov_b32 s1, exec_lo
	s_delay_alu instid0(VALU_DEP_1)
	v_cmpx_eq_u32_e32 0x88, v0
	s_cbranch_execz .LBB2_2667
; %bb.2618:
	v_add_nc_u32_e32 v0, -1, v8
	s_mov_b32 s2, 0
                                        ; implicit-def: $sgpr3
	s_delay_alu instid0(VALU_DEP_1) | instskip(NEXT) | instid1(VALU_DEP_1)
	v_and_b32_e32 v0, 7, v0
	v_mad_u64_u32 v[4:5], null, v0, 24, v[6:7]
	v_mov_b32_e32 v0, 0
	s_delay_alu instid0(VALU_DEP_2) | instskip(NEXT) | instid1(VALU_DEP_3)
	v_add_co_u32 v4, vcc_lo, v4, 8
	v_add_co_ci_u32_e32 v5, vcc_lo, 0, v5, vcc_lo
	s_branch .LBB2_2651
.LBB2_2619:
	s_trap 2
	s_sendmsg_rtn_b32 s0, sendmsg(MSG_RTN_GET_DOORBELL)
	s_mov_b32 ttmp2, m0
	s_waitcnt lgkmcnt(0)
	s_and_b32 s0, s0, 0x3ff
	s_delay_alu instid0(SALU_CYCLE_1) | instskip(NEXT) | instid1(SALU_CYCLE_1)
	s_bitset1_b32 s0, 10
	s_mov_b32 m0, s0
	s_sendmsg sendmsg(MSG_INTERRUPT)
	s_mov_b32 m0, ttmp2
.LBB2_2620:                             ; =>This Inner Loop Header: Depth=1
	s_sethalt 5
	s_branch .LBB2_2620
.LBB2_2621:
	v_bfe_u32 v10, v6, 8, 8
	v_not_b32_e32 v8, v8
	s_mov_b32 s1, exec_lo
                                        ; implicit-def: $vgpr28_vgpr29
                                        ; implicit-def: $vgpr4_vgpr5
                                        ; implicit-def: $vgpr18_vgpr19
	s_delay_alu instid0(VALU_DEP_2)
	v_cmpx_ne_u32_e64 v10, v9
	s_xor_b32 s1, exec_lo, s1
	s_cbranch_execz .LBB2_2623
; %bb.2622:
	s_clause 0x1
	flat_load_b128 v[4:7], v[2:3] offset:72
	flat_load_b64 v[10:11], v[2:3] offset:96
	v_add_nc_u32_e32 v8, v9, v8
	s_delay_alu instid0(VALU_DEP_1) | instskip(SKIP_1) | instid1(VALU_DEP_1)
	v_ashrrev_i32_e32 v9, 31, v8
	s_waitcnt vmcnt(1) lgkmcnt(1)
	v_mul_lo_u32 v9, v6, v9
	v_mad_u64_u32 v[18:19], null, v6, v8, v[4:5]
	v_mul_lo_u32 v4, v7, v8
	s_waitcnt vmcnt(0) lgkmcnt(0)
	v_lshrrev_b64 v[28:29], 12, v[10:11]
                                        ; implicit-def: $vgpr10
                                        ; implicit-def: $vgpr8
	s_delay_alu instid0(VALU_DEP_2)
	v_add3_u32 v19, v4, v19, v9
	v_dual_mov_b32 v4, v6 :: v_dual_mov_b32 v5, v7
.LBB2_2623:
	s_and_not1_saveexec_b32 s1, s1
	s_cbranch_execz .LBB2_2625
; %bb.2624:
	s_clause 0x1
	flat_load_b128 v[20:23], v[2:3] offset:72
	flat_load_b128 v[4:7], v[2:3] offset:88
	s_waitcnt vmcnt(0) lgkmcnt(0)
	v_add_nc_u32_e32 v6, v10, v8
	s_delay_alu instid0(VALU_DEP_1) | instskip(NEXT) | instid1(VALU_DEP_1)
	v_ashrrev_i32_e32 v8, 31, v6
	v_mul_lo_u32 v8, v22, v8
	v_mad_u64_u32 v[18:19], null, v22, v6, v[20:21]
	v_mul_lo_u32 v6, v23, v6
	v_lshrrev_b32_e32 v28, 1, v7
	s_delay_alu instid0(VALU_DEP_2)
	v_add3_u32 v19, v6, v19, v8
.LBB2_2625:
	s_or_b32 exec_lo, exec_lo, s1
	s_and_not1_saveexec_b32 s0, s0
	s_cbranch_execz .LBB2_3
.LBB2_2626:
	s_clause 0x1
	flat_load_b64 v[6:7], v[2:3] offset:96
	flat_load_b64 v[4:5], v[2:3] offset:72
	v_mov_b32_e32 v18, 0
	v_mov_b32_e32 v19, 0
	s_waitcnt vmcnt(1) lgkmcnt(1)
	v_lshlrev_b64 v[28:29], 9, v[6:7]
	s_or_b32 exec_lo, exec_lo, s0
	s_cbranch_execz .LBB2_4
.LBB2_2627:
	s_trap 2
	s_sendmsg_rtn_b32 s0, sendmsg(MSG_RTN_GET_DOORBELL)
	s_mov_b32 ttmp2, m0
	s_waitcnt lgkmcnt(0)
	s_and_b32 s0, s0, 0x3ff
	s_delay_alu instid0(SALU_CYCLE_1) | instskip(NEXT) | instid1(SALU_CYCLE_1)
	s_bitset1_b32 s0, 10
	s_mov_b32 m0, s0
	s_sendmsg sendmsg(MSG_INTERRUPT)
	s_mov_b32 m0, ttmp2
.LBB2_2628:                             ; =>This Inner Loop Header: Depth=1
	s_sethalt 5
	s_branch .LBB2_2628
.LBB2_2629:
	s_trap 2
	s_sendmsg_rtn_b32 s0, sendmsg(MSG_RTN_GET_DOORBELL)
	s_mov_b32 ttmp2, m0
	s_waitcnt lgkmcnt(0)
	s_and_b32 s0, s0, 0x3ff
	s_delay_alu instid0(SALU_CYCLE_1) | instskip(NEXT) | instid1(SALU_CYCLE_1)
	s_bitset1_b32 s0, 10
	s_mov_b32 m0, s0
	s_sendmsg sendmsg(MSG_INTERRUPT)
	s_mov_b32 m0, ttmp2
.LBB2_2630:                             ; =>This Inner Loop Header: Depth=1
	s_sethalt 5
	s_branch .LBB2_2630
.LBB2_2631:
	s_trap 2
	s_sendmsg_rtn_b32 s0, sendmsg(MSG_RTN_GET_DOORBELL)
	s_mov_b32 ttmp2, m0
	s_waitcnt lgkmcnt(0)
	s_and_b32 s0, s0, 0x3ff
	s_delay_alu instid0(SALU_CYCLE_1) | instskip(NEXT) | instid1(SALU_CYCLE_1)
	s_bitset1_b32 s0, 10
	s_mov_b32 m0, s0
	s_sendmsg sendmsg(MSG_INTERRUPT)
	s_mov_b32 m0, ttmp2
.LBB2_2632:                             ; =>This Inner Loop Header: Depth=1
	s_sethalt 5
	s_branch .LBB2_2632
.LBB2_2633:
	s_trap 2
	s_sendmsg_rtn_b32 s0, sendmsg(MSG_RTN_GET_DOORBELL)
	s_mov_b32 ttmp2, m0
	s_waitcnt lgkmcnt(0)
	s_and_b32 s0, s0, 0x3ff
	s_delay_alu instid0(SALU_CYCLE_1) | instskip(NEXT) | instid1(SALU_CYCLE_1)
	s_bitset1_b32 s0, 10
	s_mov_b32 m0, s0
	s_sendmsg sendmsg(MSG_INTERRUPT)
	s_mov_b32 m0, ttmp2
.LBB2_2634:                             ; =>This Inner Loop Header: Depth=1
	s_sethalt 5
	s_branch .LBB2_2634
.LBB2_2635:
	s_trap 2
	s_sendmsg_rtn_b32 s0, sendmsg(MSG_RTN_GET_DOORBELL)
	s_mov_b32 ttmp2, m0
	s_waitcnt lgkmcnt(0)
	s_and_b32 s0, s0, 0x3ff
	s_delay_alu instid0(SALU_CYCLE_1) | instskip(NEXT) | instid1(SALU_CYCLE_1)
	s_bitset1_b32 s0, 10
	s_mov_b32 m0, s0
	s_sendmsg sendmsg(MSG_INTERRUPT)
	s_mov_b32 m0, ttmp2
.LBB2_2636:                             ; =>This Inner Loop Header: Depth=1
	s_sethalt 5
	s_branch .LBB2_2636
.LBB2_2637:
	s_trap 2
	s_sendmsg_rtn_b32 s0, sendmsg(MSG_RTN_GET_DOORBELL)
	s_mov_b32 ttmp2, m0
	s_waitcnt lgkmcnt(0)
	s_and_b32 s0, s0, 0x3ff
	s_delay_alu instid0(SALU_CYCLE_1) | instskip(NEXT) | instid1(SALU_CYCLE_1)
	s_bitset1_b32 s0, 10
	s_mov_b32 m0, s0
	s_sendmsg sendmsg(MSG_INTERRUPT)
	s_mov_b32 m0, ttmp2
.LBB2_2638:                             ; =>This Inner Loop Header: Depth=1
	s_sethalt 5
	s_branch .LBB2_2638
.LBB2_2639:
	s_trap 2
	s_sendmsg_rtn_b32 s0, sendmsg(MSG_RTN_GET_DOORBELL)
	s_mov_b32 ttmp2, m0
	s_waitcnt lgkmcnt(0)
	s_and_b32 s0, s0, 0x3ff
	s_delay_alu instid0(SALU_CYCLE_1) | instskip(NEXT) | instid1(SALU_CYCLE_1)
	s_bitset1_b32 s0, 10
	s_mov_b32 m0, s0
	s_sendmsg sendmsg(MSG_INTERRUPT)
	s_mov_b32 m0, ttmp2
.LBB2_2640:                             ; =>This Inner Loop Header: Depth=1
	s_sethalt 5
	s_branch .LBB2_2640
.LBB2_2641:
	s_trap 2
	s_sendmsg_rtn_b32 s0, sendmsg(MSG_RTN_GET_DOORBELL)
	s_mov_b32 ttmp2, m0
	s_waitcnt lgkmcnt(0)
	s_and_b32 s0, s0, 0x3ff
	s_delay_alu instid0(SALU_CYCLE_1) | instskip(NEXT) | instid1(SALU_CYCLE_1)
	s_bitset1_b32 s0, 10
	s_mov_b32 m0, s0
	s_sendmsg sendmsg(MSG_INTERRUPT)
	s_mov_b32 m0, ttmp2
.LBB2_2642:                             ; =>This Inner Loop Header: Depth=1
	s_sethalt 5
	s_branch .LBB2_2642
.LBB2_2643:
	s_trap 2
	s_sendmsg_rtn_b32 s0, sendmsg(MSG_RTN_GET_DOORBELL)
	s_mov_b32 ttmp2, m0
	s_waitcnt lgkmcnt(0)
	s_and_b32 s0, s0, 0x3ff
	s_delay_alu instid0(SALU_CYCLE_1) | instskip(NEXT) | instid1(SALU_CYCLE_1)
	s_bitset1_b32 s0, 10
	s_mov_b32 m0, s0
	s_sendmsg sendmsg(MSG_INTERRUPT)
	s_mov_b32 m0, ttmp2
.LBB2_2644:                             ; =>This Inner Loop Header: Depth=1
	s_sethalt 5
	s_branch .LBB2_2644
.LBB2_2645:
	s_trap 2
	s_sendmsg_rtn_b32 s0, sendmsg(MSG_RTN_GET_DOORBELL)
	s_mov_b32 ttmp2, m0
	s_waitcnt lgkmcnt(0)
	s_and_b32 s0, s0, 0x3ff
	s_delay_alu instid0(SALU_CYCLE_1) | instskip(NEXT) | instid1(SALU_CYCLE_1)
	s_bitset1_b32 s0, 10
	s_mov_b32 m0, s0
	s_sendmsg sendmsg(MSG_INTERRUPT)
	s_mov_b32 m0, ttmp2
.LBB2_2646:                             ; =>This Inner Loop Header: Depth=1
	s_sethalt 5
	s_branch .LBB2_2646
.LBB2_2647:                             ;   in Loop: Header=BB2_2651 Depth=1
	s_or_b32 exec_lo, exec_lo, s10
	v_mov_b32_e32 v6, 0
	s_or_not1_b32 s7, s7, exec_lo
.LBB2_2648:                             ;   in Loop: Header=BB2_2651 Depth=1
	s_or_b32 exec_lo, exec_lo, s6
	s_delay_alu instid0(VALU_DEP_1)
	v_mov_b32_e32 v0, v6
	s_and_b32 s6, s7, exec_lo
.LBB2_2649:                             ;   in Loop: Header=BB2_2651 Depth=1
	s_or_b32 exec_lo, exec_lo, s5
	s_xor_b32 s5, s6, -1
	s_and_not1_b32 s3, s3, exec_lo
	s_and_b32 s5, s5, exec_lo
	s_delay_alu instid0(SALU_CYCLE_1)
	s_or_b32 s3, s3, s5
.LBB2_2650:                             ;   in Loop: Header=BB2_2651 Depth=1
	s_or_b32 exec_lo, exec_lo, s4
	s_delay_alu instid0(SALU_CYCLE_1) | instskip(NEXT) | instid1(SALU_CYCLE_1)
	s_and_b32 s4, exec_lo, s3
	s_or_b32 s2, s4, s2
	s_delay_alu instid0(SALU_CYCLE_1)
	s_and_not1_b32 exec_lo, exec_lo, s2
	s_cbranch_execz .LBB2_2666
.LBB2_2651:                             ; =>This Inner Loop Header: Depth=1
	flat_load_b64 v[6:7], v[4:5] glc dlc
	s_waitcnt vmcnt(0)
	s_or_b32 s3, s3, exec_lo
	s_mov_b32 s4, exec_lo
	s_waitcnt lgkmcnt(0)
	v_cmpx_ne_u64_e32 -1, v[6:7]
	s_cbranch_execz .LBB2_2650
; %bb.2652:                             ;   in Loop: Header=BB2_2651 Depth=1
	v_and_b32_e32 v6, 64, v64
	s_mov_b32 s6, 0
	s_mov_b32 s5, exec_lo
	s_delay_alu instid0(VALU_DEP_1)
	v_cmpx_eq_u32_e32 0, v6
	s_cbranch_execz .LBB2_2649
; %bb.2653:                             ;   in Loop: Header=BB2_2651 Depth=1
	v_add_nc_u32_e32 v6, 1, v0
	s_mov_b32 s7, -1
	s_mov_b32 s6, exec_lo
	v_cmpx_lt_i32_e32 0x270e, v0
	s_cbranch_execz .LBB2_2648
; %bb.2654:                             ;   in Loop: Header=BB2_2651 Depth=1
	s_cbranch_execnz .LBB2_2658
; %bb.2655:                             ;   in Loop: Header=BB2_2651 Depth=1
	ds_load_b64 v[6:7], v0
	s_mov_b32 s10, exec_lo
	s_waitcnt lgkmcnt(0)
	s_waitcnt_vscnt null, 0x0
	flat_load_b32 v0, v[6:7] glc
	s_waitcnt vmcnt(0) lgkmcnt(0)
	buffer_gl1_inv
	buffer_gl0_inv
	v_cmpx_ne_u32_e32 0, v0
	s_cbranch_execz .LBB2_2647
; %bb.2656:                             ;   in Loop: Header=BB2_2651 Depth=1
	ds_store_b32 v0, v0
	s_cbranch_execnz .LBB2_2680
; %bb.2657:                             ;   in Loop: Header=BB2_2651 Depth=1
	v_or_b32_e32 v64, 64, v64
	s_xor_b32 s7, exec_lo, -1
	s_branch .LBB2_2647
.LBB2_2658:
	s_trap 2
	s_sendmsg_rtn_b32 s0, sendmsg(MSG_RTN_GET_DOORBELL)
	s_mov_b32 ttmp2, m0
	s_waitcnt lgkmcnt(0)
	s_and_b32 s0, s0, 0x3ff
	s_delay_alu instid0(SALU_CYCLE_1) | instskip(NEXT) | instid1(SALU_CYCLE_1)
	s_bitset1_b32 s0, 10
	s_mov_b32 m0, s0
	s_sendmsg sendmsg(MSG_INTERRUPT)
	s_mov_b32 m0, ttmp2
.LBB2_2659:                             ; =>This Inner Loop Header: Depth=1
	s_sethalt 5
	s_branch .LBB2_2659
.LBB2_2660:
	s_trap 2
	s_sendmsg_rtn_b32 s0, sendmsg(MSG_RTN_GET_DOORBELL)
	s_mov_b32 ttmp2, m0
	s_waitcnt lgkmcnt(0)
	s_and_b32 s0, s0, 0x3ff
	s_delay_alu instid0(SALU_CYCLE_1) | instskip(NEXT) | instid1(SALU_CYCLE_1)
	s_bitset1_b32 s0, 10
	s_mov_b32 m0, s0
	s_sendmsg sendmsg(MSG_INTERRUPT)
	s_mov_b32 m0, ttmp2
.LBB2_2661:                             ; =>This Inner Loop Header: Depth=1
	s_sethalt 5
	s_branch .LBB2_2661
.LBB2_2662:
	s_trap 2
	s_sendmsg_rtn_b32 s0, sendmsg(MSG_RTN_GET_DOORBELL)
	s_mov_b32 ttmp2, m0
	s_waitcnt lgkmcnt(0)
	s_and_b32 s0, s0, 0x3ff
	s_delay_alu instid0(SALU_CYCLE_1) | instskip(NEXT) | instid1(SALU_CYCLE_1)
	s_bitset1_b32 s0, 10
	s_mov_b32 m0, s0
	s_sendmsg sendmsg(MSG_INTERRUPT)
	s_mov_b32 m0, ttmp2
.LBB2_2663:                             ; =>This Inner Loop Header: Depth=1
	s_sethalt 5
	s_branch .LBB2_2663
.LBB2_2664:
	s_trap 2
	s_sendmsg_rtn_b32 s0, sendmsg(MSG_RTN_GET_DOORBELL)
	s_mov_b32 ttmp2, m0
	s_waitcnt lgkmcnt(0)
	s_and_b32 s0, s0, 0x3ff
	s_delay_alu instid0(SALU_CYCLE_1) | instskip(NEXT) | instid1(SALU_CYCLE_1)
	s_bitset1_b32 s0, 10
	s_mov_b32 m0, s0
	s_sendmsg sendmsg(MSG_INTERRUPT)
	s_mov_b32 m0, ttmp2
.LBB2_2665:                             ; =>This Inner Loop Header: Depth=1
	s_sethalt 5
	s_branch .LBB2_2665
.LBB2_2666:
	s_or_b32 exec_lo, exec_lo, s2
.LBB2_2667:
	s_delay_alu instid0(SALU_CYCLE_1) | instskip(SKIP_2) | instid1(VALU_DEP_1)
	s_or_b32 exec_lo, exec_lo, s1
	v_and_b32_e32 v0, 0x2000, v64
	s_mov_b32 s1, exec_lo
	v_cmpx_ne_u32_e32 0, v0
	s_cbranch_execz .LBB2_2670
; %bb.2668:
	s_cbranch_execnz .LBB2_2678
; %bb.2669:
	ds_load_b64 v[4:5], v0
	s_waitcnt lgkmcnt(0)
	flat_store_b64 v[2:3], v[4:5] offset:16
.LBB2_2670:
	s_or_b32 exec_lo, exec_lo, s1
	v_cmp_ne_u32_e32 vcc_lo, 32, v1
	s_and_b32 exec_lo, exec_lo, vcc_lo
	s_cbranch_execz .LBB2_2837
; %bb.2671:
	s_mov_b32 s1, exec_lo
	v_cmpx_ne_u32_e64 v30, v1
	s_xor_b32 s1, exec_lo, s1
	s_cbranch_execz .LBB2_2835
; %bb.2672:
	v_and_b32_e32 v0, 31, v31
	s_mov_b32 s2, exec_lo
	s_delay_alu instid0(VALU_DEP_1)
	v_cmpx_eq_u32_e32 0, v0
	s_cbranch_execz .LBB2_2834
; %bb.2673:
	s_mov_b32 s4, exec_lo
	s_mov_b32 s3, exec_lo
	v_mbcnt_lo_u32_b32 v0, s4, 0
	s_waitcnt lgkmcnt(0)
	s_waitcnt_vscnt null, 0x0
	buffer_gl1_inv
	buffer_gl0_inv
	v_cmpx_eq_u32_e32 0, v0
	s_cbranch_execz .LBB2_2675
; %bb.2674:
	s_bcnt1_i32_b32 s4, s4
	s_delay_alu instid0(SALU_CYCLE_1)
	v_dual_mov_b32 v3, 0 :: v_dual_mov_b32 v2, s4
	ds_add_u64 v0, v[2:3]
	s_cbranch_execnz .LBB2_2723
.LBB2_2675:
	s_or_b32 exec_lo, exec_lo, s3
	s_cbranch_execnz .LBB2_2708
; %bb.2676:
	v_ashrrev_i32_e32 v0, 31, v1
	s_mov_b32 s3, exec_lo
	s_delay_alu instid0(VALU_DEP_1) | instskip(NEXT) | instid1(VALU_DEP_1)
	v_lshrrev_b32_e32 v0, 27, v0
	v_add_nc_u32_e32 v0, v1, v0
	ds_load_b64 v[2:3], v0
	v_ashrrev_i32_e32 v0, 5, v0
	s_delay_alu instid0(VALU_DEP_1) | instskip(SKIP_1) | instid1(VALU_DEP_2)
	v_ashrrev_i32_e32 v1, 31, v0
	v_add_co_u32 v0, vcc_lo, v28, v0
	v_add_co_ci_u32_e32 v1, vcc_lo, v29, v1, vcc_lo
	s_waitcnt lgkmcnt(0)
	s_delay_alu instid0(VALU_DEP_1)
	v_cmpx_lt_u64_e64 v[2:3], v[0:1]
	s_cbranch_execz .LBB2_2833
; %bb.2677:
	s_mov_b32 s4, 0
	s_mov_b32 s7, 0
                                        ; implicit-def: $sgpr5
                                        ; implicit-def: $sgpr6
	s_branch .LBB2_2713
.LBB2_2678:
	s_trap 2
	s_sendmsg_rtn_b32 s0, sendmsg(MSG_RTN_GET_DOORBELL)
	s_mov_b32 ttmp2, m0
	s_waitcnt lgkmcnt(0)
	s_and_b32 s0, s0, 0x3ff
	s_delay_alu instid0(SALU_CYCLE_1) | instskip(NEXT) | instid1(SALU_CYCLE_1)
	s_bitset1_b32 s0, 10
	s_mov_b32 m0, s0
	s_sendmsg sendmsg(MSG_INTERRUPT)
	s_mov_b32 m0, ttmp2
.LBB2_2679:                             ; =>This Inner Loop Header: Depth=1
	s_sethalt 5
	s_branch .LBB2_2679
.LBB2_2680:
	s_trap 2
	s_sendmsg_rtn_b32 s0, sendmsg(MSG_RTN_GET_DOORBELL)
	s_mov_b32 ttmp2, m0
	s_waitcnt lgkmcnt(0)
	s_and_b32 s0, s0, 0x3ff
	s_delay_alu instid0(SALU_CYCLE_1) | instskip(NEXT) | instid1(SALU_CYCLE_1)
	s_bitset1_b32 s0, 10
	s_mov_b32 m0, s0
	s_sendmsg sendmsg(MSG_INTERRUPT)
	s_mov_b32 m0, ttmp2
.LBB2_2681:                             ; =>This Inner Loop Header: Depth=1
	s_sethalt 5
	s_branch .LBB2_2681
.LBB2_2682:
	s_trap 2
	s_sendmsg_rtn_b32 s0, sendmsg(MSG_RTN_GET_DOORBELL)
	s_mov_b32 ttmp2, m0
	s_waitcnt lgkmcnt(0)
	s_and_b32 s0, s0, 0x3ff
	s_delay_alu instid0(SALU_CYCLE_1) | instskip(NEXT) | instid1(SALU_CYCLE_1)
	s_bitset1_b32 s0, 10
	s_mov_b32 m0, s0
	s_sendmsg sendmsg(MSG_INTERRUPT)
	s_mov_b32 m0, ttmp2
.LBB2_2683:                             ; =>This Inner Loop Header: Depth=1
	s_sethalt 5
	s_branch .LBB2_2683
.LBB2_2684:
	s_trap 2
	s_sendmsg_rtn_b32 s0, sendmsg(MSG_RTN_GET_DOORBELL)
	s_mov_b32 ttmp2, m0
	s_waitcnt lgkmcnt(0)
	s_and_b32 s0, s0, 0x3ff
	s_delay_alu instid0(SALU_CYCLE_1) | instskip(NEXT) | instid1(SALU_CYCLE_1)
	s_bitset1_b32 s0, 10
	s_mov_b32 m0, s0
	s_sendmsg sendmsg(MSG_INTERRUPT)
	s_mov_b32 m0, ttmp2
.LBB2_2685:                             ; =>This Inner Loop Header: Depth=1
	s_sethalt 5
	s_branch .LBB2_2685
.LBB2_2686:
	s_trap 2
	s_sendmsg_rtn_b32 s0, sendmsg(MSG_RTN_GET_DOORBELL)
	s_mov_b32 ttmp2, m0
	s_waitcnt lgkmcnt(0)
	s_and_b32 s0, s0, 0x3ff
	s_delay_alu instid0(SALU_CYCLE_1) | instskip(NEXT) | instid1(SALU_CYCLE_1)
	s_bitset1_b32 s0, 10
	s_mov_b32 m0, s0
	s_sendmsg sendmsg(MSG_INTERRUPT)
	s_mov_b32 m0, ttmp2
.LBB2_2687:                             ; =>This Inner Loop Header: Depth=1
	s_sethalt 5
	s_branch .LBB2_2687
.LBB2_2688:
	s_trap 2
	s_sendmsg_rtn_b32 s0, sendmsg(MSG_RTN_GET_DOORBELL)
	s_mov_b32 ttmp2, m0
	s_waitcnt lgkmcnt(0)
	s_and_b32 s0, s0, 0x3ff
	s_delay_alu instid0(SALU_CYCLE_1) | instskip(NEXT) | instid1(SALU_CYCLE_1)
	s_bitset1_b32 s0, 10
	s_mov_b32 m0, s0
	s_sendmsg sendmsg(MSG_INTERRUPT)
	s_mov_b32 m0, ttmp2
.LBB2_2689:                             ; =>This Inner Loop Header: Depth=1
	s_sethalt 5
	s_branch .LBB2_2689
.LBB2_2690:
	s_trap 2
	s_sendmsg_rtn_b32 s0, sendmsg(MSG_RTN_GET_DOORBELL)
	s_mov_b32 ttmp2, m0
	s_waitcnt lgkmcnt(0)
	s_and_b32 s0, s0, 0x3ff
	s_delay_alu instid0(SALU_CYCLE_1) | instskip(NEXT) | instid1(SALU_CYCLE_1)
	s_bitset1_b32 s0, 10
	s_mov_b32 m0, s0
	s_sendmsg sendmsg(MSG_INTERRUPT)
	s_mov_b32 m0, ttmp2
.LBB2_2691:                             ; =>This Inner Loop Header: Depth=1
	s_sethalt 5
	s_branch .LBB2_2691
.LBB2_2692:
	s_trap 2
	s_sendmsg_rtn_b32 s0, sendmsg(MSG_RTN_GET_DOORBELL)
	s_mov_b32 ttmp2, m0
	s_waitcnt lgkmcnt(0)
	s_and_b32 s0, s0, 0x3ff
	s_delay_alu instid0(SALU_CYCLE_1) | instskip(NEXT) | instid1(SALU_CYCLE_1)
	s_bitset1_b32 s0, 10
	s_mov_b32 m0, s0
	s_sendmsg sendmsg(MSG_INTERRUPT)
	s_mov_b32 m0, ttmp2
.LBB2_2693:                             ; =>This Inner Loop Header: Depth=1
	s_sethalt 5
	s_branch .LBB2_2693
.LBB2_2694:
	s_trap 2
	s_sendmsg_rtn_b32 s0, sendmsg(MSG_RTN_GET_DOORBELL)
	s_mov_b32 ttmp2, m0
	s_waitcnt lgkmcnt(0)
	s_and_b32 s0, s0, 0x3ff
	s_delay_alu instid0(SALU_CYCLE_1) | instskip(NEXT) | instid1(SALU_CYCLE_1)
	s_bitset1_b32 s0, 10
	s_mov_b32 m0, s0
	s_sendmsg sendmsg(MSG_INTERRUPT)
	s_mov_b32 m0, ttmp2
.LBB2_2695:                             ; =>This Inner Loop Header: Depth=1
	s_sethalt 5
	s_branch .LBB2_2695
.LBB2_2696:
	s_trap 2
	s_sendmsg_rtn_b32 s0, sendmsg(MSG_RTN_GET_DOORBELL)
	s_mov_b32 ttmp2, m0
	s_waitcnt lgkmcnt(0)
	s_and_b32 s0, s0, 0x3ff
	s_delay_alu instid0(SALU_CYCLE_1) | instskip(NEXT) | instid1(SALU_CYCLE_1)
	s_bitset1_b32 s0, 10
	s_mov_b32 m0, s0
	s_sendmsg sendmsg(MSG_INTERRUPT)
	s_mov_b32 m0, ttmp2
.LBB2_2697:                             ; =>This Inner Loop Header: Depth=1
	s_sethalt 5
	s_branch .LBB2_2697
.LBB2_2698:
	s_trap 2
	s_sendmsg_rtn_b32 s0, sendmsg(MSG_RTN_GET_DOORBELL)
	s_mov_b32 ttmp2, m0
	s_waitcnt lgkmcnt(0)
	s_and_b32 s0, s0, 0x3ff
	s_delay_alu instid0(SALU_CYCLE_1) | instskip(NEXT) | instid1(SALU_CYCLE_1)
	s_bitset1_b32 s0, 10
	s_mov_b32 m0, s0
	s_sendmsg sendmsg(MSG_INTERRUPT)
	s_mov_b32 m0, ttmp2
.LBB2_2699:                             ; =>This Inner Loop Header: Depth=1
	s_sethalt 5
	s_branch .LBB2_2699
.LBB2_2700:
	s_trap 2
	s_sendmsg_rtn_b32 s0, sendmsg(MSG_RTN_GET_DOORBELL)
	s_mov_b32 ttmp2, m0
	s_waitcnt lgkmcnt(0)
	s_and_b32 s0, s0, 0x3ff
	s_delay_alu instid0(SALU_CYCLE_1) | instskip(NEXT) | instid1(SALU_CYCLE_1)
	s_bitset1_b32 s0, 10
	s_mov_b32 m0, s0
	s_sendmsg sendmsg(MSG_INTERRUPT)
	s_mov_b32 m0, ttmp2
.LBB2_2701:                             ; =>This Inner Loop Header: Depth=1
	s_sethalt 5
	s_branch .LBB2_2701
.LBB2_2702:
	s_trap 2
	s_sendmsg_rtn_b32 s0, sendmsg(MSG_RTN_GET_DOORBELL)
	s_mov_b32 ttmp2, m0
	s_waitcnt lgkmcnt(0)
	s_and_b32 s0, s0, 0x3ff
	s_delay_alu instid0(SALU_CYCLE_1) | instskip(NEXT) | instid1(SALU_CYCLE_1)
	s_bitset1_b32 s0, 10
	s_mov_b32 m0, s0
	s_sendmsg sendmsg(MSG_INTERRUPT)
	s_mov_b32 m0, ttmp2
.LBB2_2703:                             ; =>This Inner Loop Header: Depth=1
	s_sethalt 5
	s_branch .LBB2_2703
.LBB2_2704:
	s_trap 2
	s_sendmsg_rtn_b32 s0, sendmsg(MSG_RTN_GET_DOORBELL)
	s_mov_b32 ttmp2, m0
	s_waitcnt lgkmcnt(0)
	s_and_b32 s0, s0, 0x3ff
	s_delay_alu instid0(SALU_CYCLE_1) | instskip(NEXT) | instid1(SALU_CYCLE_1)
	s_bitset1_b32 s0, 10
	s_mov_b32 m0, s0
	s_sendmsg sendmsg(MSG_INTERRUPT)
	s_mov_b32 m0, ttmp2
.LBB2_2705:                             ; =>This Inner Loop Header: Depth=1
	s_sethalt 5
	s_branch .LBB2_2705
.LBB2_2706:
	s_trap 2
	s_sendmsg_rtn_b32 s0, sendmsg(MSG_RTN_GET_DOORBELL)
	s_mov_b32 ttmp2, m0
	s_waitcnt lgkmcnt(0)
	s_and_b32 s0, s0, 0x3ff
	s_delay_alu instid0(SALU_CYCLE_1) | instskip(NEXT) | instid1(SALU_CYCLE_1)
	s_bitset1_b32 s0, 10
	s_mov_b32 m0, s0
	s_sendmsg sendmsg(MSG_INTERRUPT)
	s_mov_b32 m0, ttmp2
.LBB2_2707:                             ; =>This Inner Loop Header: Depth=1
	s_sethalt 5
	s_branch .LBB2_2707
.LBB2_2708:
	s_trap 2
	s_sendmsg_rtn_b32 s0, sendmsg(MSG_RTN_GET_DOORBELL)
	s_mov_b32 ttmp2, m0
	s_waitcnt lgkmcnt(0)
	s_and_b32 s0, s0, 0x3ff
	s_delay_alu instid0(SALU_CYCLE_1) | instskip(NEXT) | instid1(SALU_CYCLE_1)
	s_bitset1_b32 s0, 10
	s_mov_b32 m0, s0
	s_sendmsg sendmsg(MSG_INTERRUPT)
	s_mov_b32 m0, ttmp2
.LBB2_2709:                             ; =>This Inner Loop Header: Depth=1
	s_sethalt 5
	s_branch .LBB2_2709
.LBB2_2710:
	s_trap 2
	s_sendmsg_rtn_b32 s0, sendmsg(MSG_RTN_GET_DOORBELL)
	s_mov_b32 ttmp2, m0
	s_waitcnt lgkmcnt(0)
	s_and_b32 s0, s0, 0x3ff
	s_delay_alu instid0(SALU_CYCLE_1) | instskip(NEXT) | instid1(SALU_CYCLE_1)
	s_bitset1_b32 s0, 10
	s_mov_b32 m0, s0
	s_sendmsg sendmsg(MSG_INTERRUPT)
	s_mov_b32 m0, ttmp2
.LBB2_2711:                             ; =>This Inner Loop Header: Depth=1
	s_sethalt 5
	s_branch .LBB2_2711
.LBB2_2712:                             ;   in Loop: Header=BB2_2713 Depth=1
	s_or_b32 exec_lo, exec_lo, s12
	s_delay_alu instid0(SALU_CYCLE_1) | instskip(NEXT) | instid1(SALU_CYCLE_1)
	s_and_b32 s10, exec_lo, s11
	s_or_b32 s4, s10, s4
	s_and_not1_b32 s5, s5, exec_lo
	s_and_b32 s10, s6, exec_lo
	s_delay_alu instid0(SALU_CYCLE_1)
	s_or_b32 s5, s5, s10
	s_and_not1_b32 exec_lo, exec_lo, s4
	s_cbranch_execz .LBB2_2831
.LBB2_2713:                             ; =>This Inner Loop Header: Depth=1
	s_add_i32 s7, s7, 1
                                        ; implicit-def: $sgpr11
	s_delay_alu instid0(SALU_CYCLE_1) | instskip(SKIP_1) | instid1(SALU_CYCLE_1)
	s_cmpk_lg_i32 s7, 0x2710
	s_cselect_b32 s10, -1, 0
	s_and_b32 vcc_lo, exec_lo, s10
	s_cbranch_vccz .LBB2_2717
.LBB2_2714:                             ;   in Loop: Header=BB2_2713 Depth=1
	s_and_not1_b32 s6, s6, exec_lo
	s_and_b32 s12, s11, exec_lo
	s_mov_b32 s11, -1
	s_or_b32 s6, s6, s12
	s_and_saveexec_b32 s12, s10
	s_cbranch_execz .LBB2_2712
; %bb.2715:                             ;   in Loop: Header=BB2_2713 Depth=1
	s_sleep 1
	s_cbranch_execnz .LBB2_2739
; %bb.2716:                             ;   in Loop: Header=BB2_2713 Depth=1
	ds_load_b64 v[2:3], v0
	s_and_not1_b32 s6, s6, exec_lo
	s_waitcnt lgkmcnt(0)
	v_cmp_ge_u64_e32 vcc_lo, v[2:3], v[0:1]
	s_or_not1_b32 s11, vcc_lo, exec_lo
	s_branch .LBB2_2712
.LBB2_2717:                             ;   in Loop: Header=BB2_2713 Depth=1
	s_cbranch_execnz .LBB2_2747
; %bb.2718:                             ;   in Loop: Header=BB2_2713 Depth=1
	ds_load_b64 v[2:3], v0
	s_and_not1_b32 s10, s10, exec_lo
	s_mov_b32 s7, 0
	s_mov_b32 s11, -1
	s_waitcnt lgkmcnt(0)
	flat_load_b32 v2, v[2:3] glc
	s_waitcnt vmcnt(0) lgkmcnt(0)
	buffer_gl1_inv
	buffer_gl0_inv
	v_cmp_eq_u32_e32 vcc_lo, 0, v2
	s_and_b32 s12, vcc_lo, exec_lo
	s_delay_alu instid0(SALU_CYCLE_1)
	s_or_b32 s10, s10, s12
	s_branch .LBB2_2714
.LBB2_2719:
	s_trap 2
	s_sendmsg_rtn_b32 s0, sendmsg(MSG_RTN_GET_DOORBELL)
	s_mov_b32 ttmp2, m0
	s_waitcnt lgkmcnt(0)
	s_and_b32 s0, s0, 0x3ff
	s_delay_alu instid0(SALU_CYCLE_1) | instskip(NEXT) | instid1(SALU_CYCLE_1)
	s_bitset1_b32 s0, 10
	s_mov_b32 m0, s0
	s_sendmsg sendmsg(MSG_INTERRUPT)
	s_mov_b32 m0, ttmp2
.LBB2_2720:                             ; =>This Inner Loop Header: Depth=1
	s_sethalt 5
	s_branch .LBB2_2720
.LBB2_2721:
	s_trap 2
	s_sendmsg_rtn_b32 s0, sendmsg(MSG_RTN_GET_DOORBELL)
	s_mov_b32 ttmp2, m0
	s_waitcnt lgkmcnt(0)
	s_and_b32 s0, s0, 0x3ff
	s_delay_alu instid0(SALU_CYCLE_1) | instskip(NEXT) | instid1(SALU_CYCLE_1)
	s_bitset1_b32 s0, 10
	s_mov_b32 m0, s0
	s_sendmsg sendmsg(MSG_INTERRUPT)
	s_mov_b32 m0, ttmp2
.LBB2_2722:                             ; =>This Inner Loop Header: Depth=1
	s_sethalt 5
	s_branch .LBB2_2722
.LBB2_2723:
	s_trap 2
	s_sendmsg_rtn_b32 s0, sendmsg(MSG_RTN_GET_DOORBELL)
	s_mov_b32 ttmp2, m0
	s_waitcnt lgkmcnt(0)
	s_and_b32 s0, s0, 0x3ff
	s_delay_alu instid0(SALU_CYCLE_1) | instskip(NEXT) | instid1(SALU_CYCLE_1)
	s_bitset1_b32 s0, 10
	s_mov_b32 m0, s0
	s_sendmsg sendmsg(MSG_INTERRUPT)
	s_mov_b32 m0, ttmp2
.LBB2_2724:                             ; =>This Inner Loop Header: Depth=1
	s_sethalt 5
	s_branch .LBB2_2724
.LBB2_2725:
	s_trap 2
	s_sendmsg_rtn_b32 s0, sendmsg(MSG_RTN_GET_DOORBELL)
	s_mov_b32 ttmp2, m0
	s_waitcnt lgkmcnt(0)
	s_and_b32 s0, s0, 0x3ff
	s_delay_alu instid0(SALU_CYCLE_1) | instskip(NEXT) | instid1(SALU_CYCLE_1)
	s_bitset1_b32 s0, 10
	s_mov_b32 m0, s0
	s_sendmsg sendmsg(MSG_INTERRUPT)
	s_mov_b32 m0, ttmp2
.LBB2_2726:                             ; =>This Inner Loop Header: Depth=1
	s_sethalt 5
	s_branch .LBB2_2726
.LBB2_2727:
	s_trap 2
	s_sendmsg_rtn_b32 s0, sendmsg(MSG_RTN_GET_DOORBELL)
	s_mov_b32 ttmp2, m0
	s_waitcnt lgkmcnt(0)
	s_and_b32 s0, s0, 0x3ff
	s_delay_alu instid0(SALU_CYCLE_1) | instskip(NEXT) | instid1(SALU_CYCLE_1)
	s_bitset1_b32 s0, 10
	s_mov_b32 m0, s0
	s_sendmsg sendmsg(MSG_INTERRUPT)
	s_mov_b32 m0, ttmp2
.LBB2_2728:                             ; =>This Inner Loop Header: Depth=1
	s_sethalt 5
	s_branch .LBB2_2728
.LBB2_2729:
	s_trap 2
	s_sendmsg_rtn_b32 s0, sendmsg(MSG_RTN_GET_DOORBELL)
	s_mov_b32 ttmp2, m0
	s_waitcnt lgkmcnt(0)
	s_and_b32 s0, s0, 0x3ff
	s_delay_alu instid0(SALU_CYCLE_1) | instskip(NEXT) | instid1(SALU_CYCLE_1)
	s_bitset1_b32 s0, 10
	s_mov_b32 m0, s0
	s_sendmsg sendmsg(MSG_INTERRUPT)
	s_mov_b32 m0, ttmp2
.LBB2_2730:                             ; =>This Inner Loop Header: Depth=1
	s_sethalt 5
	s_branch .LBB2_2730
.LBB2_2731:
	s_trap 2
	s_sendmsg_rtn_b32 s0, sendmsg(MSG_RTN_GET_DOORBELL)
	s_mov_b32 ttmp2, m0
	s_waitcnt lgkmcnt(0)
	s_and_b32 s0, s0, 0x3ff
	s_delay_alu instid0(SALU_CYCLE_1) | instskip(NEXT) | instid1(SALU_CYCLE_1)
	s_bitset1_b32 s0, 10
	s_mov_b32 m0, s0
	s_sendmsg sendmsg(MSG_INTERRUPT)
	s_mov_b32 m0, ttmp2
.LBB2_2732:                             ; =>This Inner Loop Header: Depth=1
	s_sethalt 5
	s_branch .LBB2_2732
.LBB2_2733:
	s_trap 2
	s_sendmsg_rtn_b32 s0, sendmsg(MSG_RTN_GET_DOORBELL)
	s_mov_b32 ttmp2, m0
	s_waitcnt lgkmcnt(0)
	s_and_b32 s0, s0, 0x3ff
	s_delay_alu instid0(SALU_CYCLE_1) | instskip(NEXT) | instid1(SALU_CYCLE_1)
	s_bitset1_b32 s0, 10
	s_mov_b32 m0, s0
	s_sendmsg sendmsg(MSG_INTERRUPT)
	s_mov_b32 m0, ttmp2
.LBB2_2734:                             ; =>This Inner Loop Header: Depth=1
	s_sethalt 5
	s_branch .LBB2_2734
.LBB2_2735:
	s_trap 2
	s_sendmsg_rtn_b32 s0, sendmsg(MSG_RTN_GET_DOORBELL)
	s_mov_b32 ttmp2, m0
	s_waitcnt lgkmcnt(0)
	s_and_b32 s0, s0, 0x3ff
	s_delay_alu instid0(SALU_CYCLE_1) | instskip(NEXT) | instid1(SALU_CYCLE_1)
	s_bitset1_b32 s0, 10
	s_mov_b32 m0, s0
	s_sendmsg sendmsg(MSG_INTERRUPT)
	s_mov_b32 m0, ttmp2
.LBB2_2736:                             ; =>This Inner Loop Header: Depth=1
	s_sethalt 5
	s_branch .LBB2_2736
.LBB2_2737:
	s_trap 2
	s_sendmsg_rtn_b32 s0, sendmsg(MSG_RTN_GET_DOORBELL)
	s_mov_b32 ttmp2, m0
	s_waitcnt lgkmcnt(0)
	s_and_b32 s0, s0, 0x3ff
	s_delay_alu instid0(SALU_CYCLE_1) | instskip(NEXT) | instid1(SALU_CYCLE_1)
	s_bitset1_b32 s0, 10
	s_mov_b32 m0, s0
	s_sendmsg sendmsg(MSG_INTERRUPT)
	s_mov_b32 m0, ttmp2
.LBB2_2738:                             ; =>This Inner Loop Header: Depth=1
	s_sethalt 5
	s_branch .LBB2_2738
.LBB2_2739:
	s_trap 2
	s_sendmsg_rtn_b32 s0, sendmsg(MSG_RTN_GET_DOORBELL)
	s_mov_b32 ttmp2, m0
	s_waitcnt lgkmcnt(0)
	s_and_b32 s0, s0, 0x3ff
	s_delay_alu instid0(SALU_CYCLE_1) | instskip(NEXT) | instid1(SALU_CYCLE_1)
	s_bitset1_b32 s0, 10
	s_mov_b32 m0, s0
	s_sendmsg sendmsg(MSG_INTERRUPT)
	s_mov_b32 m0, ttmp2
.LBB2_2740:                             ; =>This Inner Loop Header: Depth=1
	s_sethalt 5
	s_branch .LBB2_2740
.LBB2_2741:
	s_trap 2
	s_sendmsg_rtn_b32 s0, sendmsg(MSG_RTN_GET_DOORBELL)
	s_mov_b32 ttmp2, m0
	s_waitcnt lgkmcnt(0)
	s_and_b32 s0, s0, 0x3ff
	s_delay_alu instid0(SALU_CYCLE_1) | instskip(NEXT) | instid1(SALU_CYCLE_1)
	s_bitset1_b32 s0, 10
	s_mov_b32 m0, s0
	s_sendmsg sendmsg(MSG_INTERRUPT)
	s_mov_b32 m0, ttmp2
.LBB2_2742:                             ; =>This Inner Loop Header: Depth=1
	s_sethalt 5
	s_branch .LBB2_2742
.LBB2_2743:
	s_trap 2
	s_sendmsg_rtn_b32 s0, sendmsg(MSG_RTN_GET_DOORBELL)
	s_mov_b32 ttmp2, m0
	s_waitcnt lgkmcnt(0)
	s_and_b32 s0, s0, 0x3ff
	s_delay_alu instid0(SALU_CYCLE_1) | instskip(NEXT) | instid1(SALU_CYCLE_1)
	s_bitset1_b32 s0, 10
	s_mov_b32 m0, s0
	s_sendmsg sendmsg(MSG_INTERRUPT)
	s_mov_b32 m0, ttmp2
.LBB2_2744:                             ; =>This Inner Loop Header: Depth=1
	s_sethalt 5
	s_branch .LBB2_2744
.LBB2_2745:
	s_trap 2
	s_sendmsg_rtn_b32 s0, sendmsg(MSG_RTN_GET_DOORBELL)
	s_mov_b32 ttmp2, m0
	s_waitcnt lgkmcnt(0)
	s_and_b32 s0, s0, 0x3ff
	s_delay_alu instid0(SALU_CYCLE_1) | instskip(NEXT) | instid1(SALU_CYCLE_1)
	s_bitset1_b32 s0, 10
	s_mov_b32 m0, s0
	s_sendmsg sendmsg(MSG_INTERRUPT)
	s_mov_b32 m0, ttmp2
.LBB2_2746:                             ; =>This Inner Loop Header: Depth=1
	s_sethalt 5
	s_branch .LBB2_2746
.LBB2_2747:
	s_trap 2
	s_sendmsg_rtn_b32 s0, sendmsg(MSG_RTN_GET_DOORBELL)
	s_mov_b32 ttmp2, m0
	s_waitcnt lgkmcnt(0)
	s_and_b32 s0, s0, 0x3ff
	s_delay_alu instid0(SALU_CYCLE_1) | instskip(NEXT) | instid1(SALU_CYCLE_1)
	s_bitset1_b32 s0, 10
	s_mov_b32 m0, s0
	s_sendmsg sendmsg(MSG_INTERRUPT)
	s_mov_b32 m0, ttmp2
.LBB2_2748:                             ; =>This Inner Loop Header: Depth=1
	s_sethalt 5
	s_branch .LBB2_2748
.LBB2_2749:
	s_trap 2
	s_sendmsg_rtn_b32 s0, sendmsg(MSG_RTN_GET_DOORBELL)
	s_mov_b32 ttmp2, m0
	s_waitcnt lgkmcnt(0)
	s_and_b32 s0, s0, 0x3ff
	s_delay_alu instid0(SALU_CYCLE_1) | instskip(NEXT) | instid1(SALU_CYCLE_1)
	s_bitset1_b32 s0, 10
	s_mov_b32 m0, s0
	s_sendmsg sendmsg(MSG_INTERRUPT)
	s_mov_b32 m0, ttmp2
.LBB2_2750:                             ; =>This Inner Loop Header: Depth=1
	s_sethalt 5
	s_branch .LBB2_2750
.LBB2_2751:
	s_trap 2
	s_sendmsg_rtn_b32 s0, sendmsg(MSG_RTN_GET_DOORBELL)
	s_mov_b32 ttmp2, m0
	s_waitcnt lgkmcnt(0)
	s_and_b32 s0, s0, 0x3ff
	s_delay_alu instid0(SALU_CYCLE_1) | instskip(NEXT) | instid1(SALU_CYCLE_1)
	s_bitset1_b32 s0, 10
	s_mov_b32 m0, s0
	s_sendmsg sendmsg(MSG_INTERRUPT)
	s_mov_b32 m0, ttmp2
.LBB2_2752:                             ; =>This Inner Loop Header: Depth=1
	s_sethalt 5
	s_branch .LBB2_2752
.LBB2_2753:
	s_trap 2
	s_sendmsg_rtn_b32 s0, sendmsg(MSG_RTN_GET_DOORBELL)
	s_mov_b32 ttmp2, m0
	s_waitcnt lgkmcnt(0)
	s_and_b32 s0, s0, 0x3ff
	s_delay_alu instid0(SALU_CYCLE_1) | instskip(NEXT) | instid1(SALU_CYCLE_1)
	s_bitset1_b32 s0, 10
	s_mov_b32 m0, s0
	s_sendmsg sendmsg(MSG_INTERRUPT)
	s_mov_b32 m0, ttmp2
.LBB2_2754:                             ; =>This Inner Loop Header: Depth=1
	s_sethalt 5
	s_branch .LBB2_2754
.LBB2_2755:
	s_trap 2
	s_sendmsg_rtn_b32 s0, sendmsg(MSG_RTN_GET_DOORBELL)
	s_mov_b32 ttmp2, m0
	s_waitcnt lgkmcnt(0)
	s_and_b32 s0, s0, 0x3ff
	s_delay_alu instid0(SALU_CYCLE_1) | instskip(NEXT) | instid1(SALU_CYCLE_1)
	s_bitset1_b32 s0, 10
	s_mov_b32 m0, s0
	s_sendmsg sendmsg(MSG_INTERRUPT)
	s_mov_b32 m0, ttmp2
.LBB2_2756:                             ; =>This Inner Loop Header: Depth=1
	s_sethalt 5
	s_branch .LBB2_2756
.LBB2_2757:
	s_trap 2
	s_sendmsg_rtn_b32 s0, sendmsg(MSG_RTN_GET_DOORBELL)
	s_mov_b32 ttmp2, m0
	s_waitcnt lgkmcnt(0)
	s_and_b32 s0, s0, 0x3ff
	s_delay_alu instid0(SALU_CYCLE_1) | instskip(NEXT) | instid1(SALU_CYCLE_1)
	s_bitset1_b32 s0, 10
	s_mov_b32 m0, s0
	s_sendmsg sendmsg(MSG_INTERRUPT)
	s_mov_b32 m0, ttmp2
.LBB2_2758:                             ; =>This Inner Loop Header: Depth=1
	s_sethalt 5
	s_branch .LBB2_2758
.LBB2_2759:
	s_trap 2
	s_sendmsg_rtn_b32 s0, sendmsg(MSG_RTN_GET_DOORBELL)
	s_mov_b32 ttmp2, m0
	s_waitcnt lgkmcnt(0)
	s_and_b32 s0, s0, 0x3ff
	s_delay_alu instid0(SALU_CYCLE_1) | instskip(NEXT) | instid1(SALU_CYCLE_1)
	s_bitset1_b32 s0, 10
	s_mov_b32 m0, s0
	s_sendmsg sendmsg(MSG_INTERRUPT)
	s_mov_b32 m0, ttmp2
.LBB2_2760:                             ; =>This Inner Loop Header: Depth=1
	s_sethalt 5
	s_branch .LBB2_2760
.LBB2_2761:
	s_trap 2
	s_sendmsg_rtn_b32 s0, sendmsg(MSG_RTN_GET_DOORBELL)
	s_mov_b32 ttmp2, m0
	s_waitcnt lgkmcnt(0)
	s_and_b32 s0, s0, 0x3ff
	s_delay_alu instid0(SALU_CYCLE_1) | instskip(NEXT) | instid1(SALU_CYCLE_1)
	s_bitset1_b32 s0, 10
	s_mov_b32 m0, s0
	s_sendmsg sendmsg(MSG_INTERRUPT)
	s_mov_b32 m0, ttmp2
.LBB2_2762:                             ; =>This Inner Loop Header: Depth=1
	s_sethalt 5
	s_branch .LBB2_2762
.LBB2_2763:
	s_trap 2
	s_sendmsg_rtn_b32 s0, sendmsg(MSG_RTN_GET_DOORBELL)
	s_mov_b32 ttmp2, m0
	s_waitcnt lgkmcnt(0)
	s_and_b32 s0, s0, 0x3ff
	s_delay_alu instid0(SALU_CYCLE_1) | instskip(NEXT) | instid1(SALU_CYCLE_1)
	s_bitset1_b32 s0, 10
	s_mov_b32 m0, s0
	s_sendmsg sendmsg(MSG_INTERRUPT)
	s_mov_b32 m0, ttmp2
.LBB2_2764:                             ; =>This Inner Loop Header: Depth=1
	s_sethalt 5
	s_branch .LBB2_2764
.LBB2_2765:
	s_trap 2
	s_sendmsg_rtn_b32 s0, sendmsg(MSG_RTN_GET_DOORBELL)
	s_mov_b32 ttmp2, m0
	s_waitcnt lgkmcnt(0)
	s_and_b32 s0, s0, 0x3ff
	s_delay_alu instid0(SALU_CYCLE_1) | instskip(NEXT) | instid1(SALU_CYCLE_1)
	s_bitset1_b32 s0, 10
	s_mov_b32 m0, s0
	s_sendmsg sendmsg(MSG_INTERRUPT)
	s_mov_b32 m0, ttmp2
.LBB2_2766:                             ; =>This Inner Loop Header: Depth=1
	s_sethalt 5
	s_branch .LBB2_2766
.LBB2_2767:
	s_trap 2
	s_sendmsg_rtn_b32 s0, sendmsg(MSG_RTN_GET_DOORBELL)
	s_mov_b32 ttmp2, m0
	s_waitcnt lgkmcnt(0)
	s_and_b32 s0, s0, 0x3ff
	s_delay_alu instid0(SALU_CYCLE_1) | instskip(NEXT) | instid1(SALU_CYCLE_1)
	s_bitset1_b32 s0, 10
	s_mov_b32 m0, s0
	s_sendmsg sendmsg(MSG_INTERRUPT)
	s_mov_b32 m0, ttmp2
.LBB2_2768:                             ; =>This Inner Loop Header: Depth=1
	s_sethalt 5
	s_branch .LBB2_2768
.LBB2_2769:
	s_trap 2
	s_sendmsg_rtn_b32 s0, sendmsg(MSG_RTN_GET_DOORBELL)
	s_mov_b32 ttmp2, m0
	s_waitcnt lgkmcnt(0)
	s_and_b32 s0, s0, 0x3ff
	s_delay_alu instid0(SALU_CYCLE_1) | instskip(NEXT) | instid1(SALU_CYCLE_1)
	s_bitset1_b32 s0, 10
	s_mov_b32 m0, s0
	s_sendmsg sendmsg(MSG_INTERRUPT)
	s_mov_b32 m0, ttmp2
.LBB2_2770:                             ; =>This Inner Loop Header: Depth=1
	s_sethalt 5
	s_branch .LBB2_2770
.LBB2_2771:
	s_trap 2
	s_sendmsg_rtn_b32 s0, sendmsg(MSG_RTN_GET_DOORBELL)
	s_mov_b32 ttmp2, m0
	s_waitcnt lgkmcnt(0)
	s_and_b32 s0, s0, 0x3ff
	s_delay_alu instid0(SALU_CYCLE_1) | instskip(NEXT) | instid1(SALU_CYCLE_1)
	s_bitset1_b32 s0, 10
	s_mov_b32 m0, s0
	s_sendmsg sendmsg(MSG_INTERRUPT)
	s_mov_b32 m0, ttmp2
.LBB2_2772:                             ; =>This Inner Loop Header: Depth=1
	s_sethalt 5
	s_branch .LBB2_2772
.LBB2_2773:
	s_trap 2
	s_sendmsg_rtn_b32 s0, sendmsg(MSG_RTN_GET_DOORBELL)
	s_mov_b32 ttmp2, m0
	s_waitcnt lgkmcnt(0)
	s_and_b32 s0, s0, 0x3ff
	s_delay_alu instid0(SALU_CYCLE_1) | instskip(NEXT) | instid1(SALU_CYCLE_1)
	s_bitset1_b32 s0, 10
	s_mov_b32 m0, s0
	s_sendmsg sendmsg(MSG_INTERRUPT)
	s_mov_b32 m0, ttmp2
.LBB2_2774:                             ; =>This Inner Loop Header: Depth=1
	s_sethalt 5
	s_branch .LBB2_2774
.LBB2_2775:
	s_trap 2
	s_sendmsg_rtn_b32 s0, sendmsg(MSG_RTN_GET_DOORBELL)
	s_mov_b32 ttmp2, m0
	s_waitcnt lgkmcnt(0)
	s_and_b32 s0, s0, 0x3ff
	s_delay_alu instid0(SALU_CYCLE_1) | instskip(NEXT) | instid1(SALU_CYCLE_1)
	s_bitset1_b32 s0, 10
	s_mov_b32 m0, s0
	s_sendmsg sendmsg(MSG_INTERRUPT)
	s_mov_b32 m0, ttmp2
.LBB2_2776:                             ; =>This Inner Loop Header: Depth=1
	s_sethalt 5
	s_branch .LBB2_2776
.LBB2_2777:
	s_trap 2
	s_sendmsg_rtn_b32 s0, sendmsg(MSG_RTN_GET_DOORBELL)
	s_mov_b32 ttmp2, m0
	s_waitcnt lgkmcnt(0)
	s_and_b32 s0, s0, 0x3ff
	s_delay_alu instid0(SALU_CYCLE_1) | instskip(NEXT) | instid1(SALU_CYCLE_1)
	s_bitset1_b32 s0, 10
	s_mov_b32 m0, s0
	s_sendmsg sendmsg(MSG_INTERRUPT)
	s_mov_b32 m0, ttmp2
.LBB2_2778:                             ; =>This Inner Loop Header: Depth=1
	s_sethalt 5
	s_branch .LBB2_2778
.LBB2_2779:
	s_trap 2
	s_sendmsg_rtn_b32 s0, sendmsg(MSG_RTN_GET_DOORBELL)
	s_mov_b32 ttmp2, m0
	s_waitcnt lgkmcnt(0)
	s_and_b32 s0, s0, 0x3ff
	s_delay_alu instid0(SALU_CYCLE_1) | instskip(NEXT) | instid1(SALU_CYCLE_1)
	s_bitset1_b32 s0, 10
	s_mov_b32 m0, s0
	s_sendmsg sendmsg(MSG_INTERRUPT)
	s_mov_b32 m0, ttmp2
.LBB2_2780:                             ; =>This Inner Loop Header: Depth=1
	s_sethalt 5
	s_branch .LBB2_2780
.LBB2_2781:
	s_trap 2
	s_sendmsg_rtn_b32 s0, sendmsg(MSG_RTN_GET_DOORBELL)
	s_mov_b32 ttmp2, m0
	s_waitcnt lgkmcnt(0)
	s_and_b32 s0, s0, 0x3ff
	s_delay_alu instid0(SALU_CYCLE_1) | instskip(NEXT) | instid1(SALU_CYCLE_1)
	s_bitset1_b32 s0, 10
	s_mov_b32 m0, s0
	s_sendmsg sendmsg(MSG_INTERRUPT)
	s_mov_b32 m0, ttmp2
.LBB2_2782:                             ; =>This Inner Loop Header: Depth=1
	s_sethalt 5
	s_branch .LBB2_2782
.LBB2_2783:
	s_trap 2
	s_sendmsg_rtn_b32 s0, sendmsg(MSG_RTN_GET_DOORBELL)
	s_mov_b32 ttmp2, m0
	s_waitcnt lgkmcnt(0)
	s_and_b32 s0, s0, 0x3ff
	s_delay_alu instid0(SALU_CYCLE_1) | instskip(NEXT) | instid1(SALU_CYCLE_1)
	s_bitset1_b32 s0, 10
	s_mov_b32 m0, s0
	s_sendmsg sendmsg(MSG_INTERRUPT)
	s_mov_b32 m0, ttmp2
.LBB2_2784:                             ; =>This Inner Loop Header: Depth=1
	s_sethalt 5
	s_branch .LBB2_2784
.LBB2_2785:
	s_trap 2
	s_sendmsg_rtn_b32 s0, sendmsg(MSG_RTN_GET_DOORBELL)
	s_mov_b32 ttmp2, m0
	s_waitcnt lgkmcnt(0)
	s_and_b32 s0, s0, 0x3ff
	s_delay_alu instid0(SALU_CYCLE_1) | instskip(NEXT) | instid1(SALU_CYCLE_1)
	s_bitset1_b32 s0, 10
	s_mov_b32 m0, s0
	s_sendmsg sendmsg(MSG_INTERRUPT)
	s_mov_b32 m0, ttmp2
.LBB2_2786:                             ; =>This Inner Loop Header: Depth=1
	s_sethalt 5
	s_branch .LBB2_2786
.LBB2_2787:
	s_trap 2
	s_sendmsg_rtn_b32 s0, sendmsg(MSG_RTN_GET_DOORBELL)
	s_mov_b32 ttmp2, m0
	s_waitcnt lgkmcnt(0)
	s_and_b32 s0, s0, 0x3ff
	s_delay_alu instid0(SALU_CYCLE_1) | instskip(NEXT) | instid1(SALU_CYCLE_1)
	s_bitset1_b32 s0, 10
	s_mov_b32 m0, s0
	s_sendmsg sendmsg(MSG_INTERRUPT)
	s_mov_b32 m0, ttmp2
.LBB2_2788:                             ; =>This Inner Loop Header: Depth=1
	s_sethalt 5
	s_branch .LBB2_2788
.LBB2_2789:
	s_trap 2
	s_sendmsg_rtn_b32 s0, sendmsg(MSG_RTN_GET_DOORBELL)
	s_mov_b32 ttmp2, m0
	s_waitcnt lgkmcnt(0)
	s_and_b32 s0, s0, 0x3ff
	s_delay_alu instid0(SALU_CYCLE_1) | instskip(NEXT) | instid1(SALU_CYCLE_1)
	s_bitset1_b32 s0, 10
	s_mov_b32 m0, s0
	s_sendmsg sendmsg(MSG_INTERRUPT)
	s_mov_b32 m0, ttmp2
.LBB2_2790:                             ; =>This Inner Loop Header: Depth=1
	s_sethalt 5
	s_branch .LBB2_2790
.LBB2_2791:
	s_trap 2
	s_sendmsg_rtn_b32 s0, sendmsg(MSG_RTN_GET_DOORBELL)
	s_mov_b32 ttmp2, m0
	s_waitcnt lgkmcnt(0)
	s_and_b32 s0, s0, 0x3ff
	s_delay_alu instid0(SALU_CYCLE_1) | instskip(NEXT) | instid1(SALU_CYCLE_1)
	s_bitset1_b32 s0, 10
	s_mov_b32 m0, s0
	s_sendmsg sendmsg(MSG_INTERRUPT)
	s_mov_b32 m0, ttmp2
.LBB2_2792:                             ; =>This Inner Loop Header: Depth=1
	s_sethalt 5
	s_branch .LBB2_2792
.LBB2_2793:
	s_trap 2
	s_sendmsg_rtn_b32 s0, sendmsg(MSG_RTN_GET_DOORBELL)
	s_mov_b32 ttmp2, m0
	s_waitcnt lgkmcnt(0)
	s_and_b32 s0, s0, 0x3ff
	s_delay_alu instid0(SALU_CYCLE_1) | instskip(NEXT) | instid1(SALU_CYCLE_1)
	s_bitset1_b32 s0, 10
	s_mov_b32 m0, s0
	s_sendmsg sendmsg(MSG_INTERRUPT)
	s_mov_b32 m0, ttmp2
.LBB2_2794:                             ; =>This Inner Loop Header: Depth=1
	s_sethalt 5
	s_branch .LBB2_2794
.LBB2_2795:
	s_trap 2
	s_sendmsg_rtn_b32 s0, sendmsg(MSG_RTN_GET_DOORBELL)
	s_mov_b32 ttmp2, m0
	s_waitcnt lgkmcnt(0)
	s_and_b32 s0, s0, 0x3ff
	s_delay_alu instid0(SALU_CYCLE_1) | instskip(NEXT) | instid1(SALU_CYCLE_1)
	s_bitset1_b32 s0, 10
	s_mov_b32 m0, s0
	s_sendmsg sendmsg(MSG_INTERRUPT)
	s_mov_b32 m0, ttmp2
.LBB2_2796:                             ; =>This Inner Loop Header: Depth=1
	s_sethalt 5
	s_branch .LBB2_2796
.LBB2_2797:
	s_trap 2
	s_sendmsg_rtn_b32 s0, sendmsg(MSG_RTN_GET_DOORBELL)
	s_mov_b32 ttmp2, m0
	s_waitcnt lgkmcnt(0)
	s_and_b32 s0, s0, 0x3ff
	s_delay_alu instid0(SALU_CYCLE_1) | instskip(NEXT) | instid1(SALU_CYCLE_1)
	s_bitset1_b32 s0, 10
	s_mov_b32 m0, s0
	s_sendmsg sendmsg(MSG_INTERRUPT)
	s_mov_b32 m0, ttmp2
.LBB2_2798:                             ; =>This Inner Loop Header: Depth=1
	s_sethalt 5
	s_branch .LBB2_2798
.LBB2_2799:
	s_trap 2
	s_sendmsg_rtn_b32 s0, sendmsg(MSG_RTN_GET_DOORBELL)
	s_mov_b32 ttmp2, m0
	s_waitcnt lgkmcnt(0)
	s_and_b32 s0, s0, 0x3ff
	s_delay_alu instid0(SALU_CYCLE_1) | instskip(NEXT) | instid1(SALU_CYCLE_1)
	s_bitset1_b32 s0, 10
	s_mov_b32 m0, s0
	s_sendmsg sendmsg(MSG_INTERRUPT)
	s_mov_b32 m0, ttmp2
.LBB2_2800:                             ; =>This Inner Loop Header: Depth=1
	s_sethalt 5
	s_branch .LBB2_2800
.LBB2_2801:
	s_trap 2
	s_sendmsg_rtn_b32 s0, sendmsg(MSG_RTN_GET_DOORBELL)
	s_mov_b32 ttmp2, m0
	s_waitcnt lgkmcnt(0)
	s_and_b32 s0, s0, 0x3ff
	s_delay_alu instid0(SALU_CYCLE_1) | instskip(NEXT) | instid1(SALU_CYCLE_1)
	s_bitset1_b32 s0, 10
	s_mov_b32 m0, s0
	s_sendmsg sendmsg(MSG_INTERRUPT)
	s_mov_b32 m0, ttmp2
.LBB2_2802:                             ; =>This Inner Loop Header: Depth=1
	s_sethalt 5
	s_branch .LBB2_2802
.LBB2_2803:
	s_trap 2
	s_sendmsg_rtn_b32 s0, sendmsg(MSG_RTN_GET_DOORBELL)
	s_mov_b32 ttmp2, m0
	s_waitcnt lgkmcnt(0)
	s_and_b32 s0, s0, 0x3ff
	s_delay_alu instid0(SALU_CYCLE_1) | instskip(NEXT) | instid1(SALU_CYCLE_1)
	s_bitset1_b32 s0, 10
	s_mov_b32 m0, s0
	s_sendmsg sendmsg(MSG_INTERRUPT)
	s_mov_b32 m0, ttmp2
.LBB2_2804:                             ; =>This Inner Loop Header: Depth=1
	s_sethalt 5
	s_branch .LBB2_2804
.LBB2_2805:
	s_trap 2
	s_sendmsg_rtn_b32 s0, sendmsg(MSG_RTN_GET_DOORBELL)
	s_mov_b32 ttmp2, m0
	s_waitcnt lgkmcnt(0)
	s_and_b32 s0, s0, 0x3ff
	s_delay_alu instid0(SALU_CYCLE_1) | instskip(NEXT) | instid1(SALU_CYCLE_1)
	s_bitset1_b32 s0, 10
	s_mov_b32 m0, s0
	s_sendmsg sendmsg(MSG_INTERRUPT)
	s_mov_b32 m0, ttmp2
.LBB2_2806:                             ; =>This Inner Loop Header: Depth=1
	s_sethalt 5
	s_branch .LBB2_2806
.LBB2_2807:
	s_trap 2
	s_sendmsg_rtn_b32 s0, sendmsg(MSG_RTN_GET_DOORBELL)
	s_mov_b32 ttmp2, m0
	s_waitcnt lgkmcnt(0)
	s_and_b32 s0, s0, 0x3ff
	s_delay_alu instid0(SALU_CYCLE_1) | instskip(NEXT) | instid1(SALU_CYCLE_1)
	s_bitset1_b32 s0, 10
	s_mov_b32 m0, s0
	s_sendmsg sendmsg(MSG_INTERRUPT)
	s_mov_b32 m0, ttmp2
.LBB2_2808:                             ; =>This Inner Loop Header: Depth=1
	s_sethalt 5
	s_branch .LBB2_2808
.LBB2_2809:
	s_trap 2
	s_sendmsg_rtn_b32 s0, sendmsg(MSG_RTN_GET_DOORBELL)
	s_mov_b32 ttmp2, m0
	s_waitcnt lgkmcnt(0)
	s_and_b32 s0, s0, 0x3ff
	s_delay_alu instid0(SALU_CYCLE_1) | instskip(NEXT) | instid1(SALU_CYCLE_1)
	s_bitset1_b32 s0, 10
	s_mov_b32 m0, s0
	s_sendmsg sendmsg(MSG_INTERRUPT)
	s_mov_b32 m0, ttmp2
.LBB2_2810:                             ; =>This Inner Loop Header: Depth=1
	s_sethalt 5
	s_branch .LBB2_2810
.LBB2_2811:
	s_trap 2
	s_sendmsg_rtn_b32 s0, sendmsg(MSG_RTN_GET_DOORBELL)
	s_mov_b32 ttmp2, m0
	s_waitcnt lgkmcnt(0)
	s_and_b32 s0, s0, 0x3ff
	s_delay_alu instid0(SALU_CYCLE_1) | instskip(NEXT) | instid1(SALU_CYCLE_1)
	s_bitset1_b32 s0, 10
	s_mov_b32 m0, s0
	s_sendmsg sendmsg(MSG_INTERRUPT)
	s_mov_b32 m0, ttmp2
.LBB2_2812:                             ; =>This Inner Loop Header: Depth=1
	s_sethalt 5
	s_branch .LBB2_2812
.LBB2_2813:
	s_trap 2
	s_sendmsg_rtn_b32 s0, sendmsg(MSG_RTN_GET_DOORBELL)
	s_mov_b32 ttmp2, m0
	s_waitcnt lgkmcnt(0)
	s_and_b32 s0, s0, 0x3ff
	s_delay_alu instid0(SALU_CYCLE_1) | instskip(NEXT) | instid1(SALU_CYCLE_1)
	s_bitset1_b32 s0, 10
	s_mov_b32 m0, s0
	s_sendmsg sendmsg(MSG_INTERRUPT)
	s_mov_b32 m0, ttmp2
.LBB2_2814:                             ; =>This Inner Loop Header: Depth=1
	s_sethalt 5
	s_branch .LBB2_2814
.LBB2_2815:
	s_trap 2
	s_sendmsg_rtn_b32 s0, sendmsg(MSG_RTN_GET_DOORBELL)
	s_mov_b32 ttmp2, m0
	s_waitcnt lgkmcnt(0)
	s_and_b32 s0, s0, 0x3ff
	s_delay_alu instid0(SALU_CYCLE_1) | instskip(NEXT) | instid1(SALU_CYCLE_1)
	s_bitset1_b32 s0, 10
	s_mov_b32 m0, s0
	s_sendmsg sendmsg(MSG_INTERRUPT)
	s_mov_b32 m0, ttmp2
.LBB2_2816:                             ; =>This Inner Loop Header: Depth=1
	s_sethalt 5
	s_branch .LBB2_2816
.LBB2_2817:
	s_trap 2
	s_sendmsg_rtn_b32 s0, sendmsg(MSG_RTN_GET_DOORBELL)
	s_mov_b32 ttmp2, m0
	s_waitcnt lgkmcnt(0)
	s_and_b32 s0, s0, 0x3ff
	s_delay_alu instid0(SALU_CYCLE_1) | instskip(NEXT) | instid1(SALU_CYCLE_1)
	s_bitset1_b32 s0, 10
	s_mov_b32 m0, s0
	s_sendmsg sendmsg(MSG_INTERRUPT)
	s_mov_b32 m0, ttmp2
.LBB2_2818:                             ; =>This Inner Loop Header: Depth=1
	s_sethalt 5
	s_branch .LBB2_2818
.LBB2_2819:
	s_trap 2
	s_sendmsg_rtn_b32 s0, sendmsg(MSG_RTN_GET_DOORBELL)
	s_mov_b32 ttmp2, m0
	s_waitcnt lgkmcnt(0)
	s_and_b32 s0, s0, 0x3ff
	s_delay_alu instid0(SALU_CYCLE_1) | instskip(NEXT) | instid1(SALU_CYCLE_1)
	s_bitset1_b32 s0, 10
	s_mov_b32 m0, s0
	s_sendmsg sendmsg(MSG_INTERRUPT)
	s_mov_b32 m0, ttmp2
.LBB2_2820:                             ; =>This Inner Loop Header: Depth=1
	s_sethalt 5
	s_branch .LBB2_2820
.LBB2_2821:
	s_trap 2
	s_sendmsg_rtn_b32 s0, sendmsg(MSG_RTN_GET_DOORBELL)
	s_mov_b32 ttmp2, m0
	s_waitcnt lgkmcnt(0)
	s_and_b32 s0, s0, 0x3ff
	s_delay_alu instid0(SALU_CYCLE_1) | instskip(NEXT) | instid1(SALU_CYCLE_1)
	s_bitset1_b32 s0, 10
	s_mov_b32 m0, s0
	s_sendmsg sendmsg(MSG_INTERRUPT)
	s_mov_b32 m0, ttmp2
.LBB2_2822:                             ; =>This Inner Loop Header: Depth=1
	s_sethalt 5
	s_branch .LBB2_2822
.LBB2_2823:
	s_trap 2
	s_sendmsg_rtn_b32 s0, sendmsg(MSG_RTN_GET_DOORBELL)
	s_mov_b32 ttmp2, m0
	s_waitcnt lgkmcnt(0)
	s_and_b32 s0, s0, 0x3ff
	s_delay_alu instid0(SALU_CYCLE_1) | instskip(NEXT) | instid1(SALU_CYCLE_1)
	s_bitset1_b32 s0, 10
	s_mov_b32 m0, s0
	s_sendmsg sendmsg(MSG_INTERRUPT)
	s_mov_b32 m0, ttmp2
.LBB2_2824:                             ; =>This Inner Loop Header: Depth=1
	s_sethalt 5
	s_branch .LBB2_2824
.LBB2_2825:
	s_trap 2
	s_sendmsg_rtn_b32 s0, sendmsg(MSG_RTN_GET_DOORBELL)
	s_mov_b32 ttmp2, m0
	s_waitcnt lgkmcnt(0)
	s_and_b32 s0, s0, 0x3ff
	s_delay_alu instid0(SALU_CYCLE_1) | instskip(NEXT) | instid1(SALU_CYCLE_1)
	s_bitset1_b32 s0, 10
	s_mov_b32 m0, s0
	s_sendmsg sendmsg(MSG_INTERRUPT)
	s_mov_b32 m0, ttmp2
.LBB2_2826:                             ; =>This Inner Loop Header: Depth=1
	s_sethalt 5
	s_branch .LBB2_2826
.LBB2_2827:
	s_trap 2
	s_sendmsg_rtn_b32 s0, sendmsg(MSG_RTN_GET_DOORBELL)
	s_mov_b32 ttmp2, m0
	s_waitcnt lgkmcnt(0)
	s_and_b32 s0, s0, 0x3ff
	s_delay_alu instid0(SALU_CYCLE_1) | instskip(NEXT) | instid1(SALU_CYCLE_1)
	s_bitset1_b32 s0, 10
	s_mov_b32 m0, s0
	s_sendmsg sendmsg(MSG_INTERRUPT)
	s_mov_b32 m0, ttmp2
.LBB2_2828:                             ; =>This Inner Loop Header: Depth=1
	s_sethalt 5
	s_branch .LBB2_2828
.LBB2_2829:
	s_trap 2
	s_sendmsg_rtn_b32 s0, sendmsg(MSG_RTN_GET_DOORBELL)
	s_mov_b32 ttmp2, m0
	s_waitcnt lgkmcnt(0)
	s_and_b32 s0, s0, 0x3ff
	s_delay_alu instid0(SALU_CYCLE_1) | instskip(NEXT) | instid1(SALU_CYCLE_1)
	s_bitset1_b32 s0, 10
	s_mov_b32 m0, s0
	s_sendmsg sendmsg(MSG_INTERRUPT)
	s_mov_b32 m0, ttmp2
.LBB2_2830:                             ; =>This Inner Loop Header: Depth=1
	s_sethalt 5
	s_branch .LBB2_2830
.LBB2_2831:
	s_or_b32 exec_lo, exec_lo, s4
	s_and_saveexec_b32 s4, s5
	s_delay_alu instid0(SALU_CYCLE_1)
	s_xor_b32 s4, exec_lo, s4
	s_cbranch_execz .LBB2_2833
; %bb.2832:
	v_mov_b32_e32 v0, 1
	ds_store_b32 v0, v0
	s_cbranch_execnz .LBB2_2875
.LBB2_2833:
	s_or_b32 exec_lo, exec_lo, s3
	;;#ASMSTART
	s_wakeup
	;;#ASMEND
.LBB2_2834:
	s_or_b32 exec_lo, exec_lo, s2
.LBB2_2835:
	s_and_not1_saveexec_b32 s1, s1
	s_cbranch_execz .LBB2_2837
; %bb.2836:
	s_waitcnt lgkmcnt(0)
	s_waitcnt_vscnt null, 0x0
	buffer_gl1_inv
	buffer_gl0_inv
	s_barrier
.LBB2_2837:
	s_or_b32 exec_lo, exec_lo, s0
.LBB2_2838:
	s_and_not1_saveexec_b32 s21, s13
	s_cbranch_execz .LBB2_2840
; %bb.2839:
	s_getpc_b64 s[0:1]
	s_add_u32 s0, s0, __PRETTY_FUNCTION__._ZN10PrimitivesI12rccl_bfloat88FuncProdIS0_E12FanSymmetricILi1EELi0E11ProtoSimpleILi1ELi1ELi0ELi1ELi0ELi0EELi0ELb0ELi0ELi0ELi0EEC2EiiPKiS9_PKvPvmhhhP15ncclDevWorkCollP14ncclDevWorkP2pii@rel32@lo+4
	s_addc_u32 s1, s1, __PRETTY_FUNCTION__._ZN10PrimitivesI12rccl_bfloat88FuncProdIS0_E12FanSymmetricILi1EELi0E11ProtoSimpleILi1ELi1ELi0ELi1ELi0ELi0EELi0ELb0ELi0ELi0ELi0EEC2EiiPKiS9_PKvPvmhhhP15ncclDevWorkCollP14ncclDevWorkP2pii@rel32@hi+12
	s_delay_alu instid0(SALU_CYCLE_1) | instskip(SKIP_3) | instid1(SALU_CYCLE_1)
	v_dual_mov_b32 v0, s0 :: v_dual_mov_b32 v1, s1
	s_getpc_b64 s[2:3]
	s_add_u32 s2, s2, __assert_fail@rel32@lo+4
	s_addc_u32 s3, s3, __assert_fail@rel32@hi+12
	s_swappc_b64 s[30:31], s[2:3]
	; divergent unreachable
.LBB2_2840:
	s_or_b32 exec_lo, exec_lo, s21
	scratch_load_b32 v40, off, s33          ; 4-byte Folded Reload
	v_readlane_b32 s30, v41, 0
	v_readlane_b32 s31, v41, 1
	v_readlane_b32 s0, v41, 2
	s_or_saveexec_b32 s1, -1
	scratch_load_b32 v41, off, s33 offset:4 ; 4-byte Folded Reload
	s_mov_b32 exec_lo, s1
	s_add_i32 s32, s32, -16
	s_mov_b32 s33, s0
	s_waitcnt vmcnt(0) lgkmcnt(0)
	s_setpc_b64 s[30:31]
.LBB2_2841:
	s_trap 2
	s_sendmsg_rtn_b32 s0, sendmsg(MSG_RTN_GET_DOORBELL)
	s_mov_b32 ttmp2, m0
	s_waitcnt lgkmcnt(0)
	s_and_b32 s0, s0, 0x3ff
	s_delay_alu instid0(SALU_CYCLE_1) | instskip(NEXT) | instid1(SALU_CYCLE_1)
	s_bitset1_b32 s0, 10
	s_mov_b32 m0, s0
	s_sendmsg sendmsg(MSG_INTERRUPT)
	s_mov_b32 m0, ttmp2
.LBB2_2842:                             ; =>This Inner Loop Header: Depth=1
	s_sethalt 5
	s_branch .LBB2_2842
.LBB2_2843:
	s_trap 2
	s_sendmsg_rtn_b32 s0, sendmsg(MSG_RTN_GET_DOORBELL)
	s_mov_b32 ttmp2, m0
	s_waitcnt lgkmcnt(0)
	s_and_b32 s0, s0, 0x3ff
	s_delay_alu instid0(SALU_CYCLE_1) | instskip(NEXT) | instid1(SALU_CYCLE_1)
	s_bitset1_b32 s0, 10
	s_mov_b32 m0, s0
	s_sendmsg sendmsg(MSG_INTERRUPT)
	s_mov_b32 m0, ttmp2
.LBB2_2844:                             ; =>This Inner Loop Header: Depth=1
	s_sethalt 5
	s_branch .LBB2_2844
.LBB2_2845:
	s_trap 2
	s_sendmsg_rtn_b32 s0, sendmsg(MSG_RTN_GET_DOORBELL)
	s_mov_b32 ttmp2, m0
	s_waitcnt lgkmcnt(0)
	s_and_b32 s0, s0, 0x3ff
	s_delay_alu instid0(SALU_CYCLE_1) | instskip(NEXT) | instid1(SALU_CYCLE_1)
	s_bitset1_b32 s0, 10
	s_mov_b32 m0, s0
	s_sendmsg sendmsg(MSG_INTERRUPT)
	s_mov_b32 m0, ttmp2
.LBB2_2846:                             ; =>This Inner Loop Header: Depth=1
	s_sethalt 5
	s_branch .LBB2_2846
.LBB2_2847:
	s_trap 2
	s_sendmsg_rtn_b32 s0, sendmsg(MSG_RTN_GET_DOORBELL)
	s_mov_b32 ttmp2, m0
	s_waitcnt lgkmcnt(0)
	s_and_b32 s0, s0, 0x3ff
	s_delay_alu instid0(SALU_CYCLE_1) | instskip(NEXT) | instid1(SALU_CYCLE_1)
	s_bitset1_b32 s0, 10
	s_mov_b32 m0, s0
	s_sendmsg sendmsg(MSG_INTERRUPT)
	s_mov_b32 m0, ttmp2
.LBB2_2848:                             ; =>This Inner Loop Header: Depth=1
	s_sethalt 5
	s_branch .LBB2_2848
.LBB2_2849:
	s_trap 2
	s_sendmsg_rtn_b32 s0, sendmsg(MSG_RTN_GET_DOORBELL)
	s_mov_b32 ttmp2, m0
	s_waitcnt lgkmcnt(0)
	s_and_b32 s0, s0, 0x3ff
	s_delay_alu instid0(SALU_CYCLE_1) | instskip(NEXT) | instid1(SALU_CYCLE_1)
	s_bitset1_b32 s0, 10
	s_mov_b32 m0, s0
	s_sendmsg sendmsg(MSG_INTERRUPT)
	s_mov_b32 m0, ttmp2
.LBB2_2850:                             ; =>This Inner Loop Header: Depth=1
	s_sethalt 5
	s_branch .LBB2_2850
.LBB2_2851:
	s_trap 2
	s_sendmsg_rtn_b32 s0, sendmsg(MSG_RTN_GET_DOORBELL)
	s_mov_b32 ttmp2, m0
	s_waitcnt lgkmcnt(0)
	s_and_b32 s0, s0, 0x3ff
	s_delay_alu instid0(SALU_CYCLE_1) | instskip(NEXT) | instid1(SALU_CYCLE_1)
	s_bitset1_b32 s0, 10
	s_mov_b32 m0, s0
	s_sendmsg sendmsg(MSG_INTERRUPT)
	s_mov_b32 m0, ttmp2
.LBB2_2852:                             ; =>This Inner Loop Header: Depth=1
	s_sethalt 5
	s_branch .LBB2_2852
.LBB2_2853:
	s_trap 2
	s_sendmsg_rtn_b32 s0, sendmsg(MSG_RTN_GET_DOORBELL)
	s_mov_b32 ttmp2, m0
	s_waitcnt lgkmcnt(0)
	s_and_b32 s0, s0, 0x3ff
	s_delay_alu instid0(SALU_CYCLE_1) | instskip(NEXT) | instid1(SALU_CYCLE_1)
	s_bitset1_b32 s0, 10
	s_mov_b32 m0, s0
	s_sendmsg sendmsg(MSG_INTERRUPT)
	s_mov_b32 m0, ttmp2
.LBB2_2854:                             ; =>This Inner Loop Header: Depth=1
	s_sethalt 5
	s_branch .LBB2_2854
.LBB2_2855:
	s_trap 2
	s_sendmsg_rtn_b32 s0, sendmsg(MSG_RTN_GET_DOORBELL)
	s_mov_b32 ttmp2, m0
	s_waitcnt lgkmcnt(0)
	s_and_b32 s0, s0, 0x3ff
	s_delay_alu instid0(SALU_CYCLE_1) | instskip(NEXT) | instid1(SALU_CYCLE_1)
	s_bitset1_b32 s0, 10
	s_mov_b32 m0, s0
	s_sendmsg sendmsg(MSG_INTERRUPT)
	s_mov_b32 m0, ttmp2
.LBB2_2856:                             ; =>This Inner Loop Header: Depth=1
	s_sethalt 5
	s_branch .LBB2_2856
.LBB2_2857:
	s_trap 2
	s_sendmsg_rtn_b32 s0, sendmsg(MSG_RTN_GET_DOORBELL)
	s_mov_b32 ttmp2, m0
	s_waitcnt lgkmcnt(0)
	s_and_b32 s0, s0, 0x3ff
	s_delay_alu instid0(SALU_CYCLE_1) | instskip(NEXT) | instid1(SALU_CYCLE_1)
	s_bitset1_b32 s0, 10
	s_mov_b32 m0, s0
	s_sendmsg sendmsg(MSG_INTERRUPT)
	s_mov_b32 m0, ttmp2
.LBB2_2858:                             ; =>This Inner Loop Header: Depth=1
	s_sethalt 5
	s_branch .LBB2_2858
.LBB2_2859:
	s_trap 2
	s_sendmsg_rtn_b32 s0, sendmsg(MSG_RTN_GET_DOORBELL)
	s_mov_b32 ttmp2, m0
	s_waitcnt lgkmcnt(0)
	s_and_b32 s0, s0, 0x3ff
	s_delay_alu instid0(SALU_CYCLE_1) | instskip(NEXT) | instid1(SALU_CYCLE_1)
	s_bitset1_b32 s0, 10
	s_mov_b32 m0, s0
	s_sendmsg sendmsg(MSG_INTERRUPT)
	s_mov_b32 m0, ttmp2
.LBB2_2860:                             ; =>This Inner Loop Header: Depth=1
	s_sethalt 5
	s_branch .LBB2_2860
.LBB2_2861:
	s_trap 2
	s_sendmsg_rtn_b32 s0, sendmsg(MSG_RTN_GET_DOORBELL)
	s_mov_b32 ttmp2, m0
	s_waitcnt lgkmcnt(0)
	s_and_b32 s0, s0, 0x3ff
	s_delay_alu instid0(SALU_CYCLE_1) | instskip(NEXT) | instid1(SALU_CYCLE_1)
	s_bitset1_b32 s0, 10
	s_mov_b32 m0, s0
	s_sendmsg sendmsg(MSG_INTERRUPT)
	s_mov_b32 m0, ttmp2
.LBB2_2862:                             ; =>This Inner Loop Header: Depth=1
	s_sethalt 5
	s_branch .LBB2_2862
.LBB2_2863:
	s_trap 2
	s_sendmsg_rtn_b32 s0, sendmsg(MSG_RTN_GET_DOORBELL)
	s_mov_b32 ttmp2, m0
	s_waitcnt lgkmcnt(0)
	s_and_b32 s0, s0, 0x3ff
	s_delay_alu instid0(SALU_CYCLE_1) | instskip(NEXT) | instid1(SALU_CYCLE_1)
	s_bitset1_b32 s0, 10
	s_mov_b32 m0, s0
	s_sendmsg sendmsg(MSG_INTERRUPT)
	s_mov_b32 m0, ttmp2
.LBB2_2864:                             ; =>This Inner Loop Header: Depth=1
	s_sethalt 5
	s_branch .LBB2_2864
.LBB2_2865:
	s_trap 2
	s_sendmsg_rtn_b32 s0, sendmsg(MSG_RTN_GET_DOORBELL)
	s_mov_b32 ttmp2, m0
	s_waitcnt lgkmcnt(0)
	s_and_b32 s0, s0, 0x3ff
	s_delay_alu instid0(SALU_CYCLE_1) | instskip(NEXT) | instid1(SALU_CYCLE_1)
	s_bitset1_b32 s0, 10
	s_mov_b32 m0, s0
	s_sendmsg sendmsg(MSG_INTERRUPT)
	s_mov_b32 m0, ttmp2
.LBB2_2866:                             ; =>This Inner Loop Header: Depth=1
	s_sethalt 5
	s_branch .LBB2_2866
.LBB2_2867:
	s_trap 2
	s_sendmsg_rtn_b32 s0, sendmsg(MSG_RTN_GET_DOORBELL)
	s_mov_b32 ttmp2, m0
	s_waitcnt lgkmcnt(0)
	s_and_b32 s0, s0, 0x3ff
	s_delay_alu instid0(SALU_CYCLE_1) | instskip(NEXT) | instid1(SALU_CYCLE_1)
	s_bitset1_b32 s0, 10
	s_mov_b32 m0, s0
	s_sendmsg sendmsg(MSG_INTERRUPT)
	s_mov_b32 m0, ttmp2
.LBB2_2868:                             ; =>This Inner Loop Header: Depth=1
	s_sethalt 5
	s_branch .LBB2_2868
.LBB2_2869:
	s_trap 2
	s_sendmsg_rtn_b32 s0, sendmsg(MSG_RTN_GET_DOORBELL)
	s_mov_b32 ttmp2, m0
	s_waitcnt lgkmcnt(0)
	s_and_b32 s0, s0, 0x3ff
	s_delay_alu instid0(SALU_CYCLE_1) | instskip(NEXT) | instid1(SALU_CYCLE_1)
	s_bitset1_b32 s0, 10
	s_mov_b32 m0, s0
	s_sendmsg sendmsg(MSG_INTERRUPT)
	s_mov_b32 m0, ttmp2
.LBB2_2870:                             ; =>This Inner Loop Header: Depth=1
	s_sethalt 5
	s_branch .LBB2_2870
.LBB2_2871:
	s_trap 2
	s_sendmsg_rtn_b32 s0, sendmsg(MSG_RTN_GET_DOORBELL)
	s_mov_b32 ttmp2, m0
	s_waitcnt lgkmcnt(0)
	s_and_b32 s0, s0, 0x3ff
	s_delay_alu instid0(SALU_CYCLE_1) | instskip(NEXT) | instid1(SALU_CYCLE_1)
	s_bitset1_b32 s0, 10
	s_mov_b32 m0, s0
	s_sendmsg sendmsg(MSG_INTERRUPT)
	s_mov_b32 m0, ttmp2
.LBB2_2872:                             ; =>This Inner Loop Header: Depth=1
	s_sethalt 5
	s_branch .LBB2_2872
.LBB2_2873:
	s_trap 2
	s_sendmsg_rtn_b32 s0, sendmsg(MSG_RTN_GET_DOORBELL)
	s_mov_b32 ttmp2, m0
	s_waitcnt lgkmcnt(0)
	s_and_b32 s0, s0, 0x3ff
	s_delay_alu instid0(SALU_CYCLE_1) | instskip(NEXT) | instid1(SALU_CYCLE_1)
	s_bitset1_b32 s0, 10
	s_mov_b32 m0, s0
	s_sendmsg sendmsg(MSG_INTERRUPT)
	s_mov_b32 m0, ttmp2
.LBB2_2874:                             ; =>This Inner Loop Header: Depth=1
	s_sethalt 5
	s_branch .LBB2_2874
.LBB2_2875:
	s_trap 2
	s_sendmsg_rtn_b32 s0, sendmsg(MSG_RTN_GET_DOORBELL)
	s_mov_b32 ttmp2, m0
	s_waitcnt lgkmcnt(0)
	s_and_b32 s0, s0, 0x3ff
	s_delay_alu instid0(SALU_CYCLE_1) | instskip(NEXT) | instid1(SALU_CYCLE_1)
	s_bitset1_b32 s0, 10
	s_mov_b32 m0, s0
	s_sendmsg sendmsg(MSG_INTERRUPT)
	s_mov_b32 m0, ttmp2
.LBB2_2876:                             ; =>This Inner Loop Header: Depth=1
	s_sethalt 5
	s_branch .LBB2_2876
.LBB2_2877:
	s_trap 2
	s_sendmsg_rtn_b32 s0, sendmsg(MSG_RTN_GET_DOORBELL)
	s_mov_b32 ttmp2, m0
	s_waitcnt lgkmcnt(0)
	s_and_b32 s0, s0, 0x3ff
	s_delay_alu instid0(SALU_CYCLE_1) | instskip(NEXT) | instid1(SALU_CYCLE_1)
	s_bitset1_b32 s0, 10
	s_mov_b32 m0, s0
	s_sendmsg sendmsg(MSG_INTERRUPT)
	s_mov_b32 m0, ttmp2
.LBB2_2878:                             ; =>This Inner Loop Header: Depth=1
	s_sethalt 5
	s_branch .LBB2_2878
.LBB2_2879:
	s_trap 2
	s_sendmsg_rtn_b32 s0, sendmsg(MSG_RTN_GET_DOORBELL)
	s_mov_b32 ttmp2, m0
	s_waitcnt lgkmcnt(0)
	s_and_b32 s0, s0, 0x3ff
	s_delay_alu instid0(SALU_CYCLE_1) | instskip(NEXT) | instid1(SALU_CYCLE_1)
	s_bitset1_b32 s0, 10
	s_mov_b32 m0, s0
	s_sendmsg sendmsg(MSG_INTERRUPT)
	s_mov_b32 m0, ttmp2
.LBB2_2880:                             ; =>This Inner Loop Header: Depth=1
	s_sethalt 5
	s_branch .LBB2_2880
.LBB2_2881:
	s_trap 2
	s_sendmsg_rtn_b32 s0, sendmsg(MSG_RTN_GET_DOORBELL)
	s_mov_b32 ttmp2, m0
	s_waitcnt lgkmcnt(0)
	s_and_b32 s0, s0, 0x3ff
	s_delay_alu instid0(SALU_CYCLE_1) | instskip(NEXT) | instid1(SALU_CYCLE_1)
	s_bitset1_b32 s0, 10
	s_mov_b32 m0, s0
	s_sendmsg sendmsg(MSG_INTERRUPT)
	s_mov_b32 m0, ttmp2
.LBB2_2882:                             ; =>This Inner Loop Header: Depth=1
	s_sethalt 5
	s_branch .LBB2_2882
.LBB2_2883:
	s_trap 2
	s_sendmsg_rtn_b32 s0, sendmsg(MSG_RTN_GET_DOORBELL)
	s_mov_b32 ttmp2, m0
	s_waitcnt lgkmcnt(0)
	s_and_b32 s0, s0, 0x3ff
	s_delay_alu instid0(SALU_CYCLE_1) | instskip(NEXT) | instid1(SALU_CYCLE_1)
	s_bitset1_b32 s0, 10
	s_mov_b32 m0, s0
	s_sendmsg sendmsg(MSG_INTERRUPT)
	s_mov_b32 m0, ttmp2
.LBB2_2884:                             ; =>This Inner Loop Header: Depth=1
	s_sethalt 5
	s_branch .LBB2_2884
.LBB2_2885:
	s_trap 2
	s_sendmsg_rtn_b32 s0, sendmsg(MSG_RTN_GET_DOORBELL)
	s_mov_b32 ttmp2, m0
	s_waitcnt lgkmcnt(0)
	s_and_b32 s0, s0, 0x3ff
	s_delay_alu instid0(SALU_CYCLE_1) | instskip(NEXT) | instid1(SALU_CYCLE_1)
	s_bitset1_b32 s0, 10
	s_mov_b32 m0, s0
	s_sendmsg sendmsg(MSG_INTERRUPT)
	s_mov_b32 m0, ttmp2
.LBB2_2886:                             ; =>This Inner Loop Header: Depth=1
	s_sethalt 5
	s_branch .LBB2_2886
.LBB2_2887:
	s_trap 2
	s_sendmsg_rtn_b32 s0, sendmsg(MSG_RTN_GET_DOORBELL)
	s_mov_b32 ttmp2, m0
	s_waitcnt lgkmcnt(0)
	s_and_b32 s0, s0, 0x3ff
	s_delay_alu instid0(SALU_CYCLE_1) | instskip(NEXT) | instid1(SALU_CYCLE_1)
	s_bitset1_b32 s0, 10
	s_mov_b32 m0, s0
	s_sendmsg sendmsg(MSG_INTERRUPT)
	s_mov_b32 m0, ttmp2
.LBB2_2888:                             ; =>This Inner Loop Header: Depth=1
	s_sethalt 5
	s_branch .LBB2_2888
.LBB2_2889:
	s_trap 2
	s_sendmsg_rtn_b32 s0, sendmsg(MSG_RTN_GET_DOORBELL)
	s_mov_b32 ttmp2, m0
	s_waitcnt lgkmcnt(0)
	s_and_b32 s0, s0, 0x3ff
	s_delay_alu instid0(SALU_CYCLE_1) | instskip(NEXT) | instid1(SALU_CYCLE_1)
	s_bitset1_b32 s0, 10
	s_mov_b32 m0, s0
	s_sendmsg sendmsg(MSG_INTERRUPT)
	s_mov_b32 m0, ttmp2
.LBB2_2890:                             ; =>This Inner Loop Header: Depth=1
	s_sethalt 5
	s_branch .LBB2_2890
.LBB2_2891:
	s_trap 2
	s_sendmsg_rtn_b32 s0, sendmsg(MSG_RTN_GET_DOORBELL)
	s_mov_b32 ttmp2, m0
	s_waitcnt lgkmcnt(0)
	s_and_b32 s0, s0, 0x3ff
	s_delay_alu instid0(SALU_CYCLE_1) | instskip(NEXT) | instid1(SALU_CYCLE_1)
	s_bitset1_b32 s0, 10
	s_mov_b32 m0, s0
	s_sendmsg sendmsg(MSG_INTERRUPT)
	s_mov_b32 m0, ttmp2
.LBB2_2892:                             ; =>This Inner Loop Header: Depth=1
	s_sethalt 5
	s_branch .LBB2_2892
.LBB2_2893:
	s_trap 2
	s_sendmsg_rtn_b32 s0, sendmsg(MSG_RTN_GET_DOORBELL)
	s_mov_b32 ttmp2, m0
	s_waitcnt lgkmcnt(0)
	s_and_b32 s0, s0, 0x3ff
	s_delay_alu instid0(SALU_CYCLE_1) | instskip(NEXT) | instid1(SALU_CYCLE_1)
	s_bitset1_b32 s0, 10
	s_mov_b32 m0, s0
	s_sendmsg sendmsg(MSG_INTERRUPT)
	s_mov_b32 m0, ttmp2
.LBB2_2894:                             ; =>This Inner Loop Header: Depth=1
	s_sethalt 5
	s_branch .LBB2_2894
.LBB2_2895:
	s_trap 2
	s_sendmsg_rtn_b32 s0, sendmsg(MSG_RTN_GET_DOORBELL)
	s_mov_b32 ttmp2, m0
	s_waitcnt lgkmcnt(0)
	s_and_b32 s0, s0, 0x3ff
	s_delay_alu instid0(SALU_CYCLE_1) | instskip(NEXT) | instid1(SALU_CYCLE_1)
	s_bitset1_b32 s0, 10
	s_mov_b32 m0, s0
	s_sendmsg sendmsg(MSG_INTERRUPT)
	s_mov_b32 m0, ttmp2
.LBB2_2896:                             ; =>This Inner Loop Header: Depth=1
	s_sethalt 5
	s_branch .LBB2_2896
.LBB2_2897:
	s_trap 2
	s_sendmsg_rtn_b32 s0, sendmsg(MSG_RTN_GET_DOORBELL)
	s_mov_b32 ttmp2, m0
	s_waitcnt lgkmcnt(0)
	s_and_b32 s0, s0, 0x3ff
	s_delay_alu instid0(SALU_CYCLE_1) | instskip(NEXT) | instid1(SALU_CYCLE_1)
	s_bitset1_b32 s0, 10
	s_mov_b32 m0, s0
	s_sendmsg sendmsg(MSG_INTERRUPT)
	s_mov_b32 m0, ttmp2
.LBB2_2898:                             ; =>This Inner Loop Header: Depth=1
	s_sethalt 5
	s_branch .LBB2_2898
.LBB2_2899:
	s_trap 2
	s_sendmsg_rtn_b32 s0, sendmsg(MSG_RTN_GET_DOORBELL)
	s_mov_b32 ttmp2, m0
	s_waitcnt lgkmcnt(0)
	s_and_b32 s0, s0, 0x3ff
	s_delay_alu instid0(SALU_CYCLE_1) | instskip(NEXT) | instid1(SALU_CYCLE_1)
	s_bitset1_b32 s0, 10
	s_mov_b32 m0, s0
	s_sendmsg sendmsg(MSG_INTERRUPT)
	s_mov_b32 m0, ttmp2
.LBB2_2900:                             ; =>This Inner Loop Header: Depth=1
	s_sethalt 5
	s_branch .LBB2_2900
.LBB2_2901:
	s_trap 2
	s_sendmsg_rtn_b32 s0, sendmsg(MSG_RTN_GET_DOORBELL)
	s_mov_b32 ttmp2, m0
	s_waitcnt lgkmcnt(0)
	s_and_b32 s0, s0, 0x3ff
	s_delay_alu instid0(SALU_CYCLE_1) | instskip(NEXT) | instid1(SALU_CYCLE_1)
	s_bitset1_b32 s0, 10
	s_mov_b32 m0, s0
	s_sendmsg sendmsg(MSG_INTERRUPT)
	s_mov_b32 m0, ttmp2
.LBB2_2902:                             ; =>This Inner Loop Header: Depth=1
	s_sethalt 5
	s_branch .LBB2_2902
.LBB2_2903:
	s_trap 2
	s_sendmsg_rtn_b32 s0, sendmsg(MSG_RTN_GET_DOORBELL)
	s_mov_b32 ttmp2, m0
	s_waitcnt lgkmcnt(0)
	s_and_b32 s0, s0, 0x3ff
	s_delay_alu instid0(SALU_CYCLE_1) | instskip(NEXT) | instid1(SALU_CYCLE_1)
	s_bitset1_b32 s0, 10
	s_mov_b32 m0, s0
	s_sendmsg sendmsg(MSG_INTERRUPT)
	s_mov_b32 m0, ttmp2
.LBB2_2904:                             ; =>This Inner Loop Header: Depth=1
	s_sethalt 5
	s_branch .LBB2_2904
.Lfunc_end2:
	.size	_ZN12_GLOBAL__N_17runRingI12rccl_bfloat88FuncProdIS1_E11ProtoSimpleILi1ELi1ELi0ELi1ELi0ELi0EELi0ELi1ELi0EEEviiP15ncclDevWorkColl, .Lfunc_end2-_ZN12_GLOBAL__N_17runRingI12rccl_bfloat88FuncProdIS1_E11ProtoSimpleILi1ELi1ELi0ELi1ELi0ELi0EELi0ELi1ELi0EEEviiP15ncclDevWorkColl
                                        ; -- End function
	.section	.AMDGPU.csdata,"",@progbits
; Function info:
; codeLenInByte = 109056
; NumSgprs: 36
; NumVgprs: 133
; ScratchSize: 80
; MemoryBound: 1
	.text
	.p2align	2                               ; -- Begin function _Z48ncclDevFunc_Reduce_RING_SIMPLE_Prod_f8e5m2_0_0_1v
	.type	_Z48ncclDevFunc_Reduce_RING_SIMPLE_Prod_f8e5m2_0_0_1v,@function
_Z48ncclDevFunc_Reduce_RING_SIMPLE_Prod_f8e5m2_0_0_1v: ; @_Z48ncclDevFunc_Reduce_RING_SIMPLE_Prod_f8e5m2_0_0_1v
; %bb.0:
	s_waitcnt vmcnt(0) expcnt(0) lgkmcnt(0)
	s_mov_b32 s0, s33
	s_mov_b32 s33, s32
	s_or_saveexec_b32 s1, -1
	scratch_store_b32 off, v40, s33 offset:4 ; 4-byte Folded Spill
	s_mov_b32 exec_lo, s1
	v_writelane_b32 v40, s0, 8
	s_add_i32 s32, s32, 16
	scratch_store_b32 off, v41, s33         ; 4-byte Folded Spill
	v_writelane_b32 v40, s34, 0
	v_writelane_b32 v40, s35, 1
	;; [unrolled: 1-line block ×8, first 2 shown]
	s_cbranch_execnz .LBB3_13
; %bb.1:
	ds_load_b32 v0, v0
	s_waitcnt lgkmcnt(0)
	v_cmp_gt_i32_e32 vcc_lo, 1, v0
	s_cbranch_vccnz .LBB3_12
; %bb.2:
	v_and_b32_e32 v133, 0x3ff, v31
	s_mov_b32 s38, 0
	s_mov_b64 s[36:37], src_shared_base
.LBB3_3:                                ; =>This Inner Loop Header: Depth=1
	s_cbranch_execnz .LBB3_15
; %bb.4:                                ;   in Loop: Header=BB3_3 Depth=1
	ds_load_b32 v0, v0
	s_cmp_eq_u32 s38, 0
	s_cbranch_scc1 .LBB3_8
; %bb.5:                                ;   in Loop: Header=BB3_3 Depth=1
	s_cbranch_execnz .LBB3_19
; %bb.6:                                ;   in Loop: Header=BB3_3 Depth=1
	s_waitcnt lgkmcnt(0)
	ds_load_b32 v1, v0
	s_waitcnt lgkmcnt(0)
	v_xor_b32_e32 v1, v1, v0
	s_delay_alu instid0(VALU_DEP_1) | instskip(NEXT) | instid1(VALU_DEP_1)
	v_and_b32_e32 v1, 0xff0000, v1
	v_cmp_eq_u32_e32 vcc_lo, 0, v1
	s_cbranch_vccnz .LBB3_8
; %bb.7:                                ;   in Loop: Header=BB3_3 Depth=1
	s_waitcnt_vscnt null, 0x0
	s_barrier
	buffer_gl0_inv
	ds_load_b32 v0, v0
.LBB3_8:                                ;   in Loop: Header=BB3_3 Depth=1
	s_waitcnt lgkmcnt(0)
	v_lshrrev_b32_e32 v0, 11, v0
	s_mov_b32 s39, exec_lo
	s_delay_alu instid0(VALU_DEP_1) | instskip(NEXT) | instid1(VALU_DEP_1)
	v_and_b32_e32 v1, 0x1fe0, v0
	v_cmpx_lt_u32_e64 v133, v1
	s_cbranch_execz .LBB3_10
; %bb.9:                                ;   in Loop: Header=BB3_3 Depth=1
	v_dual_mov_b32 v134, v31 :: v_dual_mov_b32 v3, s37
	v_mov_b32_e32 v0, v133
	s_getpc_b64 s[0:1]
	s_add_u32 s0, s0, _ZN12_GLOBAL__N_17runRingI12rccl_bfloat88FuncProdIS1_E11ProtoSimpleILi1ELi1ELi0ELi1ELi0ELi0EELi0ELi1ELi0EEEviiP15ncclDevWorkColl@rel32@lo+4
	s_addc_u32 s1, s1, _ZN12_GLOBAL__N_17runRingI12rccl_bfloat88FuncProdIS1_E11ProtoSimpleILi1ELi1ELi0ELi1ELi0ELi0EELi0ELi1ELi0EEEviiP15ncclDevWorkColl@rel32@hi+12
	s_mov_b64 s[34:35], s[8:9]
	s_mov_b32 s36, s12
	s_swappc_b64 s[30:31], s[0:1]
	v_mov_b32_e32 v31, v134
	s_mov_b32 s12, s36
	s_mov_b64 s[8:9], s[34:35]
.LBB3_10:                               ;   in Loop: Header=BB3_3 Depth=1
	s_or_b32 exec_lo, exec_lo, s39
	s_cbranch_execnz .LBB3_17
; %bb.11:                               ;   in Loop: Header=BB3_3 Depth=1
	ds_load_b32 v0, v0
	s_add_i32 s38, s38, 1
	s_waitcnt lgkmcnt(0)
	v_cmp_lt_i32_e32 vcc_lo, s38, v0
	s_cbranch_vccnz .LBB3_3
.LBB3_12:
	scratch_load_b32 v41, off, s33          ; 4-byte Folded Reload
	v_readlane_b32 s30, v40, 6
	v_readlane_b32 s31, v40, 7
	;; [unrolled: 1-line block ×9, first 2 shown]
	s_or_saveexec_b32 s1, -1
	scratch_load_b32 v40, off, s33 offset:4 ; 4-byte Folded Reload
	s_mov_b32 exec_lo, s1
	s_add_i32 s32, s32, -16
	s_mov_b32 s33, s0
	s_waitcnt vmcnt(0)
	s_setpc_b64 s[30:31]
.LBB3_13:
	s_trap 2
	s_sendmsg_rtn_b32 s0, sendmsg(MSG_RTN_GET_DOORBELL)
	s_mov_b32 ttmp2, m0
	s_waitcnt lgkmcnt(0)
	s_and_b32 s0, s0, 0x3ff
	s_delay_alu instid0(SALU_CYCLE_1) | instskip(NEXT) | instid1(SALU_CYCLE_1)
	s_bitset1_b32 s0, 10
	s_mov_b32 m0, s0
	s_sendmsg sendmsg(MSG_INTERRUPT)
	s_mov_b32 m0, ttmp2
.LBB3_14:                               ; =>This Inner Loop Header: Depth=1
	s_sethalt 5
	s_branch .LBB3_14
.LBB3_15:
	s_trap 2
	s_sendmsg_rtn_b32 s0, sendmsg(MSG_RTN_GET_DOORBELL)
	s_mov_b32 ttmp2, m0
	s_waitcnt lgkmcnt(0)
	s_and_b32 s0, s0, 0x3ff
	s_delay_alu instid0(SALU_CYCLE_1) | instskip(NEXT) | instid1(SALU_CYCLE_1)
	s_bitset1_b32 s0, 10
	s_mov_b32 m0, s0
	s_sendmsg sendmsg(MSG_INTERRUPT)
	s_mov_b32 m0, ttmp2
.LBB3_16:                               ; =>This Inner Loop Header: Depth=1
	s_sethalt 5
	s_branch .LBB3_16
.LBB3_17:
	s_trap 2
	s_sendmsg_rtn_b32 s0, sendmsg(MSG_RTN_GET_DOORBELL)
	s_mov_b32 ttmp2, m0
	s_waitcnt lgkmcnt(0)
	s_and_b32 s0, s0, 0x3ff
	s_delay_alu instid0(SALU_CYCLE_1) | instskip(NEXT) | instid1(SALU_CYCLE_1)
	s_bitset1_b32 s0, 10
	s_mov_b32 m0, s0
	s_sendmsg sendmsg(MSG_INTERRUPT)
	s_mov_b32 m0, ttmp2
.LBB3_18:                               ; =>This Inner Loop Header: Depth=1
	s_sethalt 5
	s_branch .LBB3_18
.LBB3_19:
	s_trap 2
	s_sendmsg_rtn_b32 s0, sendmsg(MSG_RTN_GET_DOORBELL)
	s_mov_b32 ttmp2, m0
	s_waitcnt lgkmcnt(0)
	s_and_b32 s0, s0, 0x3ff
	s_delay_alu instid0(SALU_CYCLE_1) | instskip(NEXT) | instid1(SALU_CYCLE_1)
	s_bitset1_b32 s0, 10
	s_mov_b32 m0, s0
	s_sendmsg sendmsg(MSG_INTERRUPT)
	s_mov_b32 m0, ttmp2
.LBB3_20:                               ; =>This Inner Loop Header: Depth=1
	s_sethalt 5
	s_branch .LBB3_20
.Lfunc_end3:
	.size	_Z48ncclDevFunc_Reduce_RING_SIMPLE_Prod_f8e5m2_0_0_1v, .Lfunc_end3-_Z48ncclDevFunc_Reduce_RING_SIMPLE_Prod_f8e5m2_0_0_1v
                                        ; -- End function
	.section	.AMDGPU.csdata,"",@progbits
; Function info:
; codeLenInByte = 684
; NumSgprs: 42
; NumVgprs: 135
; ScratchSize: 96
; MemoryBound: 0
	.text
	.p2align	2                               ; -- Begin function _ZN12_GLOBAL__N_17runRingI12rccl_bfloat88FuncProdIS1_E11ProtoSimpleILi1ELi1ELi0ELi2ELi0ELi0EELi0ELi2ELi0EEEviiP15ncclDevWorkColl
	.type	_ZN12_GLOBAL__N_17runRingI12rccl_bfloat88FuncProdIS1_E11ProtoSimpleILi1ELi1ELi0ELi2ELi0ELi0EELi0ELi2ELi0EEEviiP15ncclDevWorkColl,@function
_ZN12_GLOBAL__N_17runRingI12rccl_bfloat88FuncProdIS1_E11ProtoSimpleILi1ELi1ELi0ELi2ELi0ELi0EELi0ELi2ELi0EEEviiP15ncclDevWorkColl: ; @_ZN12_GLOBAL__N_17runRingI12rccl_bfloat88FuncProdIS1_E11ProtoSimpleILi1ELi1ELi0ELi2ELi0ELi0EELi0ELi2ELi0EEEviiP15ncclDevWorkColl
; %bb.0:
	s_waitcnt vmcnt(0) expcnt(0) lgkmcnt(0)
	s_mov_b32 s0, s33
	s_mov_b32 s33, s32
	s_or_saveexec_b32 s1, -1
	scratch_store_b32 off, v41, s33 offset:4 ; 4-byte Folded Spill
	s_mov_b32 exec_lo, s1
	v_writelane_b32 v41, s0, 2
	s_add_i32 s32, s32, 16
	scratch_store_b32 off, v40, s33         ; 4-byte Folded Spill
	v_writelane_b32 v41, s30, 0
	v_writelane_b32 v41, s31, 1
	s_cbranch_execz .LBB4_1
; %bb.4061:
	s_getpc_b64 s[34:35]
.Lpost_getpc0:
	s_add_u32 s34, s34, (.LBB4_3775-.Lpost_getpc0)&4294967295
	s_addc_u32 s35, s35, (.LBB4_3775-.Lpost_getpc0)>>32
	s_setpc_b64 s[34:35]
.LBB4_1:
	ds_load_b64 v[14:15], v0
	ds_load_b32 v9, v0
	flat_load_b64 v[6:7], v[2:3]
	s_mov_b32 s0, exec_lo
                                        ; implicit-def: $vgpr17_vgpr18
                                        ; implicit-def: $vgpr26_vgpr27
	s_waitcnt lgkmcnt(2)
	v_ashrrev_i32_e32 v5, 31, v15
	v_mov_b32_e32 v4, v15
	s_delay_alu instid0(VALU_DEP_1) | instskip(NEXT) | instid1(VALU_DEP_1)
	v_lshlrev_b64 v[4:5], 2, v[4:5]
	v_add_co_u32 v4, vcc_lo, v14, v4
	s_delay_alu instid0(VALU_DEP_2) | instskip(NEXT) | instid1(VALU_DEP_2)
	v_add_co_ci_u32_e32 v5, vcc_lo, v15, v5, vcc_lo
	v_add_co_u32 v4, vcc_lo, -4, v4
	s_delay_alu instid0(VALU_DEP_2) | instskip(SKIP_4) | instid1(VALU_DEP_1)
	v_add_co_ci_u32_e32 v5, vcc_lo, -1, v5, vcc_lo
	flat_load_u16 v16, v[2:3] offset:8
	flat_load_b32 v22, v[4:5]
                                        ; implicit-def: $vgpr4_vgpr5
	s_waitcnt vmcnt(2) lgkmcnt(2)
	v_dual_mov_b32 v15, v7 :: v_dual_and_b32 v8, 0xff, v6
	v_cmpx_ne_u32_e64 v8, v9
	s_xor_b32 s0, exec_lo, s0
	s_cbranch_execz .LBB4_2
; %bb.4063:
	s_getpc_b64 s[34:35]
.Lpost_getpc1:
	s_add_u32 s34, s34, (.LBB4_3777-.Lpost_getpc1)&4294967295
	s_addc_u32 s35, s35, (.LBB4_3777-.Lpost_getpc1)>>32
	s_setpc_b64 s[34:35]
.LBB4_2:
	s_and_not1_saveexec_b32 s0, s0
	s_cbranch_execz .LBB4_3
; %bb.4065:
	s_getpc_b64 s[34:35]
.Lpost_getpc2:
	s_add_u32 s34, s34, (.LBB4_3782-.Lpost_getpc2)&4294967295
	s_addc_u32 s35, s35, (.LBB4_3782-.Lpost_getpc2)>>32
	s_setpc_b64 s[34:35]
.LBB4_3:
	s_or_b32 exec_lo, exec_lo, s0
	s_cbranch_execz .LBB4_4
; %bb.4067:
	s_getpc_b64 s[34:35]
.Lpost_getpc3:
	s_add_u32 s34, s34, (.LBB4_3783-.Lpost_getpc3)&4294967295
	s_addc_u32 s35, s35, (.LBB4_3783-.Lpost_getpc3)>>32
	s_setpc_b64 s[34:35]
.LBB4_4:
	ds_load_b64 v[6:7], v0
	s_mov_b32 s1, exec_lo
	s_waitcnt lgkmcnt(0)
	v_cmp_ne_u32_e32 vcc_lo, -1, v6
	v_cndmask_b32_e64 v54, 0, 1, vcc_lo
	v_cmp_ne_u32_e32 vcc_lo, -1, v7
	s_delay_alu instid0(VALU_DEP_2) | instskip(NEXT) | instid1(VALU_DEP_1)
	v_add_co_ci_u32_e64 v6, s0, 0, v54, vcc_lo
	v_lshlrev_b32_e32 v7, 1, v6
	s_delay_alu instid0(VALU_DEP_1)
	v_cmpx_le_i32_e64 v7, v1
	s_xor_b32 s13, exec_lo, s1
	s_cbranch_execnz .LBB4_5
; %bb.4069:
	s_getpc_b64 s[34:35]
.Lpost_getpc4:
	s_add_u32 s34, s34, (.LBB4_3994-.Lpost_getpc4)&4294967295
	s_addc_u32 s35, s35, (.LBB4_3994-.Lpost_getpc4)>>32
	s_setpc_b64 s[34:35]
.LBB4_5:
	s_clause 0x1
	flat_load_b128 v[10:13], v[2:3] offset:16
	flat_load_b64 v[18:19], v[2:3] offset:104
	s_cbranch_execz .LBB4_6
; %bb.4071:
	s_getpc_b64 s[34:35]
.Lpost_getpc5:
	s_add_u32 s34, s34, (.LBB4_3785-.Lpost_getpc5)&4294967295
	s_addc_u32 s35, s35, (.LBB4_3785-.Lpost_getpc5)>>32
	s_setpc_b64 s[34:35]
.LBB4_6:
	s_load_b32 s0, s[8:9], 0x0
	v_mov_b32_e32 v2, 0
	v_mov_b32_e32 v30, 4
	s_waitcnt lgkmcnt(0)
	s_cmp_lt_u32 s12, s0
	s_cselect_b32 s0, 12, 18
	s_delay_alu instid0(SALU_CYCLE_1)
	s_add_u32 s0, s8, s0
	s_addc_u32 s1, s9, 0
	global_load_u16 v23, v2, s[0:1]
	ds_load_b32 v2, v0
	s_mov_b32 s1, exec_lo
	s_waitcnt lgkmcnt(0)
	v_readfirstlane_b32 s14, v2
	v_cmpx_ge_i32_e64 v0, v54
	s_cbranch_execz .LBB4_16
; %bb.7:
	v_cmp_le_u32_e64 s0, v6, v0
                                        ; implicit-def: $vgpr30
	s_delay_alu instid0(VALU_DEP_1) | instskip(NEXT) | instid1(SALU_CYCLE_1)
	s_and_saveexec_b32 s2, s0
	s_xor_b32 s0, exec_lo, s2
	s_cbranch_execz .LBB4_13
; %bb.8:
	v_cndmask_b32_e64 v2, 0, 1, vcc_lo
	s_mov_b32 s2, exec_lo
                                        ; implicit-def: $sgpr3
	s_delay_alu instid0(VALU_DEP_1) | instskip(NEXT) | instid1(VALU_DEP_1)
	v_sub_nc_u32_e32 v2, v1, v2
	v_cmpx_ge_u32_e64 v0, v2
	s_xor_b32 s2, exec_lo, s2
; %bb.9:
	s_mov_b32 s3, 16
                                        ; implicit-def: $vgpr6
; %bb.10:
	s_or_saveexec_b32 s2, s2
	v_mov_b32_e32 v30, s3
	s_xor_b32 exec_lo, exec_lo, s2
; %bb.11:
	v_sub_nc_u32_e32 v2, v1, v6
	s_delay_alu instid0(VALU_DEP_1) | instskip(SKIP_1) | instid1(VALU_DEP_1)
	v_cmp_ge_i32_e32 vcc_lo, v0, v2
	v_cndmask_b32_e64 v2, 0, 1, vcc_lo
	v_lshlrev_b32_e32 v30, 5, v2
; %bb.12:
	s_or_b32 exec_lo, exec_lo, s2
.LBB4_13:
	s_and_not1_saveexec_b32 s0, s0
; %bb.14:
	v_mov_b32_e32 v30, 8
; %bb.15:
	s_or_b32 exec_lo, exec_lo, s0
.LBB4_16:
	s_delay_alu instid0(SALU_CYCLE_1) | instskip(NEXT) | instid1(VALU_DEP_1)
	s_or_b32 exec_lo, exec_lo, s1
	v_and_b32_e32 v2, 36, v30
	v_mov_b32_e32 v20, -1
	s_delay_alu instid0(VALU_DEP_2)
	v_cmp_ne_u32_e32 vcc_lo, 0, v2
	s_and_saveexec_b32 s0, vcc_lo
	s_cbranch_execz .LBB4_19
; %bb.17:
	s_cbranch_execz .LBB4_18
; %bb.4073:
	s_getpc_b64 s[34:35]
.Lpost_getpc6:
	s_add_u32 s34, s34, (.LBB4_3787-.Lpost_getpc6)&4294967295
	s_addc_u32 s35, s35, (.LBB4_3787-.Lpost_getpc6)>>32
	s_setpc_b64 s[34:35]
.LBB4_18:
	ds_load_b32 v20, v0
.LBB4_19:
	s_or_b32 exec_lo, exec_lo, s0
	v_and_b32_e32 v2, 24, v30
	s_mov_b32 s1, exec_lo
	s_delay_alu instid0(VALU_DEP_1)
	v_cmpx_ne_u32_e32 0, v2
	s_cbranch_execz .LBB4_22
; %bb.20:
	s_cbranch_execz .LBB4_21
; %bb.4075:
	s_getpc_b64 s[34:35]
.Lpost_getpc7:
	s_add_u32 s34, s34, (.LBB4_3789-.Lpost_getpc7)&4294967295
	s_addc_u32 s35, s35, (.LBB4_3789-.Lpost_getpc7)>>32
	s_setpc_b64 s[34:35]
.LBB4_21:
	s_waitcnt lgkmcnt(0)
	ds_load_b32 v20, v0
.LBB4_22:
	s_or_b32 exec_lo, exec_lo, s1
	s_waitcnt vmcnt(4)
	v_lshrrev_b64 v[2:3], 31, v[15:16]
	v_mov_b32_e32 v28, 0
	v_mov_b32_e32 v29, 0
                                        ; implicit-def: $vgpr81
                                        ; implicit-def: $vgpr36_vgpr37
                                        ; implicit-def: $vgpr34_vgpr35
                                        ; implicit-def: $vgpr32_vgpr33
	s_delay_alu instid0(VALU_DEP_3) | instskip(NEXT) | instid1(VALU_DEP_2)
	v_and_b32_e32 v16, 3, v2
	v_dual_mov_b32 v6, v28 :: v_dual_mov_b32 v7, v29
                                        ; implicit-def: $vgpr2_vgpr3
	s_and_saveexec_b32 s0, vcc_lo
	s_cbranch_execz .LBB4_35
; %bb.23:
	s_cbranch_execz .LBB4_24
; %bb.4077:
	s_getpc_b64 s[34:35]
.Lpost_getpc8:
	s_add_u32 s34, s34, (.LBB4_3791-.Lpost_getpc8)&4294967295
	s_addc_u32 s35, s35, (.LBB4_3791-.Lpost_getpc8)>>32
	s_setpc_b64 s[34:35]
.LBB4_24:
	ds_load_b64 v[2:3], v0
	s_waitcnt lgkmcnt(1)
	v_ashrrev_i32_e32 v21, 31, v20
	v_and_b32_e32 v8, 0xffff, v16
	s_delay_alu instid0(VALU_DEP_2) | instskip(SKIP_1) | instid1(VALU_DEP_1)
	v_lshlrev_b64 v[6:7], 3, v[20:21]
	s_waitcnt lgkmcnt(0)
	v_add_co_u32 v2, vcc_lo, v2, v6
	s_delay_alu instid0(VALU_DEP_2)
	v_add_co_ci_u32_e32 v3, vcc_lo, v3, v7, vcc_lo
	flat_load_b64 v[2:3], v[2:3]
	s_waitcnt vmcnt(0) lgkmcnt(0)
	v_mad_u64_u32 v[6:7], null, 0xa8, v8, v[2:3]
	flat_load_b32 v2, v[6:7] offset:640
	v_add_co_u32 v28, vcc_lo, 0x1f8, v6
	v_add_co_ci_u32_e32 v29, vcc_lo, 0, v7, vcc_lo
	s_waitcnt vmcnt(0) lgkmcnt(0)
	v_cmp_eq_u32_e32 vcc_lo, 1, v2
                                        ; implicit-def: $vgpr2_vgpr3
	s_and_saveexec_b32 s1, vcc_lo
	s_cbranch_execz .LBB4_27
; %bb.25:
	flat_load_b64 v[2:3], v[28:29] offset:144
	s_waitcnt vmcnt(0) lgkmcnt(0)
	flat_load_b64 v[6:7], v[2:3]
	s_cbranch_execz .LBB4_26
; %bb.4079:
	s_getpc_b64 s[34:35]
.Lpost_getpc9:
	s_add_u32 s34, s34, (.LBB4_3797-.Lpost_getpc9)&4294967295
	s_addc_u32 s35, s35, (.LBB4_3797-.Lpost_getpc9)>>32
	s_setpc_b64 s[34:35]
.LBB4_26:
	s_waitcnt vmcnt(0) lgkmcnt(0)
	ds_store_b64 v0, v[6:7]
	flat_load_b64 v[6:7], v[2:3] offset:8
	v_or_b32_e32 v30, 0x2000, v30
	s_waitcnt vmcnt(0) lgkmcnt(0)
	ds_store_b64 v0, v[6:7]
	flat_load_b64 v[6:7], v[2:3] offset:16
	s_waitcnt vmcnt(0) lgkmcnt(0)
	ds_store_b64 v0, v[6:7]
.LBB4_27:
	s_or_b32 exec_lo, exec_lo, s1
	flat_load_b64 v[8:9], v[28:29] offset:104
	v_and_b32_e32 v6, 32, v30
	s_mov_b32 s1, exec_lo
                                        ; implicit-def: $vgpr32_vgpr33
	s_delay_alu instid0(VALU_DEP_1)
	v_cmpx_ne_u32_e32 0, v6
	s_cbranch_execz .LBB4_29
; %bb.28:
	flat_load_b64 v[32:33], v[28:29] offset:56
	s_waitcnt vmcnt(0) lgkmcnt(0)
	s_waitcnt_vscnt null, 0x0
	flat_store_b64 v[32:33], v[8:9]
.LBB4_29:
	s_or_b32 exec_lo, exec_lo, s1
	v_dual_mov_b32 v6, 0 :: v_dual_and_b32 v21, 4, v30
	v_mov_b32_e32 v7, 0
	s_mov_b32 s1, exec_lo
                                        ; implicit-def: $vgpr81
                                        ; implicit-def: $vgpr36_vgpr37
                                        ; implicit-def: $vgpr34_vgpr35
	s_delay_alu instid0(VALU_DEP_2)
	v_cmpx_ne_u32_e32 0, v21
	s_cbranch_execz .LBB4_34
; %bb.30:
	v_and_b32_e32 v6, 0x800, v30
	s_mov_b32 s2, exec_lo
	s_delay_alu instid0(VALU_DEP_1)
	v_cmpx_eq_u32_e32 0, v6
	s_cbranch_execz .LBB4_33
; %bb.31:
	s_cbranch_execz .LBB4_32
; %bb.4081:
	s_getpc_b64 s[34:35]
.Lpost_getpc10:
	s_add_u32 s34, s34, (.LBB4_3801-.Lpost_getpc10)&4294967295
	s_addc_u32 s35, s35, (.LBB4_3801-.Lpost_getpc10)>>32
	s_setpc_b64 s[34:35]
.LBB4_32:
	ds_store_b64 v0, v[28:29]
.LBB4_33:
	s_or_b32 exec_lo, exec_lo, s2
	flat_load_b64 v[32:33], v[28:29] offset:48
	v_or_b32_e32 v21, 0x100, v30
	s_waitcnt vmcnt(0) lgkmcnt(0)
	flat_load_b64 v[36:37], v[32:33] glc
	s_clause 0x2
	flat_load_b64 v[6:7], v[28:29] offset:96
	flat_load_b32 v81, v[28:29] offset:72
	flat_load_b64 v[34:35], v[28:29] offset:16
	s_waitcnt vmcnt(2) lgkmcnt(2)
	v_cmp_eq_u64_e32 vcc_lo, 0, v[6:7]
	v_cndmask_b32_e32 v30, v21, v30, vcc_lo
.LBB4_34:
	s_or_b32 exec_lo, exec_lo, s1
.LBB4_35:
	s_delay_alu instid0(SALU_CYCLE_1) | instskip(NEXT) | instid1(VALU_DEP_1)
	s_or_b32 exec_lo, exec_lo, s0
	v_and_b32_e32 v21, 24, v30
	s_mov_b32 s0, exec_lo
                                        ; implicit-def: $vgpr50_vgpr51
	s_delay_alu instid0(VALU_DEP_1)
	v_cmpx_ne_u32_e32 0, v21
	s_cbranch_execz .LBB4_45
; %bb.36:
	s_cbranch_execz .LBB4_37
; %bb.4083:
	s_getpc_b64 s[34:35]
.Lpost_getpc11:
	s_add_u32 s34, s34, (.LBB4_3793-.Lpost_getpc11)&4294967295
	s_addc_u32 s35, s35, (.LBB4_3793-.Lpost_getpc11)>>32
	s_setpc_b64 s[34:35]
.LBB4_37:
	ds_load_b64 v[6:7], v0
	s_waitcnt lgkmcnt(1)
	v_ashrrev_i32_e32 v21, 31, v20
	s_mov_b32 s1, exec_lo
                                        ; implicit-def: $vgpr50_vgpr51
	s_waitcnt vmcnt(0)
	s_delay_alu instid0(VALU_DEP_1) | instskip(SKIP_1) | instid1(VALU_DEP_1)
	v_lshlrev_b64 v[8:9], 3, v[20:21]
	s_waitcnt lgkmcnt(0)
	v_add_co_u32 v6, vcc_lo, v6, v8
	s_delay_alu instid0(VALU_DEP_2)
	v_add_co_ci_u32_e32 v7, vcc_lo, v7, v9, vcc_lo
	v_and_b32_e32 v8, 0xffff, v16
	v_or_b32_e32 v16, 0x100, v30
	flat_load_b64 v[6:7], v[6:7]
	s_waitcnt vmcnt(0) lgkmcnt(0)
	v_mad_u64_u32 v[28:29], null, 0xa8, v8, v[6:7]
	flat_load_b128 v[6:9], v[28:29] offset:96
	s_waitcnt vmcnt(0) lgkmcnt(0)
	v_cmp_eq_u64_e32 vcc_lo, 0, v[6:7]
	v_cndmask_b32_e32 v30, v16, v30, vcc_lo
	s_delay_alu instid0(VALU_DEP_1) | instskip(NEXT) | instid1(VALU_DEP_1)
	v_and_b32_e32 v16, 16, v30
	v_cmpx_ne_u32_e32 0, v16
; %bb.38:
	s_clause 0x2
	flat_load_b64 v[50:51], v[28:29] offset:120
	flat_load_b64 v[32:33], v[28:29] offset:48
	;; [unrolled: 1-line block ×3, first 2 shown]
; %bb.39:
	s_or_b32 exec_lo, exec_lo, s1
	v_and_b32_e32 v16, 8, v30
	s_mov_b32 s1, exec_lo
	s_delay_alu instid0(VALU_DEP_1)
	v_cmpx_ne_u32_e32 0, v16
	s_cbranch_execz .LBB4_44
; %bb.40:
	v_and_b32_e32 v16, 0x800, v30
	s_mov_b32 s2, exec_lo
	s_delay_alu instid0(VALU_DEP_1)
	v_cmpx_eq_u32_e32 0, v16
	s_cbranch_execz .LBB4_43
; %bb.41:
	s_cbranch_execz .LBB4_42
; %bb.4085:
	s_getpc_b64 s[34:35]
.Lpost_getpc12:
	s_add_u32 s34, s34, (.LBB4_3818-.Lpost_getpc12)&4294967295
	s_addc_u32 s35, s35, (.LBB4_3818-.Lpost_getpc12)>>32
	s_setpc_b64 s[34:35]
.LBB4_42:
	ds_store_b64 v0, v[28:29]
.LBB4_43:
	s_or_b32 exec_lo, exec_lo, s2
	s_waitcnt vmcnt(1) lgkmcnt(1)
	flat_load_b64 v[32:33], v[28:29] offset:56
	s_waitcnt vmcnt(0) lgkmcnt(0)
	flat_load_b64 v[36:37], v[32:33] glc
	s_clause 0x1
	flat_load_b32 v81, v[28:29] offset:72
	flat_load_b64 v[34:35], v[28:29] offset:16
.LBB4_44:
	s_or_b32 exec_lo, exec_lo, s1
.LBB4_45:
	s_delay_alu instid0(SALU_CYCLE_1) | instskip(SKIP_1) | instid1(VALU_DEP_1)
	s_or_b32 exec_lo, exec_lo, s0
	v_cmp_eq_u32_e64 s0, 0, v0
	s_and_saveexec_b32 s1, s0
	s_cbranch_execz .LBB4_48
; %bb.46:
	s_waitcnt vmcnt(2)
	ds_store_2addr_b64 v0, v[12:13], v[10:11] offset1:1
	s_cbranch_execz .LBB4_47
; %bb.4087:
	s_getpc_b64 s[34:35]
.Lpost_getpc13:
	s_add_u32 s34, s34, (.LBB4_3795-.Lpost_getpc13)&4294967295
	s_addc_u32 s35, s35, (.LBB4_3795-.Lpost_getpc13)>>32
	s_setpc_b64 s[34:35]
.LBB4_47:
	v_mov_b32_e32 v10, 0
	s_delay_alu instid0(VALU_DEP_1)
	v_mov_b32_e32 v11, v10
	ds_store_b64 v0, v[10:11]
	s_waitcnt vmcnt(1)
	ds_store_b64 v0, v[18:19]
.LBB4_48:
	s_or_b32 exec_lo, exec_lo, s1
	s_waitcnt vmcnt(2)
	v_bfe_u32 v10, v15, 1, 30
	v_dual_mov_b32 v49, 0 :: v_dual_and_b32 v48, 0x3ffffe00, v17
	s_waitcnt vmcnt(0)
	v_and_b32_e32 v80, 0xffff, v23
                                        ; implicit-def: $vgpr38_vgpr39
	s_mov_b32 s1, exec_lo
	v_cmpx_ne_u32_e64 v22, v10
	s_xor_b32 s15, exec_lo, s1
	s_cbranch_execnz .LBB4_49
; %bb.4089:
	s_getpc_b64 s[34:35]
.Lpost_getpc14:
	s_add_u32 s34, s34, (.LBB4_3572-.Lpost_getpc14)&4294967295
	s_addc_u32 s35, s35, (.LBB4_3572-.Lpost_getpc14)>>32
	s_setpc_b64 s[34:35]
.LBB4_49:
	v_cmp_ne_u64_e64 s1, 0, v[4:5]
                                        ; implicit-def: $vgpr38_vgpr39
	s_mov_b32 s2, exec_lo
	v_cmpx_ne_u32_e64 v14, v10
	s_xor_b32 s16, exec_lo, s2
	s_cbranch_execz .LBB4_1817
; %bb.50:
	v_mov_b32_e32 v38, 0
	v_mov_b32_e32 v39, 0
	s_and_saveexec_b32 s17, s1
	s_cbranch_execz .LBB4_1816
; %bb.51:
	v_cmp_ge_i32_e64 s2, v0, v1
	s_cbranch_execz .LBB4_52
; %bb.4091:
	s_getpc_b64 s[34:35]
.Lpost_getpc15:
	s_add_u32 s34, s34, (.LBB4_3816-.Lpost_getpc15)&4294967295
	s_addc_u32 s35, s35, (.LBB4_3816-.Lpost_getpc15)>>32
	s_setpc_b64 s[34:35]
.LBB4_52:
	v_ashrrev_i32_e32 v10, 31, v0
	v_lshrrev_b32_e32 v83, 5, v1
	v_and_b32_e32 v11, 31, v31
	s_ashr_i32 s5, s14, 31
	v_and_b32_e32 v99, 0xffffffe0, v1
	v_lshrrev_b32_e32 v10, 27, v10
	s_lshr_b32 s5, s5, 24
	v_cmp_eq_u32_e32 vcc_lo, 32, v1
	s_add_i32 s11, s14, s5
	v_cmp_eq_u32_e64 s5, 0, v11
	v_dual_mov_b32 v53, 0 :: v_dual_add_nc_u32 v10, v0, v10
	s_waitcnt lgkmcnt(1)
	v_ashrrev_i32_e32 v82, 31, v81
	v_cmp_ne_u32_e64 s3, 32, v1
	v_cmp_ne_u32_e64 s4, v80, v1
	v_and_b32_e32 v12, 0xffffffe0, v10
	v_ashrrev_i32_e32 v84, 5, v10
	v_lshl_add_u32 v10, v83, 10, 0xfffffc00
	v_ashrrev_i32_e32 v102, 31, v99
	s_ashr_i32 s19, s11, 8
	v_sub_nc_u32_e32 v86, v0, v12
	v_dual_mov_b32 v103, 1 :: v_dual_lshlrev_b32 v12, 10, v84
	v_ashrrev_i32_e32 v11, 31, v10
	v_add_co_u32 v96, s6, 0x400, v10
	s_delay_alu instid0(VALU_DEP_4) | instskip(NEXT) | instid1(VALU_DEP_4)
	v_cmp_lt_i32_e64 s7, v86, v54
	v_lshl_add_u32 v87, v86, 4, v12
	s_delay_alu instid0(VALU_DEP_4) | instskip(SKIP_3) | instid1(VALU_DEP_2)
	v_add_co_ci_u32_e64 v97, s6, 0, v11, s6
	v_cmp_le_i32_e64 s6, v86, v54
	v_mov_b32_e32 v54, 0
	v_mov_b32_e32 v55, 0
	v_dual_mov_b32 v38, v54 :: v_dual_lshlrev_b32 v85, 9, v83
	v_ashrrev_i32_e32 v98, 31, v87
	s_mov_b32 s18, 0
	s_delay_alu instid0(VALU_DEP_3) | instskip(NEXT) | instid1(VALU_DEP_3)
	v_mov_b32_e32 v39, v55
	v_add_nc_u32_e32 v13, 0xfffffe00, v85
	s_xor_b32 s20, vcc_lo, -1
	s_delay_alu instid0(VALU_DEP_1) | instskip(SKIP_1) | instid1(VALU_DEP_1)
	v_ashrrev_i32_e32 v10, 31, v13
	v_add_co_u32 v100, s10, 0x200, v13
	v_add_co_ci_u32_e64 v101, s10, 0, v10, s10
	v_cmp_eq_u64_e64 s10, 0, v[50:51]
.LBB4_53:                               ; =>This Loop Header: Depth=1
                                        ;     Child Loop BB4_63 Depth 2
                                        ;     Child Loop BB4_95 Depth 2
	;; [unrolled: 1-line block ×10, first 2 shown]
	v_sub_co_u32 v10, vcc_lo, v4, v54
	v_sub_co_ci_u32_e32 v11, vcc_lo, v5, v55, vcc_lo
	v_mov_b32_e32 v12, 0
	s_delay_alu instid0(VALU_DEP_2) | instskip(SKIP_2) | instid1(VALU_DEP_2)
	v_cmp_lt_u64_e32 vcc_lo, v[48:49], v[10:11]
	v_cndmask_b32_e32 v64, v10, v48, vcc_lo
	v_cndmask_b32_e64 v65, v11, 0, vcc_lo
	v_add_nc_u32_e32 v10, 15, v64
	s_delay_alu instid0(VALU_DEP_2) | instskip(NEXT) | instid1(VALU_DEP_2)
	v_cmp_eq_u64_e32 vcc_lo, 0, v[64:65]
	v_and_b32_e32 v10, 0x7ffffff0, v10
	s_or_b32 s21, s2, vcc_lo
	s_delay_alu instid0(SALU_CYCLE_1) | instskip(NEXT) | instid1(VALU_DEP_1)
	s_xor_b32 s11, s21, -1
	v_max_i32_e32 v65, s19, v10
	s_and_saveexec_b32 s22, s11
	s_cbranch_execz .LBB4_1754
; %bb.54:                               ;   in Loop: Header=BB4_53 Depth=1
	s_and_saveexec_b32 s11, s0
	s_cbranch_execz .LBB4_57
; %bb.55:                               ;   in Loop: Header=BB4_53 Depth=1
	s_cbranch_execz .LBB4_56
; %bb.4093:
	s_getpc_b64 s[34:35]
.Lpost_getpc16:
	s_add_u32 s34, s34, (.LBB4_3844-.Lpost_getpc16)&4294967295
	s_addc_u32 s35, s35, (.LBB4_3844-.Lpost_getpc16)>>32
	s_setpc_b64 s[34:35]
.LBB4_56:                               ;   in Loop: Header=BB4_53 Depth=1
	ds_load_b64 v[10:11], v0
	v_mov_b32_e32 v52, v53
	s_waitcnt lgkmcnt(0)
	v_add_co_u32 v10, vcc_lo, v10, v26
	v_add_co_ci_u32_e32 v11, vcc_lo, v11, v27, vcc_lo
	s_delay_alu instid0(VALU_DEP_2) | instskip(NEXT) | instid1(VALU_DEP_2)
	v_add_co_u32 v10, vcc_lo, v10, v54
	v_add_co_ci_u32_e32 v11, vcc_lo, v11, v55, vcc_lo
	ds_store_b64 v0, v[10:11]
	ds_store_b64 v0, v[52:53]
.LBB4_57:                               ;   in Loop: Header=BB4_53 Depth=1
	s_or_b32 exec_lo, exec_lo, s11
	v_and_b32_e32 v10, 12, v30
	s_mov_b32 s12, -1
	s_mov_b32 s11, exec_lo
	s_delay_alu instid0(VALU_DEP_1)
	v_cmpx_ne_u32_e32 0, v10
	s_cbranch_execz .LBB4_71
; %bb.58:                               ;   in Loop: Header=BB4_53 Depth=1
	v_and_b32_e32 v12, 8, v30
	s_delay_alu instid0(VALU_DEP_1) | instskip(SKIP_4) | instid1(VALU_DEP_1)
	v_add_co_u32 v13, vcc_lo, v36, v12
	v_add_co_ci_u32_e32 v14, vcc_lo, 0, v37, vcc_lo
	s_waitcnt lgkmcnt(0)
	v_add_co_u32 v10, vcc_lo, v8, 1
	v_add_co_ci_u32_e32 v11, vcc_lo, 0, v9, vcc_lo
	v_cmp_lt_u64_e32 vcc_lo, v[13:14], v[10:11]
	v_mov_b32_e32 v13, 1
	s_and_saveexec_b32 s12, vcc_lo
	s_cbranch_execz .LBB4_70
; %bb.59:                               ;   in Loop: Header=BB4_53 Depth=1
	v_mov_b32_e32 v13, 0
	s_mov_b32 s23, 0
                                        ; implicit-def: $sgpr24
	s_branch .LBB4_63
.LBB4_60:                               ;   in Loop: Header=BB4_63 Depth=2
	s_or_b32 exec_lo, exec_lo, s28
	v_mov_b32_e32 v14, 0
	s_or_not1_b32 s27, s27, exec_lo
.LBB4_61:                               ;   in Loop: Header=BB4_63 Depth=2
	s_or_b32 exec_lo, exec_lo, s26
	s_delay_alu instid0(VALU_DEP_1) | instskip(SKIP_2) | instid1(SALU_CYCLE_1)
	v_mov_b32_e32 v13, v14
	s_and_not1_b32 s24, s24, exec_lo
	s_and_b32 s26, s27, exec_lo
	s_or_b32 s24, s24, s26
.LBB4_62:                               ;   in Loop: Header=BB4_63 Depth=2
	s_or_b32 exec_lo, exec_lo, s25
	s_waitcnt vmcnt(0) lgkmcnt(0)
	v_add_co_u32 v14, vcc_lo, v36, v12
	v_add_co_ci_u32_e32 v15, vcc_lo, 0, v37, vcc_lo
	s_xor_b32 s25, s24, -1
	s_delay_alu instid0(VALU_DEP_1) | instskip(SKIP_1) | instid1(SALU_CYCLE_1)
	v_cmp_ge_u64_e32 vcc_lo, v[14:15], v[10:11]
	s_or_b32 s25, s25, vcc_lo
	s_and_b32 s25, exec_lo, s25
	s_delay_alu instid0(SALU_CYCLE_1) | instskip(NEXT) | instid1(SALU_CYCLE_1)
	s_or_b32 s23, s25, s23
	s_and_not1_b32 exec_lo, exec_lo, s23
	s_cbranch_execz .LBB4_69
.LBB4_63:                               ;   Parent Loop BB4_53 Depth=1
                                        ; =>  This Inner Loop Header: Depth=2
	s_sleep 1
	flat_load_b64 v[36:37], v[32:33] glc
	v_and_b32_e32 v14, 64, v30
	s_and_not1_b32 s24, s24, exec_lo
	s_mov_b32 s25, exec_lo
	s_delay_alu instid0(VALU_DEP_1)
	v_cmpx_eq_u32_e32 0, v14
	s_cbranch_execz .LBB4_62
; %bb.64:                               ;   in Loop: Header=BB4_63 Depth=2
	v_add_nc_u32_e32 v14, 1, v13
	s_mov_b32 s27, -1
	s_mov_b32 s26, exec_lo
	v_cmpx_lt_i32_e32 0x270e, v13
	s_cbranch_execz .LBB4_61
; %bb.65:                               ;   in Loop: Header=BB4_63 Depth=2
	s_cbranch_execz .LBB4_66
; %bb.4095:
	s_getpc_b64 s[34:35]
.Lpost_getpc17:
	s_add_u32 s34, s34, (.LBB4_3866-.Lpost_getpc17)&4294967295
	s_addc_u32 s35, s35, (.LBB4_3866-.Lpost_getpc17)>>32
	s_setpc_b64 s[34:35]
.LBB4_66:                               ;   in Loop: Header=BB4_63 Depth=2
	ds_load_b64 v[13:14], v0
	s_mov_b32 s28, exec_lo
	s_waitcnt vmcnt(0) lgkmcnt(0)
	s_waitcnt_vscnt null, 0x0
	flat_load_b32 v13, v[13:14] glc
	s_waitcnt vmcnt(0) lgkmcnt(0)
	buffer_gl1_inv
	buffer_gl0_inv
	v_cmpx_ne_u32_e32 0, v13
	s_cbranch_execz .LBB4_60
; %bb.67:                               ;   in Loop: Header=BB4_63 Depth=2
	ds_store_b32 v0, v13
	s_cbranch_execz .LBB4_68
; %bb.4097:
	s_getpc_b64 s[34:35]
.Lpost_getpc18:
	s_add_u32 s34, s34, (.LBB4_3899-.Lpost_getpc18)&4294967295
	s_addc_u32 s35, s35, (.LBB4_3899-.Lpost_getpc18)>>32
	s_setpc_b64 s[34:35]
.LBB4_68:                               ;   in Loop: Header=BB4_63 Depth=2
	v_or_b32_e32 v30, 64, v30
	s_xor_b32 s27, exec_lo, -1
	s_branch .LBB4_60
.LBB4_69:                               ;   in Loop: Header=BB4_53 Depth=1
	s_or_b32 exec_lo, exec_lo, s23
	v_and_b32_e32 v13, 12, v30
.LBB4_70:                               ;   in Loop: Header=BB4_53 Depth=1
	s_or_b32 exec_lo, exec_lo, s12
	s_delay_alu instid0(VALU_DEP_1)
	v_cmp_eq_u32_e32 vcc_lo, 0, v13
	;;#ASMSTART
	s_wakeup
	;;#ASMEND
	s_or_not1_b32 s12, vcc_lo, exec_lo
.LBB4_71:                               ;   in Loop: Header=BB4_53 Depth=1
	s_or_b32 exec_lo, exec_lo, s11
	v_min_u32_e32 v65, v65, v64
	s_xor_b32 s11, s12, -1
	s_delay_alu instid0(SALU_CYCLE_1)
	s_and_saveexec_b32 s12, s11
	s_cbranch_execz .LBB4_86
; %bb.72:                               ;   in Loop: Header=BB4_53 Depth=1
	v_and_b32_e32 v10, 0x108, v30
	s_mov_b32 s11, exec_lo
	s_delay_alu instid0(VALU_DEP_1)
	v_cmpx_ne_u32_e32 0x108, v10
	s_xor_b32 s11, exec_lo, s11
                                        ; implicit-def: $vgpr10_vgpr11
	s_cbranch_execz .LBB4_74
; %bb.73:                               ;   in Loop: Header=BB4_53 Depth=1
	s_waitcnt lgkmcnt(0)
	v_and_b32_e32 v10, 7, v8
.LBB4_74:                               ;   in Loop: Header=BB4_53 Depth=1
	s_and_not1_saveexec_b32 s11, s11
	s_cbranch_execz .LBB4_76
; %bb.75:                               ;   in Loop: Header=BB4_53 Depth=1
	s_waitcnt lgkmcnt(0)
	v_and_b32_e32 v10, 7, v8
	v_mov_b32_e32 v66, v53
	s_delay_alu instid0(VALU_DEP_2)
	v_mad_u64_u32 v[11:12], null, v10, 24, v[6:7]
	flat_store_b64 v[11:12], v[65:66] offset:8
.LBB4_76:                               ;   in Loop: Header=BB4_53 Depth=1
	s_or_b32 exec_lo, exec_lo, s11
	v_and_b32_e32 v11, 0x100, v30
	s_mov_b32 s11, -1
	s_delay_alu instid0(VALU_DEP_1)
	v_cmp_ne_u32_e32 vcc_lo, 0, v11
                                        ; implicit-def: $vgpr11_vgpr12
	s_and_saveexec_b32 s23, vcc_lo
	s_cbranch_execnz .LBB4_79
; %bb.77:                               ;   in Loop: Header=BB4_53 Depth=1
	s_or_b32 exec_lo, exec_lo, s23
	s_and_saveexec_b32 s23, s11
	s_cbranch_execnz .LBB4_82
.LBB4_78:                               ;   in Loop: Header=BB4_53 Depth=1
	s_or_b32 exec_lo, exec_lo, s23
	s_cbranch_execz .LBB4_83
; %bb.4099:
	s_getpc_b64 s[34:35]
.Lpost_getpc19:
	s_add_u32 s34, s34, (.LBB4_3860-.Lpost_getpc19)&4294967295
	s_addc_u32 s35, s35, (.LBB4_3860-.Lpost_getpc19)>>32
	s_setpc_b64 s[34:35]
.LBB4_79:                               ;   in Loop: Header=BB4_53 Depth=1
	v_mad_u64_u32 v[13:14], null, v10, 24, v[6:7]
	s_delay_alu instid0(VALU_DEP_1) | instskip(NEXT) | instid1(VALU_DEP_1)
	v_mov_b32_e32 v11, v14
	v_mad_u64_u32 v[14:15], null, v53, 24, v[11:12]
	flat_load_b32 v11, v[13:14]
	s_waitcnt vmcnt(0) lgkmcnt(0)
	v_cmp_ne_u32_e32 vcc_lo, 1, v11
	v_cmp_eq_u32_e64 s11, 1, v11
                                        ; implicit-def: $vgpr11_vgpr12
	s_delay_alu instid0(VALU_DEP_1)
	s_and_saveexec_b32 s24, s11
	s_cbranch_execz .LBB4_81
; %bb.80:                               ;   in Loop: Header=BB4_53 Depth=1
	flat_load_b32 v11, v[13:14] offset:4 glc
	s_waitcnt vmcnt(0) lgkmcnt(0)
	v_ashrrev_i32_e32 v12, 31, v11
.LBB4_81:                               ;   in Loop: Header=BB4_53 Depth=1
	s_or_b32 exec_lo, exec_lo, s24
	s_delay_alu instid0(SALU_CYCLE_1)
	s_or_not1_b32 s11, vcc_lo, exec_lo
	s_or_b32 exec_lo, exec_lo, s23
	s_and_saveexec_b32 s23, s11
	s_cbranch_execz .LBB4_78
.LBB4_82:                               ;   in Loop: Header=BB4_53 Depth=1
	v_mul_lo_u32 v13, v53, v81
	v_mul_lo_u32 v14, v10, v82
	v_mad_u64_u32 v[11:12], null, v10, v81, 0
	s_delay_alu instid0(VALU_DEP_1)
	v_add3_u32 v12, v12, v14, v13
	s_or_b32 exec_lo, exec_lo, s23
	s_cbranch_execz .LBB4_83
; %bb.4101:
	s_getpc_b64 s[34:35]
.Lpost_getpc20:
	s_add_u32 s34, s34, (.LBB4_3860-.Lpost_getpc20)&4294967295
	s_addc_u32 s35, s35, (.LBB4_3860-.Lpost_getpc20)>>32
	s_setpc_b64 s[34:35]
.LBB4_83:                               ;   in Loop: Header=BB4_53 Depth=1
	s_waitcnt lgkmcnt(0)
	s_delay_alu instid0(VALU_DEP_2)
	v_add_co_u32 v10, vcc_lo, v34, v11
	v_and_b32_e32 v13, 0x2000, v30
	v_add_co_ci_u32_e32 v11, vcc_lo, v35, v12, vcc_lo
	s_mov_b32 s11, exec_lo
	ds_store_b64 v0, v[10:11]
	v_cmpx_ne_u32_e32 0, v13
	s_cbranch_execz .LBB4_85
; %bb.84:                               ;   in Loop: Header=BB4_53 Depth=1
	ds_load_b64 v[10:11], v0 offset:584
	s_waitcnt lgkmcnt(0)
	v_add_co_u32 v10, vcc_lo, v10, 1
	v_add_co_ci_u32_e32 v11, vcc_lo, 0, v11, vcc_lo
	ds_store_b64 v0, v[10:11] offset:584
.LBB4_85:                               ;   in Loop: Header=BB4_53 Depth=1
	s_or_b32 exec_lo, exec_lo, s11
	v_add_co_u32 v8, vcc_lo, v8, 1
	v_add_co_ci_u32_e32 v9, vcc_lo, 0, v9, vcc_lo
.LBB4_86:                               ;   in Loop: Header=BB4_53 Depth=1
	s_or_b32 exec_lo, exec_lo, s12
	s_and_saveexec_b32 s11, s3
	s_cbranch_execz .LBB4_108
; %bb.87:                               ;   in Loop: Header=BB4_53 Depth=1
	s_and_saveexec_b32 s12, s4
	s_delay_alu instid0(SALU_CYCLE_1)
	s_xor_b32 s12, exec_lo, s12
	s_cbranch_execz .LBB4_105
; %bb.88:                               ;   in Loop: Header=BB4_53 Depth=1
	s_and_saveexec_b32 s23, s5
	s_cbranch_execz .LBB4_104
; %bb.89:                               ;   in Loop: Header=BB4_53 Depth=1
	s_mov_b32 s25, exec_lo
	s_mov_b32 s24, exec_lo
	v_mbcnt_lo_u32_b32 v10, s25, 0
	s_waitcnt lgkmcnt(0)
	s_waitcnt_vscnt null, 0x0
	buffer_gl1_inv
	buffer_gl0_inv
	v_cmpx_eq_u32_e32 0, v10
	s_cbranch_execz .LBB4_91
; %bb.90:                               ;   in Loop: Header=BB4_53 Depth=1
	s_bcnt1_i32_b32 s25, s25
	s_delay_alu instid0(SALU_CYCLE_1)
	v_mov_b32_e32 v52, s25
	ds_add_u64 v0, v[52:53]
	s_cbranch_execz .LBB4_91
; %bb.4103:
	s_getpc_b64 s[34:35]
.Lpost_getpc21:
	s_add_u32 s34, s34, (.LBB4_3925-.Lpost_getpc21)&4294967295
	s_addc_u32 s35, s35, (.LBB4_3925-.Lpost_getpc21)>>32
	s_setpc_b64 s[34:35]
.LBB4_91:                               ;   in Loop: Header=BB4_53 Depth=1
	s_or_b32 exec_lo, exec_lo, s24
	s_cbranch_execz .LBB4_92
; %bb.4105:
	s_getpc_b64 s[34:35]
.Lpost_getpc22:
	s_add_u32 s34, s34, (.LBB4_3913-.Lpost_getpc22)&4294967295
	s_addc_u32 s35, s35, (.LBB4_3913-.Lpost_getpc22)>>32
	s_setpc_b64 s[34:35]
.LBB4_92:                               ;   in Loop: Header=BB4_53 Depth=1
	ds_load_b64 v[10:11], v0
	v_add_co_u32 v38, vcc_lo, v38, v83
	v_add_co_ci_u32_e32 v39, vcc_lo, 0, v39, vcc_lo
	s_mov_b32 s24, exec_lo
	s_waitcnt lgkmcnt(0)
	s_delay_alu instid0(VALU_DEP_1)
	v_cmpx_lt_u64_e64 v[10:11], v[38:39]
	s_cbranch_execz .LBB4_103
; %bb.93:                               ;   in Loop: Header=BB4_53 Depth=1
	s_mov_b32 s25, 0
	s_mov_b32 s28, 0
                                        ; implicit-def: $sgpr26
                                        ; implicit-def: $sgpr27
	s_branch .LBB4_95
.LBB4_94:                               ;   in Loop: Header=BB4_95 Depth=2
	s_or_b32 exec_lo, exec_lo, vcc_hi
	s_delay_alu instid0(SALU_CYCLE_1) | instskip(NEXT) | instid1(SALU_CYCLE_1)
	s_and_b32 s29, exec_lo, vcc_lo
	s_or_b32 s25, s29, s25
	s_and_not1_b32 s26, s26, exec_lo
	s_and_b32 s29, s27, exec_lo
	s_delay_alu instid0(SALU_CYCLE_1)
	s_or_b32 s26, s26, s29
	s_and_not1_b32 exec_lo, exec_lo, s25
	s_cbranch_execz .LBB4_101
.LBB4_95:                               ;   Parent Loop BB4_53 Depth=1
                                        ; =>  This Inner Loop Header: Depth=2
	s_add_i32 s28, s28, 1
                                        ; implicit-def: $vcc_hi
	s_delay_alu instid0(SALU_CYCLE_1) | instskip(SKIP_1) | instid1(SALU_CYCLE_1)
	s_cmpk_lg_i32 s28, 0x2710
	s_cselect_b32 s29, -1, 0
	s_and_b32 vcc_lo, exec_lo, s29
	s_cbranch_vccz .LBB4_99
.LBB4_96:                               ;   in Loop: Header=BB4_95 Depth=2
	s_and_not1_b32 s27, s27, exec_lo
	s_and_b32 vcc_hi, vcc_hi, exec_lo
	s_mov_b32 vcc_lo, -1
	s_or_b32 s27, s27, vcc_hi
	s_and_saveexec_b32 vcc_hi, s29
	s_cbranch_execz .LBB4_94
; %bb.97:                               ;   in Loop: Header=BB4_95 Depth=2
	s_sleep 1
	s_cbranch_execz .LBB4_98
; %bb.4107:
	s_getpc_b64 s[34:35]
.Lpost_getpc23:
	s_add_u32 s34, s34, (.LBB4_3957-.Lpost_getpc23)&4294967295
	s_addc_u32 s35, s35, (.LBB4_3957-.Lpost_getpc23)>>32
	s_setpc_b64 s[34:35]
.LBB4_98:                               ;   in Loop: Header=BB4_95 Depth=2
	ds_load_b64 v[10:11], v0
	s_and_not1_b32 s27, s27, exec_lo
	s_waitcnt lgkmcnt(0)
	v_cmp_ge_u64_e32 vcc_lo, v[10:11], v[38:39]
	s_or_not1_b32 vcc_lo, vcc_lo, exec_lo
	s_branch .LBB4_94
.LBB4_99:                               ;   in Loop: Header=BB4_95 Depth=2
	s_cbranch_execz .LBB4_100
; %bb.4109:
	s_getpc_b64 s[34:35]
.Lpost_getpc24:
	s_add_u32 s34, s34, (.LBB4_3971-.Lpost_getpc24)&4294967295
	s_addc_u32 s35, s35, (.LBB4_3971-.Lpost_getpc24)>>32
	s_setpc_b64 s[34:35]
.LBB4_100:                              ;   in Loop: Header=BB4_95 Depth=2
	ds_load_b64 v[10:11], v0
	s_and_not1_b32 s29, s29, exec_lo
	s_mov_b32 s28, 0
	s_waitcnt lgkmcnt(0)
	flat_load_b32 v10, v[10:11] glc
	s_waitcnt vmcnt(0) lgkmcnt(0)
	buffer_gl1_inv
	buffer_gl0_inv
	v_cmp_eq_u32_e32 vcc_lo, 0, v10
	s_mov_b32 vcc_hi, -1
	s_and_b32 vcc_lo, vcc_lo, exec_lo
	s_delay_alu instid0(SALU_CYCLE_1)
	s_or_b32 s29, s29, vcc_lo
	s_branch .LBB4_96
.LBB4_101:                              ;   in Loop: Header=BB4_53 Depth=1
	s_or_b32 exec_lo, exec_lo, s25
	s_and_saveexec_b32 s25, s26
	s_delay_alu instid0(SALU_CYCLE_1)
	s_xor_b32 s25, exec_lo, s25
	s_cbranch_execz .LBB4_103
; %bb.102:                              ;   in Loop: Header=BB4_53 Depth=1
	ds_store_b32 v0, v103
	s_cbranch_execz .LBB4_103
; %bb.4111:
	s_getpc_b64 s[34:35]
.Lpost_getpc25:
	s_add_u32 s34, s34, (.LBB4_4043-.Lpost_getpc25)&4294967295
	s_addc_u32 s35, s35, (.LBB4_4043-.Lpost_getpc25)>>32
	s_setpc_b64 s[34:35]
.LBB4_103:                              ;   in Loop: Header=BB4_53 Depth=1
	s_or_b32 exec_lo, exec_lo, s24
	;;#ASMSTART
	s_wakeup
	;;#ASMEND
.LBB4_104:                              ;   in Loop: Header=BB4_53 Depth=1
	s_or_b32 exec_lo, exec_lo, s23
.LBB4_105:                              ;   in Loop: Header=BB4_53 Depth=1
	s_and_not1_saveexec_b32 s12, s12
	s_cbranch_execz .LBB4_107
; %bb.106:                              ;   in Loop: Header=BB4_53 Depth=1
	s_waitcnt lgkmcnt(0)
	s_waitcnt_vscnt null, 0x0
	buffer_gl1_inv
	buffer_gl0_inv
	s_barrier
.LBB4_107:                              ;   in Loop: Header=BB4_53 Depth=1
	s_or_b32 exec_lo, exec_lo, s12
.LBB4_108:                              ;   in Loop: Header=BB4_53 Depth=1
	s_delay_alu instid0(SALU_CYCLE_1)
	s_or_b32 exec_lo, exec_lo, s11
	s_cbranch_execz .LBB4_109
; %bb.4113:
	s_getpc_b64 s[34:35]
.Lpost_getpc26:
	s_add_u32 s34, s34, (.LBB4_3850-.Lpost_getpc26)&4294967295
	s_addc_u32 s35, s35, (.LBB4_3850-.Lpost_getpc26)>>32
	s_setpc_b64 s[34:35]
.LBB4_109:                              ;   in Loop: Header=BB4_53 Depth=1
	ds_load_b32 v10, v0
	v_and_b32_e32 v11, 0x4000, v30
	s_delay_alu instid0(VALU_DEP_1) | instskip(SKIP_1) | instid1(SALU_CYCLE_1)
	v_cmp_ne_u32_e32 vcc_lo, 0, v11
	s_and_b32 s12, s20, vcc_lo
	s_and_saveexec_b32 s11, s12
	s_cbranch_execz .LBB4_131
; %bb.110:                              ;   in Loop: Header=BB4_53 Depth=1
	s_and_saveexec_b32 s12, s4
	s_delay_alu instid0(SALU_CYCLE_1)
	s_xor_b32 s12, exec_lo, s12
	s_cbranch_execz .LBB4_128
; %bb.111:                              ;   in Loop: Header=BB4_53 Depth=1
	s_and_saveexec_b32 s23, s5
	s_cbranch_execz .LBB4_127
; %bb.112:                              ;   in Loop: Header=BB4_53 Depth=1
	s_mov_b32 s25, exec_lo
	s_mov_b32 s24, exec_lo
	v_mbcnt_lo_u32_b32 v11, s25, 0
	s_waitcnt lgkmcnt(0)
	s_waitcnt_vscnt null, 0x0
	buffer_gl1_inv
	buffer_gl0_inv
	v_cmpx_eq_u32_e32 0, v11
	s_cbranch_execz .LBB4_114
; %bb.113:                              ;   in Loop: Header=BB4_53 Depth=1
	s_bcnt1_i32_b32 s25, s25
	s_delay_alu instid0(SALU_CYCLE_1)
	v_mov_b32_e32 v52, s25
	ds_add_u64 v0, v[52:53]
	s_cbranch_execz .LBB4_114
; %bb.4115:
	s_getpc_b64 s[34:35]
.Lpost_getpc27:
	s_add_u32 s34, s34, (.LBB4_3953-.Lpost_getpc27)&4294967295
	s_addc_u32 s35, s35, (.LBB4_3953-.Lpost_getpc27)>>32
	s_setpc_b64 s[34:35]
.LBB4_114:                              ;   in Loop: Header=BB4_53 Depth=1
	s_or_b32 exec_lo, exec_lo, s24
	s_cbranch_execz .LBB4_115
; %bb.4117:
	s_getpc_b64 s[34:35]
.Lpost_getpc28:
	s_add_u32 s34, s34, (.LBB4_3941-.Lpost_getpc28)&4294967295
	s_addc_u32 s35, s35, (.LBB4_3941-.Lpost_getpc28)>>32
	s_setpc_b64 s[34:35]
.LBB4_115:                              ;   in Loop: Header=BB4_53 Depth=1
	ds_load_b64 v[11:12], v0
	v_add_co_u32 v38, vcc_lo, v38, v83
	v_add_co_ci_u32_e32 v39, vcc_lo, 0, v39, vcc_lo
	s_mov_b32 s24, exec_lo
	s_waitcnt lgkmcnt(0)
	s_delay_alu instid0(VALU_DEP_1)
	v_cmpx_lt_u64_e64 v[11:12], v[38:39]
	s_cbranch_execz .LBB4_126
; %bb.116:                              ;   in Loop: Header=BB4_53 Depth=1
	s_mov_b32 s25, 0
	s_mov_b32 s28, 0
                                        ; implicit-def: $sgpr26
                                        ; implicit-def: $sgpr27
	s_branch .LBB4_118
.LBB4_117:                              ;   in Loop: Header=BB4_118 Depth=2
	s_or_b32 exec_lo, exec_lo, vcc_hi
	s_delay_alu instid0(SALU_CYCLE_1) | instskip(NEXT) | instid1(SALU_CYCLE_1)
	s_and_b32 s29, exec_lo, vcc_lo
	s_or_b32 s25, s29, s25
	s_and_not1_b32 s26, s26, exec_lo
	s_and_b32 s29, s27, exec_lo
	s_delay_alu instid0(SALU_CYCLE_1)
	s_or_b32 s26, s26, s29
	s_and_not1_b32 exec_lo, exec_lo, s25
	s_cbranch_execz .LBB4_124
.LBB4_118:                              ;   Parent Loop BB4_53 Depth=1
                                        ; =>  This Inner Loop Header: Depth=2
	s_add_i32 s28, s28, 1
                                        ; implicit-def: $vcc_hi
	s_delay_alu instid0(SALU_CYCLE_1) | instskip(SKIP_1) | instid1(SALU_CYCLE_1)
	s_cmpk_lg_i32 s28, 0x2710
	s_cselect_b32 s29, -1, 0
	s_and_b32 vcc_lo, exec_lo, s29
	s_cbranch_vccz .LBB4_122
.LBB4_119:                              ;   in Loop: Header=BB4_118 Depth=2
	s_and_not1_b32 s27, s27, exec_lo
	s_and_b32 vcc_hi, vcc_hi, exec_lo
	s_mov_b32 vcc_lo, -1
	s_or_b32 s27, s27, vcc_hi
	s_and_saveexec_b32 vcc_hi, s29
	s_cbranch_execz .LBB4_117
; %bb.120:                              ;   in Loop: Header=BB4_118 Depth=2
	s_sleep 1
	s_cbranch_execz .LBB4_121
; %bb.4119:
	s_getpc_b64 s[34:35]
.Lpost_getpc29:
	s_add_u32 s34, s34, (.LBB4_4007-.Lpost_getpc29)&4294967295
	s_addc_u32 s35, s35, (.LBB4_4007-.Lpost_getpc29)>>32
	s_setpc_b64 s[34:35]
.LBB4_121:                              ;   in Loop: Header=BB4_118 Depth=2
	ds_load_b64 v[11:12], v0
	s_and_not1_b32 s27, s27, exec_lo
	s_waitcnt lgkmcnt(0)
	v_cmp_ge_u64_e32 vcc_lo, v[11:12], v[38:39]
	s_or_not1_b32 vcc_lo, vcc_lo, exec_lo
	s_branch .LBB4_117
.LBB4_122:                              ;   in Loop: Header=BB4_118 Depth=2
	s_cbranch_execz .LBB4_123
; %bb.4121:
	s_getpc_b64 s[34:35]
.Lpost_getpc30:
	s_add_u32 s34, s34, (.LBB4_4015-.Lpost_getpc30)&4294967295
	s_addc_u32 s35, s35, (.LBB4_4015-.Lpost_getpc30)>>32
	s_setpc_b64 s[34:35]
.LBB4_123:                              ;   in Loop: Header=BB4_118 Depth=2
	ds_load_b64 v[11:12], v0
	s_and_not1_b32 s29, s29, exec_lo
	s_mov_b32 s28, 0
	s_waitcnt lgkmcnt(0)
	flat_load_b32 v11, v[11:12] glc
	s_waitcnt vmcnt(0) lgkmcnt(0)
	buffer_gl1_inv
	buffer_gl0_inv
	v_cmp_eq_u32_e32 vcc_lo, 0, v11
	s_mov_b32 vcc_hi, -1
	s_and_b32 vcc_lo, vcc_lo, exec_lo
	s_delay_alu instid0(SALU_CYCLE_1)
	s_or_b32 s29, s29, vcc_lo
	s_branch .LBB4_119
.LBB4_124:                              ;   in Loop: Header=BB4_53 Depth=1
	s_or_b32 exec_lo, exec_lo, s25
	s_and_saveexec_b32 s25, s26
	s_delay_alu instid0(SALU_CYCLE_1)
	s_xor_b32 s25, exec_lo, s25
	s_cbranch_execz .LBB4_126
; %bb.125:                              ;   in Loop: Header=BB4_53 Depth=1
	ds_store_b32 v0, v103
	s_cbranch_execz .LBB4_126
; %bb.4123:
	s_getpc_b64 s[34:35]
.Lpost_getpc31:
	s_add_u32 s34, s34, (.LBB4_4053-.Lpost_getpc31)&4294967295
	s_addc_u32 s35, s35, (.LBB4_4053-.Lpost_getpc31)>>32
	s_setpc_b64 s[34:35]
.LBB4_126:                              ;   in Loop: Header=BB4_53 Depth=1
	s_or_b32 exec_lo, exec_lo, s24
	;;#ASMSTART
	s_wakeup
	;;#ASMEND
.LBB4_127:                              ;   in Loop: Header=BB4_53 Depth=1
	s_or_b32 exec_lo, exec_lo, s23
.LBB4_128:                              ;   in Loop: Header=BB4_53 Depth=1
	s_and_not1_saveexec_b32 s12, s12
	s_cbranch_execz .LBB4_130
; %bb.129:                              ;   in Loop: Header=BB4_53 Depth=1
	s_waitcnt lgkmcnt(0)
	s_waitcnt_vscnt null, 0x0
	buffer_gl1_inv
	buffer_gl0_inv
	s_barrier
.LBB4_130:                              ;   in Loop: Header=BB4_53 Depth=1
	s_or_b32 exec_lo, exec_lo, s12
.LBB4_131:                              ;   in Loop: Header=BB4_53 Depth=1
	s_delay_alu instid0(SALU_CYCLE_1)
	s_or_b32 exec_lo, exec_lo, s11
	s_cbranch_execz .LBB4_132
; %bb.4125:
	s_getpc_b64 s[34:35]
.Lpost_getpc32:
	s_add_u32 s34, s34, (.LBB4_3885-.Lpost_getpc32)&4294967295
	s_addc_u32 s35, s35, (.LBB4_3885-.Lpost_getpc32)>>32
	s_setpc_b64 s[34:35]
.LBB4_132:                              ;   in Loop: Header=BB4_53 Depth=1
	ds_load_b64 v[11:12], v0
	s_waitcnt lgkmcnt(0)
	v_cmp_eq_u64_e32 vcc_lo, 0, v[11:12]
	s_or_b32 s11, vcc_lo, vcc_lo
	s_delay_alu instid0(SALU_CYCLE_1)
	s_and_b32 vcc_lo, exec_lo, s11
	s_mov_b32 s11, 0
	s_cbranch_vccnz .LBB4_1725
; %bb.133:                              ;   in Loop: Header=BB4_53 Depth=1
	s_mov_b32 s11, -1
	s_and_saveexec_b32 s12, s6
	s_cbranch_execz .LBB4_135
; %bb.134:                              ;   in Loop: Header=BB4_53 Depth=1
	ds_load_b32 v11, v0 offset:720
	s_waitcnt lgkmcnt(0)
	v_and_b32_e32 v11, 15, v11
	s_delay_alu instid0(VALU_DEP_1)
	v_cmp_eq_u32_e32 vcc_lo, 0, v11
	s_or_not1_b32 s11, vcc_lo, exec_lo
.LBB4_135:                              ;   in Loop: Header=BB4_53 Depth=1
	s_or_b32 exec_lo, exec_lo, s12
	s_and_saveexec_b32 s12, s7
	s_cbranch_execz .LBB4_137
; %bb.136:                              ;   in Loop: Header=BB4_53 Depth=1
	ds_load_b32 v11, v0 offset:784
	s_waitcnt lgkmcnt(0)
	v_and_b32_e32 v11, 15, v11
	s_delay_alu instid0(VALU_DEP_1) | instskip(SKIP_3) | instid1(SALU_CYCLE_1)
	v_cmp_eq_u32_e32 vcc_lo, 0, v11
	s_and_b32 s23, s11, vcc_lo
	s_and_not1_b32 s11, s11, exec_lo
	s_and_b32 s23, s23, exec_lo
	s_or_b32 s11, s11, s23
.LBB4_137:                              ;   in Loop: Header=BB4_53 Depth=1
	s_or_b32 exec_lo, exec_lo, s12
	v_cmp_eq_u32_e32 vcc_lo, 0, v10
	s_xor_b32 s11, s11, -1
	v_mov_b32_e32 v18, v0
	v_cndmask_b32_e64 v11, 0, 1, s11
	;;#ASMSTART
	;;#ASMEND
	v_cndmask_b32_e32 v52, 0, v65, vcc_lo
	s_delay_alu instid0(VALU_DEP_2)
	v_cmp_ne_u32_e32 vcc_lo, 0, v11
	v_mov_b32_e32 v16, 0
	v_mov_b32_e32 v10, v84
	s_mov_b32 s11, -1
	v_mov_b32_e32 v17, v52
	s_cbranch_vccnz .LBB4_1305
; %bb.138:                              ;   in Loop: Header=BB4_53 Depth=1
	v_lshrrev_b32_e32 v10, 10, v52
	s_mov_b32 s12, exec_lo
	s_delay_alu instid0(VALU_DEP_1) | instskip(NEXT) | instid1(VALU_DEP_1)
	v_sub_nc_u32_e32 v112, v10, v84
	v_cmpx_lt_i32_e32 0, v112
	s_cbranch_execz .LBB4_911
; %bb.139:                              ;   in Loop: Header=BB4_53 Depth=1
	s_cbranch_execz .LBB4_140
; %bb.4127:
	s_getpc_b64 s[34:35]
.Lpost_getpc33:
	s_add_u32 s34, s34, (.LBB4_3975-.Lpost_getpc33)&4294967295
	s_addc_u32 s35, s35, (.LBB4_3975-.Lpost_getpc33)>>32
	s_setpc_b64 s[34:35]
.LBB4_140:                              ;   in Loop: Header=BB4_53 Depth=1
	ds_load_b128 v[10:13], v0
	ds_load_b64 v[14:15], v0
	s_mov_b32 s23, 0
	s_waitcnt lgkmcnt(1)
	v_add_co_u32 v66, vcc_lo, v10, v87
	v_add_co_ci_u32_e32 v67, vcc_lo, v11, v98, vcc_lo
	v_add_co_u32 v68, vcc_lo, v12, v87
	v_add_co_ci_u32_e32 v69, vcc_lo, v13, v98, vcc_lo
	s_waitcnt lgkmcnt(0)
	v_add_co_u32 v70, vcc_lo, v14, v87
	v_add_co_ci_u32_e32 v71, vcc_lo, v15, v98, vcc_lo
	s_branch .LBB4_144
.LBB4_141:                              ;   in Loop: Header=BB4_144 Depth=2
	s_or_b32 exec_lo, exec_lo, s11
	s_delay_alu instid0(VALU_DEP_1) | instskip(NEXT) | instid1(VALU_DEP_2)
	v_lshrrev_b32_e32 v146, 21, v146
	v_cmp_gt_i32_e32 vcc_lo, 32, v17
	v_min_i32_e32 v147, 31, v17
	v_lshrrev_b32_e32 v13, 24, v13
	s_delay_alu instid0(VALU_DEP_2) | instskip(NEXT) | instid1(VALU_DEP_2)
	v_dual_cndmask_b32 v146, 3, v146 :: v_dual_lshlrev_b32 v147, 2, v147
	v_and_b32_e32 v13, 0x80, v13
	s_delay_alu instid0(VALU_DEP_2) | instskip(NEXT) | instid1(VALU_DEP_3)
	v_or_b32_e32 v17, v17, v146
	v_and_b32_e32 v147, 0xfc, v147
	s_delay_alu instid0(VALU_DEP_2) | instskip(SKIP_1) | instid1(VALU_DEP_1)
	v_cmp_ne_u32_e32 vcc_lo, 0, v17
	v_and_b32_e32 v148, 3, v146
	v_or3_b32 v13, v13, v147, v148
	s_delay_alu instid0(VALU_DEP_1) | instskip(NEXT) | instid1(VALU_DEP_1)
	v_lshlrev_b32_e32 v13, 8, v13
	v_cndmask_b32_e32 v17, 0, v13, vcc_lo
.LBB4_142:                              ;   in Loop: Header=BB4_144 Depth=2
	s_or_b32 exec_lo, exec_lo, s25
.LBB4_143:                              ;   in Loop: Header=BB4_144 Depth=2
	s_delay_alu instid0(SALU_CYCLE_1)
	s_or_b32 exec_lo, exec_lo, s24
	v_or_b32_e32 v13, v19, v117
	v_and_b32_e32 v19, 0xff, v22
	v_and_b32_e32 v22, 0xff, v115
	v_lshlrev_b32_e32 v114, 8, v114
	v_and_b32_e32 v115, 0xff, v119
	v_lshlrev_b32_e32 v117, 8, v118
	v_lshlrev_b32_e32 v13, 16, v13
	;; [unrolled: 1-line block ×4, first 2 shown]
	v_perm_b32 v113, v114, v113, 0xc0c0500
	v_lshlrev_b32_e32 v20, 24, v20
	v_lshlrev_b32_e32 v114, 16, v115
	v_perm_b32 v23, v117, v23, 0xc0c0500
	v_or3_b32 v19, v116, v19, v13
	v_or_b32_e32 v13, v21, v129
	v_or3_b32 v18, v18, v22, v113
	v_or_b32_e32 v11, v11, v133
	v_or3_b32 v20, v20, v114, v23
	v_and_b32_e32 v21, 0xff, v24
	v_and_b32_e32 v22, 0xff, v131
	v_lshlrev_b32_e32 v23, 8, v130
	v_and_b32_e32 v24, 0xff, v135
	v_lshlrev_b32_e32 v113, 8, v134
	v_or_b32_e32 v17, v17, v145
	v_lshlrev_b32_e32 v13, 16, v13
	v_and_b32_e32 v14, 0xff, v14
	v_lshlrev_b32_e32 v11, 16, v11
	v_lshlrev_b32_e32 v10, 24, v10
	;; [unrolled: 1-line block ×3, first 2 shown]
	v_perm_b32 v23, v23, v25, 0xc0c0500
	v_lshlrev_b32_e32 v12, 24, v12
	v_lshlrev_b32_e32 v24, 16, v24
	v_perm_b32 v15, v113, v15, 0xc0c0500
	v_and_b32_e32 v16, 0xff, v16
	v_lshlrev_b32_e32 v17, 16, v17
	v_add_co_u32 v66, vcc_lo, v66, v96
	v_or3_b32 v21, v128, v21, v13
	v_sub_nc_u32_e32 v112, v112, v83
	v_or3_b32 v11, v132, v14, v11
	v_or3_b32 v10, v10, v22, v23
	;; [unrolled: 1-line block ×4, first 2 shown]
	v_add_co_ci_u32_e32 v67, vcc_lo, v67, v97, vcc_lo
	v_add_co_u32 v68, vcc_lo, v68, v96
	v_add_co_ci_u32_e32 v69, vcc_lo, v69, v97, vcc_lo
	s_clause 0x1
	global_store_b128 v[70:71], v[18:21], off glc slc dlc
	global_store_b128 v[70:71], v[10:13], off offset:512 glc slc dlc
	v_cmp_gt_i32_e32 vcc_lo, 1, v112
	v_add_co_u32 v70, s11, v70, v96
	s_delay_alu instid0(VALU_DEP_1) | instskip(SKIP_1) | instid1(SALU_CYCLE_1)
	v_add_co_ci_u32_e64 v71, s11, v71, v97, s11
	s_or_b32 s23, vcc_lo, s23
	s_and_not1_b32 exec_lo, exec_lo, s23
	s_cbranch_execz .LBB4_910
.LBB4_144:                              ;   Parent Loop BB4_53 Depth=1
                                        ; =>  This Inner Loop Header: Depth=2
	s_clause 0x1
	global_load_b128 v[22:25], v[66:67], off slc dlc
	global_load_b128 v[14:17], v[66:67], off offset:512 slc dlc
	s_clause 0x1
	global_load_b128 v[18:21], v[68:69], off slc dlc
	global_load_b128 v[10:13], v[68:69], off offset:512 slc dlc
	s_mov_b32 s11, 0
	s_mov_b32 s25, exec_lo
                                        ; implicit-def: $sgpr24
	s_waitcnt vmcnt(3)
	v_and_b32_e32 v114, 0xff, v22
	s_delay_alu instid0(VALU_DEP_1)
	v_cmpx_lt_i16_e32 0x7f, v114
	s_xor_b32 s25, exec_lo, s25
	s_cbranch_execnz .LBB4_654
; %bb.145:                              ;   in Loop: Header=BB4_144 Depth=2
	s_or_saveexec_b32 s25, s25
	v_mov_b32_e32 v113, s24
	s_xor_b32 exec_lo, exec_lo, s25
	s_cbranch_execnz .LBB4_657
.LBB4_146:                              ;   in Loop: Header=BB4_144 Depth=2
	s_or_b32 exec_lo, exec_lo, s25
	s_and_saveexec_b32 s24, s11
	s_cbranch_execz .LBB4_148
.LBB4_147:                              ;   in Loop: Header=BB4_144 Depth=2
	v_and_b32_e32 v113, 3, v22
	v_bfe_u32 v116, v22, 2, 5
	v_lshlrev_b32_e32 v117, 24, v22
	s_delay_alu instid0(VALU_DEP_3) | instskip(NEXT) | instid1(VALU_DEP_3)
	v_clz_i32_u32_e32 v114, v113
	v_cmp_eq_u32_e32 vcc_lo, 0, v116
	s_delay_alu instid0(VALU_DEP_2) | instskip(NEXT) | instid1(VALU_DEP_1)
	v_min_u32_e32 v114, 32, v114
	v_subrev_nc_u32_e32 v115, 29, v114
	v_sub_nc_u32_e32 v114, 30, v114
	s_delay_alu instid0(VALU_DEP_2) | instskip(NEXT) | instid1(VALU_DEP_1)
	v_lshlrev_b32_e32 v115, v115, v22
	v_dual_cndmask_b32 v114, v116, v114 :: v_dual_and_b32 v115, 3, v115
	s_delay_alu instid0(VALU_DEP_1) | instskip(NEXT) | instid1(VALU_DEP_2)
	v_lshl_add_u32 v114, v114, 23, 0x37800000
	v_cndmask_b32_e32 v113, v113, v115, vcc_lo
	v_and_b32_e32 v115, 0x80000000, v117
	s_delay_alu instid0(VALU_DEP_2) | instskip(NEXT) | instid1(VALU_DEP_1)
	v_lshlrev_b32_e32 v113, 21, v113
	v_or3_b32 v113, v115, v114, v113
.LBB4_148:                              ;   in Loop: Header=BB4_144 Depth=2
	s_or_b32 exec_lo, exec_lo, s24
	s_waitcnt vmcnt(1)
	v_and_b32_e32 v115, 0xff, v18
	s_mov_b32 s11, 0
	s_mov_b32 s25, exec_lo
                                        ; implicit-def: $sgpr24
	s_delay_alu instid0(VALU_DEP_1)
	v_cmpx_lt_i16_e32 0x7f, v115
	s_xor_b32 s25, exec_lo, s25
	s_cbranch_execnz .LBB4_658
; %bb.149:                              ;   in Loop: Header=BB4_144 Depth=2
	s_or_saveexec_b32 s25, s25
	v_mov_b32_e32 v114, s24
	s_xor_b32 exec_lo, exec_lo, s25
	s_cbranch_execnz .LBB4_661
.LBB4_150:                              ;   in Loop: Header=BB4_144 Depth=2
	s_or_b32 exec_lo, exec_lo, s25
	s_and_saveexec_b32 s24, s11
	s_cbranch_execz .LBB4_152
.LBB4_151:                              ;   in Loop: Header=BB4_144 Depth=2
	v_bfe_u32 v117, v18, 2, 5
	v_lshlrev_b32_e32 v118, 24, v18
	s_delay_alu instid0(VALU_DEP_2) | instskip(SKIP_1) | instid1(VALU_DEP_1)
	v_cmp_eq_u32_e32 vcc_lo, 0, v117
	v_and_b32_e32 v114, 3, v18
	v_clz_i32_u32_e32 v115, v114
	s_delay_alu instid0(VALU_DEP_1) | instskip(NEXT) | instid1(VALU_DEP_1)
	v_min_u32_e32 v115, 32, v115
	v_subrev_nc_u32_e32 v116, 29, v115
	v_sub_nc_u32_e32 v115, 30, v115
	s_delay_alu instid0(VALU_DEP_1) | instskip(NEXT) | instid1(VALU_DEP_1)
	v_dual_cndmask_b32 v115, v117, v115 :: v_dual_lshlrev_b32 v116, v116, v18
	v_and_b32_e32 v116, 3, v116
	s_delay_alu instid0(VALU_DEP_2) | instskip(NEXT) | instid1(VALU_DEP_2)
	v_lshl_add_u32 v115, v115, 23, 0x37800000
	v_cndmask_b32_e32 v114, v114, v116, vcc_lo
	v_and_b32_e32 v116, 0x80000000, v118
	s_delay_alu instid0(VALU_DEP_2) | instskip(NEXT) | instid1(VALU_DEP_1)
	v_lshlrev_b32_e32 v114, 21, v114
	v_or3_b32 v114, v116, v115, v114
.LBB4_152:                              ;   in Loop: Header=BB4_144 Depth=2
	s_or_b32 exec_lo, exec_lo, s24
	s_delay_alu instid0(VALU_DEP_1) | instskip(NEXT) | instid1(VALU_DEP_1)
	v_mul_f32_e32 v114, v113, v114
	v_and_b32_e32 v113, 0x7f800000, v114
	s_delay_alu instid0(VALU_DEP_1)
	v_cmp_ne_u32_e32 vcc_lo, 0x7f800000, v113
	v_mov_b32_e32 v113, 0x80
	s_and_saveexec_b32 s24, vcc_lo
	s_cbranch_execz .LBB4_160
; %bb.153:                              ;   in Loop: Header=BB4_144 Depth=2
	v_mov_b32_e32 v113, 0
	s_mov_b32 s25, exec_lo
	v_cmpx_ne_u32_e32 0, v114
	s_cbranch_execz .LBB4_159
; %bb.154:                              ;   in Loop: Header=BB4_144 Depth=2
	v_bfe_u32 v113, v114, 23, 8
	s_delay_alu instid0(VALU_DEP_1) | instskip(SKIP_1) | instid1(VALU_DEP_2)
	v_sub_nc_u32_e32 v116, 0x70, v113
	v_cmp_gt_u32_e32 vcc_lo, 0x71, v113
	v_dual_cndmask_b32 v116, 0, v116 :: v_dual_and_b32 v115, 0x7fffff, v114
	s_delay_alu instid0(VALU_DEP_1) | instskip(SKIP_2) | instid1(VALU_DEP_4)
	v_or_b32_e32 v117, 0x800000, v115
	v_cmp_eq_u32_e32 vcc_lo, 0, v113
	v_add_nc_u32_e32 v113, 0xffffff91, v113
	v_cndmask_b32_e64 v116, v116, 0x6f, vcc_lo
	s_delay_alu instid0(VALU_DEP_2) | instskip(SKIP_1) | instid1(VALU_DEP_3)
	v_cndmask_b32_e64 v113, v113, 0xffffff92, vcc_lo
	v_cndmask_b32_e32 v115, v117, v115, vcc_lo
	v_lshl_add_u32 v117, 0x200000, v116, -1
	v_lshlrev_b32_e64 v128, v116, 0x100000
	s_delay_alu instid0(VALU_DEP_3) | instskip(SKIP_1) | instid1(VALU_DEP_4)
	v_lshrrev_b32_e32 v118, v116, v115
	v_add_nc_u32_e32 v116, v116, v113
	v_and_b32_e32 v115, v117, v115
	s_delay_alu instid0(VALU_DEP_3) | instskip(NEXT) | instid1(VALU_DEP_2)
	v_bfe_u32 v119, v118, 21, 1
	v_cmp_eq_u32_e64 s11, v115, v128
	s_delay_alu instid0(VALU_DEP_2) | instskip(NEXT) | instid1(VALU_DEP_1)
	v_add_nc_u32_e32 v117, -1, v119
	v_cndmask_b32_e64 v115, 0, v117, s11
	v_lshrrev_b32_e32 v117, 23, v118
	s_mov_b32 s11, exec_lo
	s_delay_alu instid0(VALU_DEP_2) | instskip(NEXT) | instid1(VALU_DEP_2)
	v_add_nc_u32_e32 v115, v115, v118
	v_xor_b32_e32 v117, 1, v117
	s_delay_alu instid0(VALU_DEP_2) | instskip(NEXT) | instid1(VALU_DEP_1)
	v_and_b32_e32 v113, 0x1fffff, v115
	v_add_nc_u32_e32 v115, v113, v118
                                        ; implicit-def: $vgpr113
	s_delay_alu instid0(VALU_DEP_3)
	v_cmpx_ne_u32_e64 v116, v117
	s_xor_b32 s11, exec_lo, s11
; %bb.155:                              ;   in Loop: Header=BB4_144 Depth=2
	s_delay_alu instid0(VALU_DEP_2) | instskip(SKIP_2) | instid1(VALU_DEP_2)
	v_cmp_lt_u32_e32 vcc_lo, 0xffffff, v115
	v_sub_nc_u32_e32 v113, v116, v117
	v_cndmask_b32_e64 v116, 0, 1, vcc_lo
	v_add_co_ci_u32_e32 v113, vcc_lo, 0, v113, vcc_lo
	s_delay_alu instid0(VALU_DEP_2)
	v_lshrrev_b32_e32 v115, v116, v115
; %bb.156:                              ;   in Loop: Header=BB4_144 Depth=2
	s_and_not1_saveexec_b32 s11, s11
; %bb.157:                              ;   in Loop: Header=BB4_144 Depth=2
	s_delay_alu instid0(VALU_DEP_1)
	v_bfe_u32 v113, v115, 23, 1
; %bb.158:                              ;   in Loop: Header=BB4_144 Depth=2
	s_or_b32 exec_lo, exec_lo, s11
	v_lshrrev_b32_e32 v115, 21, v115
	s_delay_alu instid0(VALU_DEP_2) | instskip(SKIP_2) | instid1(VALU_DEP_2)
	v_cmp_gt_i32_e32 vcc_lo, 32, v113
	v_lshrrev_b32_e32 v114, 24, v114
	v_min_i32_e32 v116, 31, v113
	v_dual_cndmask_b32 v115, 3, v115 :: v_dual_and_b32 v114, 0x80, v114
	s_delay_alu instid0(VALU_DEP_1) | instskip(SKIP_1) | instid1(VALU_DEP_2)
	v_or_b32_e32 v113, v113, v115
	v_and_b32_e32 v117, 3, v115
	v_cmp_ne_u32_e32 vcc_lo, 0, v113
	v_lshlrev_b32_e32 v116, 2, v116
	s_delay_alu instid0(VALU_DEP_1) | instskip(NEXT) | instid1(VALU_DEP_1)
	v_or3_b32 v114, v116, v114, v117
	v_cndmask_b32_e32 v113, 0, v114, vcc_lo
.LBB4_159:                              ;   in Loop: Header=BB4_144 Depth=2
	s_or_b32 exec_lo, exec_lo, s25
.LBB4_160:                              ;   in Loop: Header=BB4_144 Depth=2
	s_delay_alu instid0(SALU_CYCLE_1) | instskip(SKIP_3) | instid1(VALU_DEP_1)
	s_or_b32 exec_lo, exec_lo, s24
	v_lshrrev_b16 v115, 8, v22
	s_mov_b32 s11, 0
	s_mov_b32 s25, exec_lo
                                        ; implicit-def: $sgpr24
	v_cmpx_lt_i16_e32 0x7f, v115
	s_xor_b32 s25, exec_lo, s25
	s_cbranch_execnz .LBB4_662
; %bb.161:                              ;   in Loop: Header=BB4_144 Depth=2
	s_or_saveexec_b32 s25, s25
	v_mov_b32_e32 v114, s24
	s_xor_b32 exec_lo, exec_lo, s25
	s_cbranch_execnz .LBB4_665
.LBB4_162:                              ;   in Loop: Header=BB4_144 Depth=2
	s_or_b32 exec_lo, exec_lo, s25
	s_and_saveexec_b32 s24, s11
	s_cbranch_execz .LBB4_164
.LBB4_163:                              ;   in Loop: Header=BB4_144 Depth=2
	v_and_b32_e32 v114, 0xffff, v115
	s_delay_alu instid0(VALU_DEP_1) | instskip(NEXT) | instid1(VALU_DEP_1)
	v_and_b32_e32 v116, 3, v114
	v_clz_i32_u32_e32 v117, v116
	s_delay_alu instid0(VALU_DEP_1) | instskip(NEXT) | instid1(VALU_DEP_1)
	v_min_u32_e32 v117, 32, v117
	v_subrev_nc_u32_e32 v118, 29, v117
	v_sub_nc_u32_e32 v117, 30, v117
	s_delay_alu instid0(VALU_DEP_2) | instskip(SKIP_1) | instid1(VALU_DEP_2)
	v_lshlrev_b32_e32 v118, v118, v114
	v_bfe_u32 v114, v114, 2, 5
	v_and_b32_e32 v118, 3, v118
	s_delay_alu instid0(VALU_DEP_2) | instskip(SKIP_1) | instid1(VALU_DEP_1)
	v_cmp_eq_u32_e32 vcc_lo, 0, v114
	v_dual_cndmask_b32 v114, v114, v117 :: v_dual_lshlrev_b32 v115, 24, v115
	v_dual_cndmask_b32 v116, v116, v118 :: v_dual_and_b32 v115, 0x80000000, v115
	s_delay_alu instid0(VALU_DEP_2) | instskip(NEXT) | instid1(VALU_DEP_2)
	v_lshl_add_u32 v114, v114, 23, 0x37800000
	v_lshlrev_b32_e32 v116, 21, v116
	s_delay_alu instid0(VALU_DEP_1)
	v_or3_b32 v114, v115, v114, v116
.LBB4_164:                              ;   in Loop: Header=BB4_144 Depth=2
	s_or_b32 exec_lo, exec_lo, s24
	v_lshrrev_b16 v115, 8, v18
	s_mov_b32 s11, 0
	s_mov_b32 s25, exec_lo
                                        ; implicit-def: $sgpr24
	s_delay_alu instid0(VALU_DEP_1)
	v_cmpx_lt_i16_e32 0x7f, v115
	s_xor_b32 s25, exec_lo, s25
	s_cbranch_execnz .LBB4_666
; %bb.165:                              ;   in Loop: Header=BB4_144 Depth=2
	s_or_saveexec_b32 s25, s25
	v_mov_b32_e32 v116, s24
	s_xor_b32 exec_lo, exec_lo, s25
	s_cbranch_execnz .LBB4_669
.LBB4_166:                              ;   in Loop: Header=BB4_144 Depth=2
	s_or_b32 exec_lo, exec_lo, s25
	s_and_saveexec_b32 s24, s11
	s_cbranch_execz .LBB4_168
.LBB4_167:                              ;   in Loop: Header=BB4_144 Depth=2
	v_and_b32_e32 v116, 0xffff, v115
	v_lshlrev_b32_e32 v115, 24, v115
	s_delay_alu instid0(VALU_DEP_2) | instskip(NEXT) | instid1(VALU_DEP_2)
	v_and_b32_e32 v117, 3, v116
	v_and_b32_e32 v115, 0x80000000, v115
	s_delay_alu instid0(VALU_DEP_2) | instskip(NEXT) | instid1(VALU_DEP_1)
	v_clz_i32_u32_e32 v118, v117
	v_min_u32_e32 v118, 32, v118
	s_delay_alu instid0(VALU_DEP_1) | instskip(SKIP_1) | instid1(VALU_DEP_2)
	v_subrev_nc_u32_e32 v119, 29, v118
	v_sub_nc_u32_e32 v118, 30, v118
	v_lshlrev_b32_e32 v119, v119, v116
	v_bfe_u32 v116, v116, 2, 5
	s_delay_alu instid0(VALU_DEP_2) | instskip(NEXT) | instid1(VALU_DEP_2)
	v_and_b32_e32 v119, 3, v119
	v_cmp_eq_u32_e32 vcc_lo, 0, v116
	s_delay_alu instid0(VALU_DEP_2) | instskip(NEXT) | instid1(VALU_DEP_1)
	v_dual_cndmask_b32 v116, v116, v118 :: v_dual_cndmask_b32 v117, v117, v119
	v_lshl_add_u32 v116, v116, 23, 0x37800000
	s_delay_alu instid0(VALU_DEP_2) | instskip(NEXT) | instid1(VALU_DEP_1)
	v_lshlrev_b32_e32 v117, 21, v117
	v_or3_b32 v116, v115, v116, v117
.LBB4_168:                              ;   in Loop: Header=BB4_144 Depth=2
	s_or_b32 exec_lo, exec_lo, s24
	s_delay_alu instid0(VALU_DEP_1) | instskip(NEXT) | instid1(VALU_DEP_1)
	v_mul_f32_e32 v115, v114, v116
	v_and_b32_e32 v114, 0x7f800000, v115
	s_delay_alu instid0(VALU_DEP_1)
	v_cmp_ne_u32_e32 vcc_lo, 0x7f800000, v114
	v_mov_b32_e32 v114, 0x80
	s_and_saveexec_b32 s24, vcc_lo
	s_cbranch_execz .LBB4_176
; %bb.169:                              ;   in Loop: Header=BB4_144 Depth=2
	v_mov_b32_e32 v114, 0
	s_mov_b32 s25, exec_lo
	v_cmpx_ne_u32_e32 0, v115
	s_cbranch_execz .LBB4_175
; %bb.170:                              ;   in Loop: Header=BB4_144 Depth=2
	v_bfe_u32 v114, v115, 23, 8
	s_delay_alu instid0(VALU_DEP_1) | instskip(SKIP_1) | instid1(VALU_DEP_2)
	v_sub_nc_u32_e32 v117, 0x70, v114
	v_cmp_gt_u32_e32 vcc_lo, 0x71, v114
	v_dual_cndmask_b32 v117, 0, v117 :: v_dual_and_b32 v116, 0x7fffff, v115
	s_delay_alu instid0(VALU_DEP_1) | instskip(SKIP_2) | instid1(VALU_DEP_4)
	v_or_b32_e32 v118, 0x800000, v116
	v_cmp_eq_u32_e32 vcc_lo, 0, v114
	v_add_nc_u32_e32 v114, 0xffffff91, v114
	v_cndmask_b32_e64 v117, v117, 0x6f, vcc_lo
	s_delay_alu instid0(VALU_DEP_2) | instskip(SKIP_1) | instid1(VALU_DEP_3)
	v_cndmask_b32_e64 v114, v114, 0xffffff92, vcc_lo
	v_cndmask_b32_e32 v116, v118, v116, vcc_lo
	v_lshl_add_u32 v118, 0x200000, v117, -1
	v_lshlrev_b32_e64 v129, v117, 0x100000
	s_delay_alu instid0(VALU_DEP_3) | instskip(SKIP_1) | instid1(VALU_DEP_4)
	v_lshrrev_b32_e32 v119, v117, v116
	v_add_nc_u32_e32 v117, v117, v114
	v_and_b32_e32 v116, v118, v116
	s_delay_alu instid0(VALU_DEP_3) | instskip(NEXT) | instid1(VALU_DEP_2)
	v_bfe_u32 v128, v119, 21, 1
	v_cmp_eq_u32_e64 s11, v116, v129
	s_delay_alu instid0(VALU_DEP_2) | instskip(NEXT) | instid1(VALU_DEP_1)
	v_add_nc_u32_e32 v118, -1, v128
	v_cndmask_b32_e64 v116, 0, v118, s11
	v_lshrrev_b32_e32 v118, 23, v119
	s_mov_b32 s11, exec_lo
	s_delay_alu instid0(VALU_DEP_2) | instskip(NEXT) | instid1(VALU_DEP_2)
	v_add_nc_u32_e32 v116, v116, v119
	v_xor_b32_e32 v118, 1, v118
	s_delay_alu instid0(VALU_DEP_2) | instskip(NEXT) | instid1(VALU_DEP_1)
	v_and_b32_e32 v114, 0x1fffff, v116
	v_add_nc_u32_e32 v116, v114, v119
                                        ; implicit-def: $vgpr114
	s_delay_alu instid0(VALU_DEP_3)
	v_cmpx_ne_u32_e64 v117, v118
	s_xor_b32 s11, exec_lo, s11
; %bb.171:                              ;   in Loop: Header=BB4_144 Depth=2
	s_delay_alu instid0(VALU_DEP_2) | instskip(SKIP_2) | instid1(VALU_DEP_2)
	v_cmp_lt_u32_e32 vcc_lo, 0xffffff, v116
	v_sub_nc_u32_e32 v114, v117, v118
	v_cndmask_b32_e64 v117, 0, 1, vcc_lo
	v_add_co_ci_u32_e32 v114, vcc_lo, 0, v114, vcc_lo
	s_delay_alu instid0(VALU_DEP_2)
	v_lshrrev_b32_e32 v116, v117, v116
; %bb.172:                              ;   in Loop: Header=BB4_144 Depth=2
	s_and_not1_saveexec_b32 s11, s11
; %bb.173:                              ;   in Loop: Header=BB4_144 Depth=2
	s_delay_alu instid0(VALU_DEP_1)
	v_bfe_u32 v114, v116, 23, 1
; %bb.174:                              ;   in Loop: Header=BB4_144 Depth=2
	s_or_b32 exec_lo, exec_lo, s11
	v_lshrrev_b32_e32 v116, 21, v116
	s_delay_alu instid0(VALU_DEP_2) | instskip(SKIP_2) | instid1(VALU_DEP_2)
	v_cmp_gt_i32_e32 vcc_lo, 32, v114
	v_lshrrev_b32_e32 v115, 24, v115
	v_min_i32_e32 v117, 31, v114
	v_dual_cndmask_b32 v116, 3, v116 :: v_dual_and_b32 v115, 0x80, v115
	s_delay_alu instid0(VALU_DEP_1) | instskip(SKIP_1) | instid1(VALU_DEP_2)
	v_or_b32_e32 v114, v114, v116
	v_and_b32_e32 v118, 3, v116
	v_cmp_ne_u32_e32 vcc_lo, 0, v114
	v_lshlrev_b32_e32 v117, 2, v117
	s_delay_alu instid0(VALU_DEP_1) | instskip(NEXT) | instid1(VALU_DEP_1)
	v_or3_b32 v115, v117, v115, v118
	v_cndmask_b32_e32 v114, 0, v115, vcc_lo
.LBB4_175:                              ;   in Loop: Header=BB4_144 Depth=2
	s_or_b32 exec_lo, exec_lo, s25
.LBB4_176:                              ;   in Loop: Header=BB4_144 Depth=2
	s_delay_alu instid0(SALU_CYCLE_1) | instskip(SKIP_3) | instid1(VALU_DEP_1)
	s_or_b32 exec_lo, exec_lo, s24
	v_lshrrev_b32_e32 v116, 16, v22
	s_mov_b32 s11, 0
	s_mov_b32 s25, exec_lo
                                        ; implicit-def: $sgpr24
	v_and_b32_e32 v117, 0xff, v116
	s_delay_alu instid0(VALU_DEP_1)
	v_cmpx_lt_i16_e32 0x7f, v117
	s_xor_b32 s25, exec_lo, s25
	s_cbranch_execnz .LBB4_670
; %bb.177:                              ;   in Loop: Header=BB4_144 Depth=2
	s_or_saveexec_b32 s25, s25
	v_mov_b32_e32 v115, s24
	s_xor_b32 exec_lo, exec_lo, s25
	s_cbranch_execnz .LBB4_673
.LBB4_178:                              ;   in Loop: Header=BB4_144 Depth=2
	s_or_b32 exec_lo, exec_lo, s25
	s_and_saveexec_b32 s24, s11
	s_cbranch_execz .LBB4_180
.LBB4_179:                              ;   in Loop: Header=BB4_144 Depth=2
	v_bfe_u32 v115, v22, 16, 2
	v_lshlrev_b32_e32 v119, 8, v22
	s_delay_alu instid0(VALU_DEP_2) | instskip(NEXT) | instid1(VALU_DEP_1)
	v_clz_i32_u32_e32 v117, v115
	v_min_u32_e32 v117, 32, v117
	s_delay_alu instid0(VALU_DEP_1) | instskip(SKIP_1) | instid1(VALU_DEP_2)
	v_subrev_nc_u32_e32 v118, 29, v117
	v_sub_nc_u32_e32 v117, 30, v117
	v_lshlrev_b32_e32 v116, v118, v116
	v_bfe_u32 v118, v22, 18, 5
	s_delay_alu instid0(VALU_DEP_1) | instskip(NEXT) | instid1(VALU_DEP_3)
	v_cmp_eq_u32_e32 vcc_lo, 0, v118
	v_dual_cndmask_b32 v117, v118, v117 :: v_dual_and_b32 v116, 3, v116
	s_delay_alu instid0(VALU_DEP_1) | instskip(NEXT) | instid1(VALU_DEP_2)
	v_dual_cndmask_b32 v115, v115, v116 :: v_dual_and_b32 v116, 0x80000000, v119
	v_lshl_add_u32 v117, v117, 23, 0x37800000
	s_delay_alu instid0(VALU_DEP_2) | instskip(NEXT) | instid1(VALU_DEP_1)
	v_lshlrev_b32_e32 v115, 21, v115
	v_or3_b32 v115, v116, v117, v115
.LBB4_180:                              ;   in Loop: Header=BB4_144 Depth=2
	s_or_b32 exec_lo, exec_lo, s24
	v_lshrrev_b32_e32 v116, 16, v18
	s_mov_b32 s11, 0
	s_mov_b32 s25, exec_lo
                                        ; implicit-def: $sgpr24
	s_delay_alu instid0(VALU_DEP_1) | instskip(NEXT) | instid1(VALU_DEP_1)
	v_and_b32_e32 v118, 0xff, v116
	v_cmpx_lt_i16_e32 0x7f, v118
	s_xor_b32 s25, exec_lo, s25
	s_cbranch_execnz .LBB4_674
; %bb.181:                              ;   in Loop: Header=BB4_144 Depth=2
	s_or_saveexec_b32 s25, s25
	v_mov_b32_e32 v117, s24
	s_xor_b32 exec_lo, exec_lo, s25
	s_cbranch_execnz .LBB4_677
.LBB4_182:                              ;   in Loop: Header=BB4_144 Depth=2
	s_or_b32 exec_lo, exec_lo, s25
	s_and_saveexec_b32 s24, s11
	s_cbranch_execz .LBB4_184
.LBB4_183:                              ;   in Loop: Header=BB4_144 Depth=2
	v_bfe_u32 v117, v18, 16, 2
	v_lshlrev_b32_e32 v128, 8, v18
	s_delay_alu instid0(VALU_DEP_2) | instskip(NEXT) | instid1(VALU_DEP_1)
	v_clz_i32_u32_e32 v118, v117
	v_min_u32_e32 v118, 32, v118
	s_delay_alu instid0(VALU_DEP_1) | instskip(SKIP_1) | instid1(VALU_DEP_2)
	v_subrev_nc_u32_e32 v119, 29, v118
	v_sub_nc_u32_e32 v118, 30, v118
	v_lshlrev_b32_e32 v116, v119, v116
	v_bfe_u32 v119, v18, 18, 5
	s_delay_alu instid0(VALU_DEP_2) | instskip(NEXT) | instid1(VALU_DEP_2)
	v_and_b32_e32 v116, 3, v116
	v_cmp_eq_u32_e32 vcc_lo, 0, v119
	v_cndmask_b32_e32 v118, v119, v118, vcc_lo
	s_delay_alu instid0(VALU_DEP_3) | instskip(SKIP_1) | instid1(VALU_DEP_3)
	v_cndmask_b32_e32 v116, v117, v116, vcc_lo
	v_and_b32_e32 v117, 0x80000000, v128
	v_lshl_add_u32 v118, v118, 23, 0x37800000
	s_delay_alu instid0(VALU_DEP_3) | instskip(NEXT) | instid1(VALU_DEP_1)
	v_lshlrev_b32_e32 v116, 21, v116
	v_or3_b32 v117, v117, v118, v116
.LBB4_184:                              ;   in Loop: Header=BB4_144 Depth=2
	s_or_b32 exec_lo, exec_lo, s24
	s_delay_alu instid0(VALU_DEP_1) | instskip(NEXT) | instid1(VALU_DEP_1)
	v_mul_f32_e32 v116, v115, v117
	v_and_b32_e32 v115, 0x7f800000, v116
	s_delay_alu instid0(VALU_DEP_1)
	v_cmp_ne_u32_e32 vcc_lo, 0x7f800000, v115
	v_mov_b32_e32 v115, 0x80
	s_and_saveexec_b32 s24, vcc_lo
	s_cbranch_execz .LBB4_192
; %bb.185:                              ;   in Loop: Header=BB4_144 Depth=2
	v_mov_b32_e32 v115, 0
	s_mov_b32 s25, exec_lo
	v_cmpx_ne_u32_e32 0, v116
	s_cbranch_execz .LBB4_191
; %bb.186:                              ;   in Loop: Header=BB4_144 Depth=2
	v_bfe_u32 v115, v116, 23, 8
	s_delay_alu instid0(VALU_DEP_1) | instskip(SKIP_1) | instid1(VALU_DEP_2)
	v_sub_nc_u32_e32 v118, 0x70, v115
	v_cmp_gt_u32_e32 vcc_lo, 0x71, v115
	v_dual_cndmask_b32 v118, 0, v118 :: v_dual_and_b32 v117, 0x7fffff, v116
	s_delay_alu instid0(VALU_DEP_1) | instskip(SKIP_2) | instid1(VALU_DEP_4)
	v_or_b32_e32 v119, 0x800000, v117
	v_cmp_eq_u32_e32 vcc_lo, 0, v115
	v_add_nc_u32_e32 v115, 0xffffff91, v115
	v_cndmask_b32_e64 v118, v118, 0x6f, vcc_lo
	s_delay_alu instid0(VALU_DEP_2) | instskip(SKIP_1) | instid1(VALU_DEP_3)
	v_cndmask_b32_e64 v115, v115, 0xffffff92, vcc_lo
	v_cndmask_b32_e32 v117, v119, v117, vcc_lo
	v_lshl_add_u32 v119, 0x200000, v118, -1
	v_lshlrev_b32_e64 v130, v118, 0x100000
	s_delay_alu instid0(VALU_DEP_3) | instskip(SKIP_1) | instid1(VALU_DEP_4)
	v_lshrrev_b32_e32 v128, v118, v117
	v_add_nc_u32_e32 v118, v118, v115
	v_and_b32_e32 v117, v119, v117
	s_delay_alu instid0(VALU_DEP_3) | instskip(NEXT) | instid1(VALU_DEP_2)
	v_bfe_u32 v129, v128, 21, 1
	v_cmp_eq_u32_e64 s11, v117, v130
	s_delay_alu instid0(VALU_DEP_2) | instskip(NEXT) | instid1(VALU_DEP_1)
	v_add_nc_u32_e32 v119, -1, v129
	v_cndmask_b32_e64 v117, 0, v119, s11
	v_lshrrev_b32_e32 v119, 23, v128
	s_mov_b32 s11, exec_lo
	s_delay_alu instid0(VALU_DEP_2) | instskip(NEXT) | instid1(VALU_DEP_2)
	v_add_nc_u32_e32 v117, v117, v128
	v_xor_b32_e32 v119, 1, v119
	s_delay_alu instid0(VALU_DEP_2) | instskip(NEXT) | instid1(VALU_DEP_1)
	v_and_b32_e32 v115, 0x1fffff, v117
	v_add_nc_u32_e32 v117, v115, v128
                                        ; implicit-def: $vgpr115
	s_delay_alu instid0(VALU_DEP_3)
	v_cmpx_ne_u32_e64 v118, v119
	s_xor_b32 s11, exec_lo, s11
; %bb.187:                              ;   in Loop: Header=BB4_144 Depth=2
	s_delay_alu instid0(VALU_DEP_2) | instskip(SKIP_2) | instid1(VALU_DEP_2)
	v_cmp_lt_u32_e32 vcc_lo, 0xffffff, v117
	v_sub_nc_u32_e32 v115, v118, v119
	v_cndmask_b32_e64 v118, 0, 1, vcc_lo
	v_add_co_ci_u32_e32 v115, vcc_lo, 0, v115, vcc_lo
	s_delay_alu instid0(VALU_DEP_2)
	v_lshrrev_b32_e32 v117, v118, v117
; %bb.188:                              ;   in Loop: Header=BB4_144 Depth=2
	s_and_not1_saveexec_b32 s11, s11
; %bb.189:                              ;   in Loop: Header=BB4_144 Depth=2
	s_delay_alu instid0(VALU_DEP_1)
	v_bfe_u32 v115, v117, 23, 1
; %bb.190:                              ;   in Loop: Header=BB4_144 Depth=2
	s_or_b32 exec_lo, exec_lo, s11
	v_lshrrev_b32_e32 v117, 21, v117
	s_delay_alu instid0(VALU_DEP_2) | instskip(SKIP_2) | instid1(VALU_DEP_2)
	v_cmp_gt_i32_e32 vcc_lo, 32, v115
	v_lshrrev_b32_e32 v116, 24, v116
	v_min_i32_e32 v118, 31, v115
	v_dual_cndmask_b32 v117, 3, v117 :: v_dual_and_b32 v116, 0x80, v116
	s_delay_alu instid0(VALU_DEP_1) | instskip(SKIP_1) | instid1(VALU_DEP_2)
	v_or_b32_e32 v115, v115, v117
	v_and_b32_e32 v119, 3, v117
	v_cmp_ne_u32_e32 vcc_lo, 0, v115
	v_lshlrev_b32_e32 v118, 2, v118
	s_delay_alu instid0(VALU_DEP_1) | instskip(NEXT) | instid1(VALU_DEP_1)
	v_or3_b32 v116, v118, v116, v119
	v_cndmask_b32_e32 v115, 0, v116, vcc_lo
.LBB4_191:                              ;   in Loop: Header=BB4_144 Depth=2
	s_or_b32 exec_lo, exec_lo, s25
.LBB4_192:                              ;   in Loop: Header=BB4_144 Depth=2
	s_delay_alu instid0(SALU_CYCLE_1) | instskip(SKIP_3) | instid1(VALU_DEP_1)
	s_or_b32 exec_lo, exec_lo, s24
	v_lshrrev_b32_e32 v117, 24, v22
	s_mov_b32 s11, 0
	s_mov_b32 s25, exec_lo
                                        ; implicit-def: $sgpr24
	v_cmpx_lt_i16_e32 0x7f, v117
	s_xor_b32 s25, exec_lo, s25
	s_cbranch_execnz .LBB4_678
; %bb.193:                              ;   in Loop: Header=BB4_144 Depth=2
	s_or_saveexec_b32 s25, s25
	v_mov_b32_e32 v116, s24
	s_xor_b32 exec_lo, exec_lo, s25
	s_cbranch_execnz .LBB4_681
.LBB4_194:                              ;   in Loop: Header=BB4_144 Depth=2
	s_or_b32 exec_lo, exec_lo, s25
	s_and_saveexec_b32 s24, s11
	s_cbranch_execz .LBB4_196
.LBB4_195:                              ;   in Loop: Header=BB4_144 Depth=2
	v_bfe_u32 v116, v22, 24, 2
	s_delay_alu instid0(VALU_DEP_1) | instskip(NEXT) | instid1(VALU_DEP_1)
	v_clz_i32_u32_e32 v118, v116
	v_min_u32_e32 v118, 32, v118
	s_delay_alu instid0(VALU_DEP_1) | instskip(SKIP_1) | instid1(VALU_DEP_2)
	v_subrev_nc_u32_e32 v119, 29, v118
	v_sub_nc_u32_e32 v118, 30, v118
	v_lshlrev_b32_e32 v117, v119, v117
	v_bfe_u32 v119, v22, 26, 5
	v_and_b32_e32 v22, 0x80000000, v22
	s_delay_alu instid0(VALU_DEP_2) | instskip(NEXT) | instid1(VALU_DEP_4)
	v_cmp_eq_u32_e32 vcc_lo, 0, v119
	v_dual_cndmask_b32 v118, v119, v118 :: v_dual_and_b32 v117, 3, v117
	s_delay_alu instid0(VALU_DEP_1) | instskip(NEXT) | instid1(VALU_DEP_2)
	v_cndmask_b32_e32 v116, v116, v117, vcc_lo
	v_lshl_add_u32 v117, v118, 23, 0x37800000
	s_delay_alu instid0(VALU_DEP_2) | instskip(NEXT) | instid1(VALU_DEP_1)
	v_lshlrev_b32_e32 v116, 21, v116
	v_or3_b32 v116, v22, v117, v116
.LBB4_196:                              ;   in Loop: Header=BB4_144 Depth=2
	s_or_b32 exec_lo, exec_lo, s24
	v_lshrrev_b32_e32 v22, 24, v18
	s_mov_b32 s11, 0
	s_mov_b32 s25, exec_lo
                                        ; implicit-def: $sgpr24
	s_delay_alu instid0(VALU_DEP_1)
	v_cmpx_lt_i16_e32 0x7f, v22
	s_xor_b32 s25, exec_lo, s25
	s_cbranch_execnz .LBB4_682
; %bb.197:                              ;   in Loop: Header=BB4_144 Depth=2
	s_or_saveexec_b32 s25, s25
	v_mov_b32_e32 v117, s24
	s_xor_b32 exec_lo, exec_lo, s25
	s_cbranch_execnz .LBB4_685
.LBB4_198:                              ;   in Loop: Header=BB4_144 Depth=2
	s_or_b32 exec_lo, exec_lo, s25
	s_and_saveexec_b32 s24, s11
	s_cbranch_execz .LBB4_200
.LBB4_199:                              ;   in Loop: Header=BB4_144 Depth=2
	v_bfe_u32 v117, v18, 24, 2
	s_delay_alu instid0(VALU_DEP_1) | instskip(NEXT) | instid1(VALU_DEP_1)
	v_clz_i32_u32_e32 v118, v117
	v_min_u32_e32 v118, 32, v118
	s_delay_alu instid0(VALU_DEP_1) | instskip(SKIP_1) | instid1(VALU_DEP_2)
	v_subrev_nc_u32_e32 v119, 29, v118
	v_sub_nc_u32_e32 v118, 30, v118
	v_lshlrev_b32_e32 v22, v119, v22
	v_bfe_u32 v119, v18, 26, 5
	v_and_b32_e32 v18, 0x80000000, v18
	s_delay_alu instid0(VALU_DEP_3) | instskip(NEXT) | instid1(VALU_DEP_3)
	v_and_b32_e32 v22, 3, v22
	v_cmp_eq_u32_e32 vcc_lo, 0, v119
	v_cndmask_b32_e32 v118, v119, v118, vcc_lo
	s_delay_alu instid0(VALU_DEP_3) | instskip(NEXT) | instid1(VALU_DEP_2)
	v_cndmask_b32_e32 v22, v117, v22, vcc_lo
	v_lshl_add_u32 v117, v118, 23, 0x37800000
	s_delay_alu instid0(VALU_DEP_2) | instskip(NEXT) | instid1(VALU_DEP_1)
	v_lshlrev_b32_e32 v22, 21, v22
	v_or3_b32 v117, v18, v117, v22
.LBB4_200:                              ;   in Loop: Header=BB4_144 Depth=2
	s_or_b32 exec_lo, exec_lo, s24
	s_delay_alu instid0(VALU_DEP_1) | instskip(NEXT) | instid1(VALU_DEP_1)
	v_mul_f32_e32 v22, v116, v117
	v_and_b32_e32 v18, 0x7f800000, v22
	s_delay_alu instid0(VALU_DEP_1)
	v_cmp_ne_u32_e32 vcc_lo, 0x7f800000, v18
	v_mov_b32_e32 v18, 0x80
	s_and_saveexec_b32 s24, vcc_lo
	s_cbranch_execz .LBB4_208
; %bb.201:                              ;   in Loop: Header=BB4_144 Depth=2
	v_mov_b32_e32 v18, 0
	s_mov_b32 s25, exec_lo
	v_cmpx_ne_u32_e32 0, v22
	s_cbranch_execz .LBB4_207
; %bb.202:                              ;   in Loop: Header=BB4_144 Depth=2
	v_bfe_u32 v18, v22, 23, 8
	s_delay_alu instid0(VALU_DEP_1) | instskip(SKIP_1) | instid1(VALU_DEP_2)
	v_sub_nc_u32_e32 v117, 0x70, v18
	v_cmp_gt_u32_e32 vcc_lo, 0x71, v18
	v_dual_cndmask_b32 v117, 0, v117 :: v_dual_and_b32 v116, 0x7fffff, v22
	s_delay_alu instid0(VALU_DEP_1) | instskip(SKIP_2) | instid1(VALU_DEP_4)
	v_or_b32_e32 v118, 0x800000, v116
	v_cmp_eq_u32_e32 vcc_lo, 0, v18
	v_add_nc_u32_e32 v18, 0xffffff91, v18
	v_cndmask_b32_e64 v117, v117, 0x6f, vcc_lo
	s_delay_alu instid0(VALU_DEP_2) | instskip(SKIP_1) | instid1(VALU_DEP_3)
	v_cndmask_b32_e64 v18, v18, 0xffffff92, vcc_lo
	v_cndmask_b32_e32 v116, v118, v116, vcc_lo
	v_lshl_add_u32 v118, 0x200000, v117, -1
	v_lshlrev_b32_e64 v129, v117, 0x100000
	s_delay_alu instid0(VALU_DEP_3) | instskip(SKIP_1) | instid1(VALU_DEP_4)
	v_lshrrev_b32_e32 v119, v117, v116
	v_add_nc_u32_e32 v117, v117, v18
	v_and_b32_e32 v116, v118, v116
	s_delay_alu instid0(VALU_DEP_3) | instskip(NEXT) | instid1(VALU_DEP_2)
	v_bfe_u32 v128, v119, 21, 1
	v_cmp_eq_u32_e64 s11, v116, v129
	s_delay_alu instid0(VALU_DEP_2) | instskip(NEXT) | instid1(VALU_DEP_1)
	v_add_nc_u32_e32 v118, -1, v128
	v_cndmask_b32_e64 v116, 0, v118, s11
	v_lshrrev_b32_e32 v118, 23, v119
	s_mov_b32 s11, exec_lo
	s_delay_alu instid0(VALU_DEP_2) | instskip(NEXT) | instid1(VALU_DEP_2)
	v_add_nc_u32_e32 v116, v116, v119
	v_xor_b32_e32 v118, 1, v118
	s_delay_alu instid0(VALU_DEP_2) | instskip(NEXT) | instid1(VALU_DEP_1)
	v_and_b32_e32 v18, 0x1fffff, v116
	v_add_nc_u32_e32 v116, v18, v119
                                        ; implicit-def: $vgpr18
	s_delay_alu instid0(VALU_DEP_3)
	v_cmpx_ne_u32_e64 v117, v118
	s_xor_b32 s11, exec_lo, s11
; %bb.203:                              ;   in Loop: Header=BB4_144 Depth=2
	s_delay_alu instid0(VALU_DEP_2) | instskip(SKIP_2) | instid1(VALU_DEP_2)
	v_cmp_lt_u32_e32 vcc_lo, 0xffffff, v116
	v_sub_nc_u32_e32 v18, v117, v118
	v_cndmask_b32_e64 v117, 0, 1, vcc_lo
	v_add_co_ci_u32_e32 v18, vcc_lo, 0, v18, vcc_lo
	s_delay_alu instid0(VALU_DEP_2)
	v_lshrrev_b32_e32 v116, v117, v116
; %bb.204:                              ;   in Loop: Header=BB4_144 Depth=2
	s_and_not1_saveexec_b32 s11, s11
; %bb.205:                              ;   in Loop: Header=BB4_144 Depth=2
	s_delay_alu instid0(VALU_DEP_1)
	v_bfe_u32 v18, v116, 23, 1
; %bb.206:                              ;   in Loop: Header=BB4_144 Depth=2
	s_or_b32 exec_lo, exec_lo, s11
	v_lshrrev_b32_e32 v116, 21, v116
	s_delay_alu instid0(VALU_DEP_2) | instskip(SKIP_2) | instid1(VALU_DEP_4)
	v_cmp_gt_i32_e32 vcc_lo, 32, v18
	v_lshrrev_b32_e32 v22, 24, v22
	v_min_i32_e32 v117, 31, v18
	v_cndmask_b32_e32 v116, 3, v116, vcc_lo
	s_delay_alu instid0(VALU_DEP_3) | instskip(NEXT) | instid1(VALU_DEP_3)
	v_and_b32_e32 v22, 0x80, v22
	v_lshlrev_b32_e32 v117, 2, v117
	s_delay_alu instid0(VALU_DEP_3) | instskip(SKIP_1) | instid1(VALU_DEP_2)
	v_and_b32_e32 v118, 3, v116
	v_or_b32_e32 v18, v18, v116
	v_or3_b32 v22, v117, v22, v118
	s_delay_alu instid0(VALU_DEP_2) | instskip(NEXT) | instid1(VALU_DEP_2)
	v_cmp_ne_u32_e32 vcc_lo, 0, v18
	v_cndmask_b32_e32 v18, 0, v22, vcc_lo
.LBB4_207:                              ;   in Loop: Header=BB4_144 Depth=2
	s_or_b32 exec_lo, exec_lo, s25
.LBB4_208:                              ;   in Loop: Header=BB4_144 Depth=2
	s_delay_alu instid0(SALU_CYCLE_1) | instskip(SKIP_3) | instid1(VALU_DEP_1)
	s_or_b32 exec_lo, exec_lo, s24
	v_and_b32_e32 v116, 0xff, v23
	s_mov_b32 s11, 0
	s_mov_b32 s25, exec_lo
                                        ; implicit-def: $sgpr24
	v_cmpx_lt_i16_e32 0x7f, v116
	s_xor_b32 s25, exec_lo, s25
	s_cbranch_execnz .LBB4_686
; %bb.209:                              ;   in Loop: Header=BB4_144 Depth=2
	s_or_saveexec_b32 s25, s25
	v_mov_b32_e32 v22, s24
	s_xor_b32 exec_lo, exec_lo, s25
	s_cbranch_execnz .LBB4_689
.LBB4_210:                              ;   in Loop: Header=BB4_144 Depth=2
	s_or_b32 exec_lo, exec_lo, s25
	s_and_saveexec_b32 s24, s11
	s_cbranch_execz .LBB4_212
.LBB4_211:                              ;   in Loop: Header=BB4_144 Depth=2
	v_and_b32_e32 v22, 3, v23
	v_bfe_u32 v118, v23, 2, 5
	s_delay_alu instid0(VALU_DEP_2) | instskip(NEXT) | instid1(VALU_DEP_2)
	v_clz_i32_u32_e32 v116, v22
	v_cmp_eq_u32_e32 vcc_lo, 0, v118
	s_delay_alu instid0(VALU_DEP_2) | instskip(NEXT) | instid1(VALU_DEP_1)
	v_min_u32_e32 v116, 32, v116
	v_subrev_nc_u32_e32 v117, 29, v116
	v_sub_nc_u32_e32 v116, 30, v116
	s_delay_alu instid0(VALU_DEP_1) | instskip(NEXT) | instid1(VALU_DEP_1)
	v_dual_cndmask_b32 v116, v118, v116 :: v_dual_lshlrev_b32 v117, v117, v23
	v_and_b32_e32 v117, 3, v117
	v_lshlrev_b32_e32 v119, 24, v23
	s_delay_alu instid0(VALU_DEP_3) | instskip(NEXT) | instid1(VALU_DEP_2)
	v_lshl_add_u32 v116, v116, 23, 0x37800000
	v_dual_cndmask_b32 v22, v22, v117 :: v_dual_and_b32 v117, 0x80000000, v119
	s_delay_alu instid0(VALU_DEP_1) | instskip(NEXT) | instid1(VALU_DEP_1)
	v_lshlrev_b32_e32 v22, 21, v22
	v_or3_b32 v22, v117, v116, v22
.LBB4_212:                              ;   in Loop: Header=BB4_144 Depth=2
	s_or_b32 exec_lo, exec_lo, s24
	v_and_b32_e32 v117, 0xff, v19
	s_mov_b32 s11, 0
	s_mov_b32 s25, exec_lo
                                        ; implicit-def: $sgpr24
	s_delay_alu instid0(VALU_DEP_1)
	v_cmpx_lt_i16_e32 0x7f, v117
	s_xor_b32 s25, exec_lo, s25
	s_cbranch_execnz .LBB4_690
; %bb.213:                              ;   in Loop: Header=BB4_144 Depth=2
	s_or_saveexec_b32 s25, s25
	v_mov_b32_e32 v116, s24
	s_xor_b32 exec_lo, exec_lo, s25
	s_cbranch_execnz .LBB4_693
.LBB4_214:                              ;   in Loop: Header=BB4_144 Depth=2
	s_or_b32 exec_lo, exec_lo, s25
	s_and_saveexec_b32 s24, s11
	s_cbranch_execz .LBB4_216
.LBB4_215:                              ;   in Loop: Header=BB4_144 Depth=2
	v_bfe_u32 v119, v19, 2, 5
	v_lshlrev_b32_e32 v128, 24, v19
	s_delay_alu instid0(VALU_DEP_2) | instskip(SKIP_1) | instid1(VALU_DEP_1)
	v_cmp_eq_u32_e32 vcc_lo, 0, v119
	v_and_b32_e32 v116, 3, v19
	v_clz_i32_u32_e32 v117, v116
	s_delay_alu instid0(VALU_DEP_1) | instskip(NEXT) | instid1(VALU_DEP_1)
	v_min_u32_e32 v117, 32, v117
	v_subrev_nc_u32_e32 v118, 29, v117
	v_sub_nc_u32_e32 v117, 30, v117
	s_delay_alu instid0(VALU_DEP_1) | instskip(NEXT) | instid1(VALU_DEP_1)
	v_dual_cndmask_b32 v117, v119, v117 :: v_dual_lshlrev_b32 v118, v118, v19
	v_and_b32_e32 v118, 3, v118
	s_delay_alu instid0(VALU_DEP_2) | instskip(NEXT) | instid1(VALU_DEP_2)
	v_lshl_add_u32 v117, v117, 23, 0x37800000
	v_cndmask_b32_e32 v116, v116, v118, vcc_lo
	v_and_b32_e32 v118, 0x80000000, v128
	s_delay_alu instid0(VALU_DEP_2) | instskip(NEXT) | instid1(VALU_DEP_1)
	v_lshlrev_b32_e32 v116, 21, v116
	v_or3_b32 v116, v118, v117, v116
.LBB4_216:                              ;   in Loop: Header=BB4_144 Depth=2
	s_or_b32 exec_lo, exec_lo, s24
	s_delay_alu instid0(VALU_DEP_1) | instskip(NEXT) | instid1(VALU_DEP_1)
	v_mul_f32_e32 v116, v22, v116
	v_and_b32_e32 v22, 0x7f800000, v116
	s_delay_alu instid0(VALU_DEP_1)
	v_cmp_ne_u32_e32 vcc_lo, 0x7f800000, v22
	v_mov_b32_e32 v22, 0x80
	s_and_saveexec_b32 s24, vcc_lo
	s_cbranch_execz .LBB4_224
; %bb.217:                              ;   in Loop: Header=BB4_144 Depth=2
	v_mov_b32_e32 v22, 0
	s_mov_b32 s25, exec_lo
	v_cmpx_ne_u32_e32 0, v116
	s_cbranch_execz .LBB4_223
; %bb.218:                              ;   in Loop: Header=BB4_144 Depth=2
	v_bfe_u32 v22, v116, 23, 8
	s_delay_alu instid0(VALU_DEP_1) | instskip(SKIP_1) | instid1(VALU_DEP_2)
	v_sub_nc_u32_e32 v118, 0x70, v22
	v_cmp_gt_u32_e32 vcc_lo, 0x71, v22
	v_dual_cndmask_b32 v118, 0, v118 :: v_dual_and_b32 v117, 0x7fffff, v116
	s_delay_alu instid0(VALU_DEP_1) | instskip(SKIP_2) | instid1(VALU_DEP_4)
	v_or_b32_e32 v119, 0x800000, v117
	v_cmp_eq_u32_e32 vcc_lo, 0, v22
	v_add_nc_u32_e32 v22, 0xffffff91, v22
	v_cndmask_b32_e64 v118, v118, 0x6f, vcc_lo
	s_delay_alu instid0(VALU_DEP_4) | instskip(NEXT) | instid1(VALU_DEP_3)
	v_cndmask_b32_e32 v117, v119, v117, vcc_lo
	v_cndmask_b32_e64 v22, v22, 0xffffff92, vcc_lo
	s_delay_alu instid0(VALU_DEP_3) | instskip(NEXT) | instid1(VALU_DEP_3)
	v_lshl_add_u32 v119, 0x200000, v118, -1
	v_lshrrev_b32_e32 v128, v118, v117
	v_lshlrev_b32_e64 v130, v118, 0x100000
	s_delay_alu instid0(VALU_DEP_4) | instskip(NEXT) | instid1(VALU_DEP_4)
	v_add_nc_u32_e32 v118, v118, v22
	v_and_b32_e32 v117, v119, v117
	s_delay_alu instid0(VALU_DEP_4) | instskip(NEXT) | instid1(VALU_DEP_2)
	v_bfe_u32 v129, v128, 21, 1
	v_cmp_eq_u32_e64 s11, v117, v130
	s_delay_alu instid0(VALU_DEP_2) | instskip(NEXT) | instid1(VALU_DEP_1)
	v_add_nc_u32_e32 v119, -1, v129
	v_cndmask_b32_e64 v117, 0, v119, s11
	v_lshrrev_b32_e32 v119, 23, v128
	s_mov_b32 s11, exec_lo
	s_delay_alu instid0(VALU_DEP_2) | instskip(NEXT) | instid1(VALU_DEP_2)
	v_add_nc_u32_e32 v117, v117, v128
	v_xor_b32_e32 v119, 1, v119
	s_delay_alu instid0(VALU_DEP_2) | instskip(NEXT) | instid1(VALU_DEP_1)
	v_and_b32_e32 v22, 0x1fffff, v117
	v_add_nc_u32_e32 v117, v22, v128
                                        ; implicit-def: $vgpr22
	s_delay_alu instid0(VALU_DEP_3)
	v_cmpx_ne_u32_e64 v118, v119
	s_xor_b32 s11, exec_lo, s11
; %bb.219:                              ;   in Loop: Header=BB4_144 Depth=2
	s_delay_alu instid0(VALU_DEP_2) | instskip(SKIP_2) | instid1(VALU_DEP_2)
	v_cmp_lt_u32_e32 vcc_lo, 0xffffff, v117
	v_sub_nc_u32_e32 v22, v118, v119
	v_cndmask_b32_e64 v118, 0, 1, vcc_lo
	v_add_co_ci_u32_e32 v22, vcc_lo, 0, v22, vcc_lo
	s_delay_alu instid0(VALU_DEP_2)
	v_lshrrev_b32_e32 v117, v118, v117
; %bb.220:                              ;   in Loop: Header=BB4_144 Depth=2
	s_and_not1_saveexec_b32 s11, s11
; %bb.221:                              ;   in Loop: Header=BB4_144 Depth=2
	s_delay_alu instid0(VALU_DEP_1)
	v_bfe_u32 v22, v117, 23, 1
; %bb.222:                              ;   in Loop: Header=BB4_144 Depth=2
	s_or_b32 exec_lo, exec_lo, s11
	v_lshrrev_b32_e32 v117, 21, v117
	s_delay_alu instid0(VALU_DEP_2) | instskip(SKIP_2) | instid1(VALU_DEP_2)
	v_cmp_gt_i32_e32 vcc_lo, 32, v22
	v_lshrrev_b32_e32 v116, 24, v116
	v_min_i32_e32 v118, 31, v22
	v_dual_cndmask_b32 v117, 3, v117 :: v_dual_and_b32 v116, 0x80, v116
	s_delay_alu instid0(VALU_DEP_2) | instskip(NEXT) | instid1(VALU_DEP_2)
	v_lshlrev_b32_e32 v118, 2, v118
	v_or_b32_e32 v22, v22, v117
	s_delay_alu instid0(VALU_DEP_1) | instskip(SKIP_1) | instid1(VALU_DEP_1)
	v_cmp_ne_u32_e32 vcc_lo, 0, v22
	v_and_b32_e32 v119, 3, v117
	v_or3_b32 v116, v118, v116, v119
	s_delay_alu instid0(VALU_DEP_1)
	v_cndmask_b32_e32 v22, 0, v116, vcc_lo
.LBB4_223:                              ;   in Loop: Header=BB4_144 Depth=2
	s_or_b32 exec_lo, exec_lo, s25
.LBB4_224:                              ;   in Loop: Header=BB4_144 Depth=2
	s_delay_alu instid0(SALU_CYCLE_1) | instskip(SKIP_3) | instid1(VALU_DEP_1)
	s_or_b32 exec_lo, exec_lo, s24
	v_lshrrev_b16 v117, 8, v23
	s_mov_b32 s11, 0
	s_mov_b32 s25, exec_lo
                                        ; implicit-def: $sgpr24
	v_cmpx_lt_i16_e32 0x7f, v117
	s_xor_b32 s25, exec_lo, s25
	s_cbranch_execnz .LBB4_694
; %bb.225:                              ;   in Loop: Header=BB4_144 Depth=2
	s_or_saveexec_b32 s25, s25
	v_mov_b32_e32 v116, s24
	s_xor_b32 exec_lo, exec_lo, s25
	s_cbranch_execnz .LBB4_697
.LBB4_226:                              ;   in Loop: Header=BB4_144 Depth=2
	s_or_b32 exec_lo, exec_lo, s25
	s_and_saveexec_b32 s24, s11
	s_cbranch_execz .LBB4_228
.LBB4_227:                              ;   in Loop: Header=BB4_144 Depth=2
	v_and_b32_e32 v116, 0xffff, v117
	s_delay_alu instid0(VALU_DEP_1) | instskip(NEXT) | instid1(VALU_DEP_1)
	v_and_b32_e32 v118, 3, v116
	v_clz_i32_u32_e32 v119, v118
	s_delay_alu instid0(VALU_DEP_1) | instskip(NEXT) | instid1(VALU_DEP_1)
	v_min_u32_e32 v119, 32, v119
	v_subrev_nc_u32_e32 v128, 29, v119
	v_sub_nc_u32_e32 v119, 30, v119
	s_delay_alu instid0(VALU_DEP_2) | instskip(SKIP_1) | instid1(VALU_DEP_2)
	v_lshlrev_b32_e32 v128, v128, v116
	v_bfe_u32 v116, v116, 2, 5
	v_and_b32_e32 v128, 3, v128
	s_delay_alu instid0(VALU_DEP_2) | instskip(SKIP_1) | instid1(VALU_DEP_1)
	v_cmp_eq_u32_e32 vcc_lo, 0, v116
	v_dual_cndmask_b32 v116, v116, v119 :: v_dual_lshlrev_b32 v117, 24, v117
	v_dual_cndmask_b32 v118, v118, v128 :: v_dual_and_b32 v117, 0x80000000, v117
	s_delay_alu instid0(VALU_DEP_2) | instskip(NEXT) | instid1(VALU_DEP_2)
	v_lshl_add_u32 v116, v116, 23, 0x37800000
	v_lshlrev_b32_e32 v118, 21, v118
	s_delay_alu instid0(VALU_DEP_1)
	v_or3_b32 v116, v117, v116, v118
.LBB4_228:                              ;   in Loop: Header=BB4_144 Depth=2
	s_or_b32 exec_lo, exec_lo, s24
	v_lshrrev_b16 v117, 8, v19
	s_mov_b32 s11, 0
	s_mov_b32 s25, exec_lo
                                        ; implicit-def: $sgpr24
	s_delay_alu instid0(VALU_DEP_1)
	v_cmpx_lt_i16_e32 0x7f, v117
	s_xor_b32 s25, exec_lo, s25
	s_cbranch_execnz .LBB4_698
; %bb.229:                              ;   in Loop: Header=BB4_144 Depth=2
	s_or_saveexec_b32 s25, s25
	v_mov_b32_e32 v118, s24
	s_xor_b32 exec_lo, exec_lo, s25
	s_cbranch_execnz .LBB4_701
.LBB4_230:                              ;   in Loop: Header=BB4_144 Depth=2
	s_or_b32 exec_lo, exec_lo, s25
	s_and_saveexec_b32 s24, s11
	s_cbranch_execz .LBB4_232
.LBB4_231:                              ;   in Loop: Header=BB4_144 Depth=2
	v_and_b32_e32 v118, 0xffff, v117
	v_lshlrev_b32_e32 v117, 24, v117
	s_delay_alu instid0(VALU_DEP_2) | instskip(NEXT) | instid1(VALU_DEP_2)
	v_and_b32_e32 v119, 3, v118
	v_and_b32_e32 v117, 0x80000000, v117
	s_delay_alu instid0(VALU_DEP_2) | instskip(NEXT) | instid1(VALU_DEP_1)
	v_clz_i32_u32_e32 v128, v119
	v_min_u32_e32 v128, 32, v128
	s_delay_alu instid0(VALU_DEP_1) | instskip(SKIP_1) | instid1(VALU_DEP_2)
	v_subrev_nc_u32_e32 v129, 29, v128
	v_sub_nc_u32_e32 v128, 30, v128
	v_lshlrev_b32_e32 v129, v129, v118
	v_bfe_u32 v118, v118, 2, 5
	s_delay_alu instid0(VALU_DEP_2) | instskip(NEXT) | instid1(VALU_DEP_2)
	v_and_b32_e32 v129, 3, v129
	v_cmp_eq_u32_e32 vcc_lo, 0, v118
	s_delay_alu instid0(VALU_DEP_2) | instskip(NEXT) | instid1(VALU_DEP_1)
	v_dual_cndmask_b32 v118, v118, v128 :: v_dual_cndmask_b32 v119, v119, v129
	v_lshl_add_u32 v118, v118, 23, 0x37800000
	s_delay_alu instid0(VALU_DEP_2) | instskip(NEXT) | instid1(VALU_DEP_1)
	v_lshlrev_b32_e32 v119, 21, v119
	v_or3_b32 v118, v117, v118, v119
.LBB4_232:                              ;   in Loop: Header=BB4_144 Depth=2
	s_or_b32 exec_lo, exec_lo, s24
	s_delay_alu instid0(VALU_DEP_1) | instskip(NEXT) | instid1(VALU_DEP_1)
	v_mul_f32_e32 v117, v116, v118
	v_and_b32_e32 v116, 0x7f800000, v117
	s_delay_alu instid0(VALU_DEP_1)
	v_cmp_ne_u32_e32 vcc_lo, 0x7f800000, v116
	v_mov_b32_e32 v116, 0x8000
	s_and_saveexec_b32 s24, vcc_lo
	s_cbranch_execz .LBB4_240
; %bb.233:                              ;   in Loop: Header=BB4_144 Depth=2
	v_mov_b32_e32 v116, 0
	s_mov_b32 s25, exec_lo
	v_cmpx_ne_u32_e32 0, v117
	s_cbranch_execz .LBB4_239
; %bb.234:                              ;   in Loop: Header=BB4_144 Depth=2
	v_bfe_u32 v116, v117, 23, 8
	s_delay_alu instid0(VALU_DEP_1) | instskip(SKIP_1) | instid1(VALU_DEP_2)
	v_sub_nc_u32_e32 v119, 0x70, v116
	v_cmp_gt_u32_e32 vcc_lo, 0x71, v116
	v_dual_cndmask_b32 v119, 0, v119 :: v_dual_and_b32 v118, 0x7fffff, v117
	s_delay_alu instid0(VALU_DEP_1) | instskip(SKIP_2) | instid1(VALU_DEP_4)
	v_or_b32_e32 v128, 0x800000, v118
	v_cmp_eq_u32_e32 vcc_lo, 0, v116
	v_add_nc_u32_e32 v116, 0xffffff91, v116
	v_cndmask_b32_e64 v119, v119, 0x6f, vcc_lo
	s_delay_alu instid0(VALU_DEP_2) | instskip(SKIP_1) | instid1(VALU_DEP_3)
	v_cndmask_b32_e64 v116, v116, 0xffffff92, vcc_lo
	v_cndmask_b32_e32 v118, v128, v118, vcc_lo
	v_lshl_add_u32 v128, 0x200000, v119, -1
	v_lshlrev_b32_e64 v131, v119, 0x100000
	s_delay_alu instid0(VALU_DEP_3) | instskip(SKIP_1) | instid1(VALU_DEP_4)
	v_lshrrev_b32_e32 v129, v119, v118
	v_add_nc_u32_e32 v119, v119, v116
	v_and_b32_e32 v118, v128, v118
	s_delay_alu instid0(VALU_DEP_3) | instskip(NEXT) | instid1(VALU_DEP_2)
	v_bfe_u32 v130, v129, 21, 1
	v_cmp_eq_u32_e64 s11, v118, v131
	s_delay_alu instid0(VALU_DEP_2) | instskip(NEXT) | instid1(VALU_DEP_1)
	v_add_nc_u32_e32 v128, -1, v130
	v_cndmask_b32_e64 v118, 0, v128, s11
	v_lshrrev_b32_e32 v128, 23, v129
	s_mov_b32 s11, exec_lo
	s_delay_alu instid0(VALU_DEP_2) | instskip(NEXT) | instid1(VALU_DEP_2)
	v_add_nc_u32_e32 v118, v118, v129
	v_xor_b32_e32 v128, 1, v128
	s_delay_alu instid0(VALU_DEP_2) | instskip(NEXT) | instid1(VALU_DEP_1)
	v_and_b32_e32 v116, 0x1fffff, v118
	v_add_nc_u32_e32 v118, v116, v129
                                        ; implicit-def: $vgpr116
	s_delay_alu instid0(VALU_DEP_3)
	v_cmpx_ne_u32_e64 v119, v128
	s_xor_b32 s11, exec_lo, s11
; %bb.235:                              ;   in Loop: Header=BB4_144 Depth=2
	s_delay_alu instid0(VALU_DEP_2) | instskip(SKIP_2) | instid1(VALU_DEP_2)
	v_cmp_lt_u32_e32 vcc_lo, 0xffffff, v118
	v_sub_nc_u32_e32 v116, v119, v128
	v_cndmask_b32_e64 v119, 0, 1, vcc_lo
	v_add_co_ci_u32_e32 v116, vcc_lo, 0, v116, vcc_lo
	s_delay_alu instid0(VALU_DEP_2)
	v_lshrrev_b32_e32 v118, v119, v118
; %bb.236:                              ;   in Loop: Header=BB4_144 Depth=2
	s_and_not1_saveexec_b32 s11, s11
; %bb.237:                              ;   in Loop: Header=BB4_144 Depth=2
	s_delay_alu instid0(VALU_DEP_1)
	v_bfe_u32 v116, v118, 23, 1
; %bb.238:                              ;   in Loop: Header=BB4_144 Depth=2
	s_or_b32 exec_lo, exec_lo, s11
	v_lshrrev_b32_e32 v118, 21, v118
	s_delay_alu instid0(VALU_DEP_2) | instskip(SKIP_2) | instid1(VALU_DEP_2)
	v_cmp_gt_i32_e32 vcc_lo, 32, v116
	v_min_i32_e32 v119, 31, v116
	v_lshrrev_b32_e32 v117, 24, v117
	v_dual_cndmask_b32 v118, 3, v118 :: v_dual_lshlrev_b32 v119, 2, v119
	s_delay_alu instid0(VALU_DEP_2) | instskip(NEXT) | instid1(VALU_DEP_2)
	v_and_b32_e32 v117, 0x80, v117
	v_or_b32_e32 v116, v116, v118
	v_and_b32_e32 v128, 3, v118
	s_delay_alu instid0(VALU_DEP_2) | instskip(SKIP_1) | instid1(VALU_DEP_1)
	v_cmp_ne_u32_e32 vcc_lo, 0, v116
	v_and_b32_e32 v119, 0xfc, v119
	v_or3_b32 v117, v117, v119, v128
	s_delay_alu instid0(VALU_DEP_1) | instskip(NEXT) | instid1(VALU_DEP_1)
	v_lshlrev_b32_e32 v117, 8, v117
	v_cndmask_b32_e32 v116, 0, v117, vcc_lo
.LBB4_239:                              ;   in Loop: Header=BB4_144 Depth=2
	s_or_b32 exec_lo, exec_lo, s25
.LBB4_240:                              ;   in Loop: Header=BB4_144 Depth=2
	s_delay_alu instid0(SALU_CYCLE_1) | instskip(SKIP_3) | instid1(VALU_DEP_1)
	s_or_b32 exec_lo, exec_lo, s24
	v_lshrrev_b32_e32 v118, 16, v23
	s_mov_b32 s11, 0
	s_mov_b32 s25, exec_lo
                                        ; implicit-def: $sgpr24
	v_and_b32_e32 v119, 0xff, v118
	s_delay_alu instid0(VALU_DEP_1)
	v_cmpx_lt_i16_e32 0x7f, v119
	s_xor_b32 s25, exec_lo, s25
	s_cbranch_execnz .LBB4_702
; %bb.241:                              ;   in Loop: Header=BB4_144 Depth=2
	s_or_saveexec_b32 s25, s25
	v_mov_b32_e32 v117, s24
	s_xor_b32 exec_lo, exec_lo, s25
	s_cbranch_execnz .LBB4_705
.LBB4_242:                              ;   in Loop: Header=BB4_144 Depth=2
	s_or_b32 exec_lo, exec_lo, s25
	s_and_saveexec_b32 s24, s11
	s_cbranch_execz .LBB4_244
.LBB4_243:                              ;   in Loop: Header=BB4_144 Depth=2
	v_bfe_u32 v117, v23, 16, 2
	v_lshlrev_b32_e32 v129, 8, v23
	s_delay_alu instid0(VALU_DEP_2) | instskip(NEXT) | instid1(VALU_DEP_1)
	v_clz_i32_u32_e32 v119, v117
	v_min_u32_e32 v119, 32, v119
	s_delay_alu instid0(VALU_DEP_1) | instskip(SKIP_1) | instid1(VALU_DEP_2)
	v_subrev_nc_u32_e32 v128, 29, v119
	v_sub_nc_u32_e32 v119, 30, v119
	v_lshlrev_b32_e32 v118, v128, v118
	v_bfe_u32 v128, v23, 18, 5
	s_delay_alu instid0(VALU_DEP_1) | instskip(NEXT) | instid1(VALU_DEP_3)
	v_cmp_eq_u32_e32 vcc_lo, 0, v128
	v_dual_cndmask_b32 v119, v128, v119 :: v_dual_and_b32 v118, 3, v118
	s_delay_alu instid0(VALU_DEP_1) | instskip(NEXT) | instid1(VALU_DEP_2)
	v_dual_cndmask_b32 v117, v117, v118 :: v_dual_and_b32 v118, 0x80000000, v129
	v_lshl_add_u32 v119, v119, 23, 0x37800000
	s_delay_alu instid0(VALU_DEP_2) | instskip(NEXT) | instid1(VALU_DEP_1)
	v_lshlrev_b32_e32 v117, 21, v117
	v_or3_b32 v117, v118, v119, v117
.LBB4_244:                              ;   in Loop: Header=BB4_144 Depth=2
	s_or_b32 exec_lo, exec_lo, s24
	v_lshrrev_b32_e32 v118, 16, v19
	s_mov_b32 s11, 0
	s_mov_b32 s25, exec_lo
                                        ; implicit-def: $sgpr24
	s_delay_alu instid0(VALU_DEP_1) | instskip(NEXT) | instid1(VALU_DEP_1)
	v_and_b32_e32 v128, 0xff, v118
	v_cmpx_lt_i16_e64 0x7f, v128
	s_xor_b32 s25, exec_lo, s25
	s_cbranch_execnz .LBB4_706
; %bb.245:                              ;   in Loop: Header=BB4_144 Depth=2
	s_or_saveexec_b32 s25, s25
	v_mov_b32_e32 v119, s24
	s_xor_b32 exec_lo, exec_lo, s25
	s_cbranch_execnz .LBB4_709
.LBB4_246:                              ;   in Loop: Header=BB4_144 Depth=2
	s_or_b32 exec_lo, exec_lo, s25
	s_and_saveexec_b32 s24, s11
	s_cbranch_execz .LBB4_248
.LBB4_247:                              ;   in Loop: Header=BB4_144 Depth=2
	v_bfe_u32 v119, v19, 16, 2
	v_lshlrev_b32_e32 v130, 8, v19
	s_delay_alu instid0(VALU_DEP_2) | instskip(NEXT) | instid1(VALU_DEP_1)
	v_clz_i32_u32_e32 v128, v119
	v_min_u32_e32 v128, 32, v128
	s_delay_alu instid0(VALU_DEP_1) | instskip(SKIP_1) | instid1(VALU_DEP_2)
	v_subrev_nc_u32_e32 v129, 29, v128
	v_sub_nc_u32_e32 v128, 30, v128
	v_lshlrev_b32_e32 v118, v129, v118
	v_bfe_u32 v129, v19, 18, 5
	s_delay_alu instid0(VALU_DEP_2) | instskip(NEXT) | instid1(VALU_DEP_2)
	v_and_b32_e32 v118, 3, v118
	v_cmp_eq_u32_e32 vcc_lo, 0, v129
	v_cndmask_b32_e32 v128, v129, v128, vcc_lo
	s_delay_alu instid0(VALU_DEP_3) | instskip(SKIP_1) | instid1(VALU_DEP_3)
	v_cndmask_b32_e32 v118, v119, v118, vcc_lo
	v_and_b32_e32 v119, 0x80000000, v130
	v_lshl_add_u32 v128, v128, 23, 0x37800000
	s_delay_alu instid0(VALU_DEP_3) | instskip(NEXT) | instid1(VALU_DEP_1)
	v_lshlrev_b32_e32 v118, 21, v118
	v_or3_b32 v119, v119, v128, v118
.LBB4_248:                              ;   in Loop: Header=BB4_144 Depth=2
	s_or_b32 exec_lo, exec_lo, s24
	s_delay_alu instid0(VALU_DEP_1) | instskip(NEXT) | instid1(VALU_DEP_1)
	v_mul_f32_e32 v118, v117, v119
	v_and_b32_e32 v117, 0x7f800000, v118
	s_delay_alu instid0(VALU_DEP_1)
	v_cmp_ne_u32_e32 vcc_lo, 0x7f800000, v117
	v_mov_b32_e32 v117, 0x80
	s_and_saveexec_b32 s24, vcc_lo
	s_cbranch_execz .LBB4_256
; %bb.249:                              ;   in Loop: Header=BB4_144 Depth=2
	v_mov_b32_e32 v117, 0
	s_mov_b32 s25, exec_lo
	v_cmpx_ne_u32_e32 0, v118
	s_cbranch_execz .LBB4_255
; %bb.250:                              ;   in Loop: Header=BB4_144 Depth=2
	v_bfe_u32 v117, v118, 23, 8
	s_delay_alu instid0(VALU_DEP_1) | instskip(SKIP_1) | instid1(VALU_DEP_2)
	v_sub_nc_u32_e32 v128, 0x70, v117
	v_cmp_gt_u32_e32 vcc_lo, 0x71, v117
	v_dual_cndmask_b32 v128, 0, v128 :: v_dual_and_b32 v119, 0x7fffff, v118
	s_delay_alu instid0(VALU_DEP_1) | instskip(SKIP_2) | instid1(VALU_DEP_4)
	v_or_b32_e32 v129, 0x800000, v119
	v_cmp_eq_u32_e32 vcc_lo, 0, v117
	v_add_nc_u32_e32 v117, 0xffffff91, v117
	v_cndmask_b32_e64 v128, v128, 0x6f, vcc_lo
	s_delay_alu instid0(VALU_DEP_2) | instskip(SKIP_1) | instid1(VALU_DEP_3)
	v_cndmask_b32_e64 v117, v117, 0xffffff92, vcc_lo
	v_cndmask_b32_e32 v119, v129, v119, vcc_lo
	v_lshl_add_u32 v129, 0x200000, v128, -1
	v_lshlrev_b32_e64 v132, v128, 0x100000
	s_delay_alu instid0(VALU_DEP_3) | instskip(SKIP_1) | instid1(VALU_DEP_4)
	v_lshrrev_b32_e32 v130, v128, v119
	v_add_nc_u32_e32 v128, v128, v117
	v_and_b32_e32 v119, v129, v119
	s_delay_alu instid0(VALU_DEP_3) | instskip(NEXT) | instid1(VALU_DEP_2)
	v_bfe_u32 v131, v130, 21, 1
	v_cmp_eq_u32_e64 s11, v119, v132
	s_delay_alu instid0(VALU_DEP_2) | instskip(NEXT) | instid1(VALU_DEP_1)
	v_add_nc_u32_e32 v129, -1, v131
	v_cndmask_b32_e64 v119, 0, v129, s11
	v_lshrrev_b32_e32 v129, 23, v130
	s_mov_b32 s11, exec_lo
	s_delay_alu instid0(VALU_DEP_2) | instskip(NEXT) | instid1(VALU_DEP_2)
	v_add_nc_u32_e32 v119, v119, v130
	v_xor_b32_e32 v129, 1, v129
	s_delay_alu instid0(VALU_DEP_2) | instskip(NEXT) | instid1(VALU_DEP_1)
	v_and_b32_e32 v117, 0x1fffff, v119
	v_add_nc_u32_e32 v119, v117, v130
                                        ; implicit-def: $vgpr117
	s_delay_alu instid0(VALU_DEP_3)
	v_cmpx_ne_u32_e64 v128, v129
	s_xor_b32 s11, exec_lo, s11
; %bb.251:                              ;   in Loop: Header=BB4_144 Depth=2
	s_delay_alu instid0(VALU_DEP_2) | instskip(SKIP_2) | instid1(VALU_DEP_2)
	v_cmp_lt_u32_e32 vcc_lo, 0xffffff, v119
	v_sub_nc_u32_e32 v117, v128, v129
	v_cndmask_b32_e64 v128, 0, 1, vcc_lo
	v_add_co_ci_u32_e32 v117, vcc_lo, 0, v117, vcc_lo
	s_delay_alu instid0(VALU_DEP_2)
	v_lshrrev_b32_e32 v119, v128, v119
; %bb.252:                              ;   in Loop: Header=BB4_144 Depth=2
	s_and_not1_saveexec_b32 s11, s11
; %bb.253:                              ;   in Loop: Header=BB4_144 Depth=2
	s_delay_alu instid0(VALU_DEP_1)
	v_bfe_u32 v117, v119, 23, 1
; %bb.254:                              ;   in Loop: Header=BB4_144 Depth=2
	s_or_b32 exec_lo, exec_lo, s11
	v_lshrrev_b32_e32 v119, 21, v119
	s_delay_alu instid0(VALU_DEP_2) | instskip(SKIP_2) | instid1(VALU_DEP_2)
	v_cmp_gt_i32_e32 vcc_lo, 32, v117
	v_min_i32_e32 v128, 31, v117
	v_lshrrev_b32_e32 v118, 24, v118
	v_dual_cndmask_b32 v119, 3, v119 :: v_dual_lshlrev_b32 v128, 2, v128
	s_delay_alu instid0(VALU_DEP_2) | instskip(NEXT) | instid1(VALU_DEP_2)
	v_and_b32_e32 v118, 0x80, v118
	v_or_b32_e32 v117, v117, v119
	v_and_b32_e32 v129, 3, v119
	s_delay_alu instid0(VALU_DEP_2) | instskip(SKIP_1) | instid1(VALU_DEP_1)
	v_cmp_ne_u32_e32 vcc_lo, 0, v117
	v_and_b32_e32 v128, 0xfc, v128
	v_or3_b32 v118, v128, v118, v129
	s_delay_alu instid0(VALU_DEP_1)
	v_cndmask_b32_e32 v117, 0, v118, vcc_lo
.LBB4_255:                              ;   in Loop: Header=BB4_144 Depth=2
	s_or_b32 exec_lo, exec_lo, s25
.LBB4_256:                              ;   in Loop: Header=BB4_144 Depth=2
	s_delay_alu instid0(SALU_CYCLE_1) | instskip(SKIP_3) | instid1(VALU_DEP_1)
	s_or_b32 exec_lo, exec_lo, s24
	v_lshrrev_b32_e32 v119, 24, v23
	s_mov_b32 s11, 0
	s_mov_b32 s25, exec_lo
                                        ; implicit-def: $sgpr24
	v_cmpx_lt_i16_e32 0x7f, v119
	s_xor_b32 s25, exec_lo, s25
	s_cbranch_execnz .LBB4_710
; %bb.257:                              ;   in Loop: Header=BB4_144 Depth=2
	s_or_saveexec_b32 s25, s25
	v_mov_b32_e32 v118, s24
	s_xor_b32 exec_lo, exec_lo, s25
	s_cbranch_execnz .LBB4_713
.LBB4_258:                              ;   in Loop: Header=BB4_144 Depth=2
	s_or_b32 exec_lo, exec_lo, s25
	s_and_saveexec_b32 s24, s11
	s_cbranch_execz .LBB4_260
.LBB4_259:                              ;   in Loop: Header=BB4_144 Depth=2
	v_bfe_u32 v118, v23, 24, 2
	s_delay_alu instid0(VALU_DEP_1) | instskip(NEXT) | instid1(VALU_DEP_1)
	v_clz_i32_u32_e32 v128, v118
	v_min_u32_e32 v128, 32, v128
	s_delay_alu instid0(VALU_DEP_1) | instskip(SKIP_1) | instid1(VALU_DEP_2)
	v_subrev_nc_u32_e32 v129, 29, v128
	v_sub_nc_u32_e32 v128, 30, v128
	v_lshlrev_b32_e32 v119, v129, v119
	v_bfe_u32 v129, v23, 26, 5
	v_and_b32_e32 v23, 0x80000000, v23
	s_delay_alu instid0(VALU_DEP_2) | instskip(NEXT) | instid1(VALU_DEP_4)
	v_cmp_eq_u32_e32 vcc_lo, 0, v129
	v_dual_cndmask_b32 v128, v129, v128 :: v_dual_and_b32 v119, 3, v119
	s_delay_alu instid0(VALU_DEP_1) | instskip(NEXT) | instid1(VALU_DEP_2)
	v_cndmask_b32_e32 v118, v118, v119, vcc_lo
	v_lshl_add_u32 v119, v128, 23, 0x37800000
	s_delay_alu instid0(VALU_DEP_2) | instskip(NEXT) | instid1(VALU_DEP_1)
	v_lshlrev_b32_e32 v118, 21, v118
	v_or3_b32 v118, v23, v119, v118
.LBB4_260:                              ;   in Loop: Header=BB4_144 Depth=2
	s_or_b32 exec_lo, exec_lo, s24
	v_lshrrev_b32_e32 v23, 24, v19
	s_mov_b32 s11, 0
	s_mov_b32 s25, exec_lo
                                        ; implicit-def: $sgpr24
	s_delay_alu instid0(VALU_DEP_1)
	v_cmpx_lt_i16_e32 0x7f, v23
	s_xor_b32 s25, exec_lo, s25
	s_cbranch_execnz .LBB4_714
; %bb.261:                              ;   in Loop: Header=BB4_144 Depth=2
	s_or_saveexec_b32 s25, s25
	v_mov_b32_e32 v119, s24
	s_xor_b32 exec_lo, exec_lo, s25
	s_cbranch_execnz .LBB4_717
.LBB4_262:                              ;   in Loop: Header=BB4_144 Depth=2
	s_or_b32 exec_lo, exec_lo, s25
	s_and_saveexec_b32 s24, s11
	s_cbranch_execz .LBB4_264
.LBB4_263:                              ;   in Loop: Header=BB4_144 Depth=2
	v_bfe_u32 v119, v19, 24, 2
	s_delay_alu instid0(VALU_DEP_1) | instskip(NEXT) | instid1(VALU_DEP_1)
	v_clz_i32_u32_e32 v128, v119
	v_min_u32_e32 v128, 32, v128
	s_delay_alu instid0(VALU_DEP_1) | instskip(SKIP_1) | instid1(VALU_DEP_2)
	v_subrev_nc_u32_e32 v129, 29, v128
	v_sub_nc_u32_e32 v128, 30, v128
	v_lshlrev_b32_e32 v23, v129, v23
	v_bfe_u32 v129, v19, 26, 5
	v_and_b32_e32 v19, 0x80000000, v19
	s_delay_alu instid0(VALU_DEP_2) | instskip(NEXT) | instid1(VALU_DEP_4)
	v_cmp_eq_u32_e32 vcc_lo, 0, v129
	v_dual_cndmask_b32 v128, v129, v128 :: v_dual_and_b32 v23, 3, v23
	s_delay_alu instid0(VALU_DEP_1) | instskip(NEXT) | instid1(VALU_DEP_2)
	v_cndmask_b32_e32 v23, v119, v23, vcc_lo
	v_lshl_add_u32 v119, v128, 23, 0x37800000
	s_delay_alu instid0(VALU_DEP_2) | instskip(NEXT) | instid1(VALU_DEP_1)
	v_lshlrev_b32_e32 v23, 21, v23
	v_or3_b32 v119, v19, v119, v23
.LBB4_264:                              ;   in Loop: Header=BB4_144 Depth=2
	s_or_b32 exec_lo, exec_lo, s24
	s_delay_alu instid0(VALU_DEP_1) | instskip(NEXT) | instid1(VALU_DEP_1)
	v_mul_f32_e32 v23, v118, v119
	v_and_b32_e32 v19, 0x7f800000, v23
	s_delay_alu instid0(VALU_DEP_1)
	v_cmp_ne_u32_e32 vcc_lo, 0x7f800000, v19
	v_mov_b32_e32 v19, 0x8000
	s_and_saveexec_b32 s24, vcc_lo
	s_cbranch_execz .LBB4_272
; %bb.265:                              ;   in Loop: Header=BB4_144 Depth=2
	v_mov_b32_e32 v19, 0
	s_mov_b32 s25, exec_lo
	v_cmpx_ne_u32_e32 0, v23
	s_cbranch_execz .LBB4_271
; %bb.266:                              ;   in Loop: Header=BB4_144 Depth=2
	v_bfe_u32 v19, v23, 23, 8
	v_and_b32_e32 v118, 0x7fffff, v23
	s_delay_alu instid0(VALU_DEP_2) | instskip(SKIP_1) | instid1(VALU_DEP_3)
	v_sub_nc_u32_e32 v119, 0x70, v19
	v_cmp_gt_u32_e32 vcc_lo, 0x71, v19
	v_or_b32_e32 v128, 0x800000, v118
	s_delay_alu instid0(VALU_DEP_3) | instskip(SKIP_1) | instid1(VALU_DEP_3)
	v_cndmask_b32_e32 v119, 0, v119, vcc_lo
	v_cmp_eq_u32_e32 vcc_lo, 0, v19
	v_dual_cndmask_b32 v118, v128, v118 :: v_dual_add_nc_u32 v19, 0xffffff91, v19
	s_delay_alu instid0(VALU_DEP_3) | instskip(NEXT) | instid1(VALU_DEP_2)
	v_cndmask_b32_e64 v119, v119, 0x6f, vcc_lo
	v_cndmask_b32_e64 v19, v19, 0xffffff92, vcc_lo
	s_delay_alu instid0(VALU_DEP_2) | instskip(SKIP_2) | instid1(VALU_DEP_4)
	v_lshrrev_b32_e32 v129, v119, v118
	v_lshl_add_u32 v128, 0x200000, v119, -1
	v_lshlrev_b32_e64 v131, v119, 0x100000
	v_add_nc_u32_e32 v119, v119, v19
	s_delay_alu instid0(VALU_DEP_4) | instskip(NEXT) | instid1(VALU_DEP_4)
	v_bfe_u32 v130, v129, 21, 1
	v_and_b32_e32 v118, v128, v118
	s_delay_alu instid0(VALU_DEP_2) | instskip(NEXT) | instid1(VALU_DEP_2)
	v_add_nc_u32_e32 v128, -1, v130
	v_cmp_eq_u32_e64 s11, v118, v131
	s_delay_alu instid0(VALU_DEP_1) | instskip(SKIP_2) | instid1(VALU_DEP_2)
	v_cndmask_b32_e64 v118, 0, v128, s11
	v_lshrrev_b32_e32 v128, 23, v129
	s_mov_b32 s11, exec_lo
	v_add_nc_u32_e32 v118, v118, v129
	s_delay_alu instid0(VALU_DEP_2) | instskip(NEXT) | instid1(VALU_DEP_2)
	v_xor_b32_e32 v128, 1, v128
	v_and_b32_e32 v19, 0x1fffff, v118
	s_delay_alu instid0(VALU_DEP_1) | instskip(NEXT) | instid1(VALU_DEP_3)
	v_add_nc_u32_e32 v118, v19, v129
                                        ; implicit-def: $vgpr19
	v_cmpx_ne_u32_e64 v119, v128
	s_xor_b32 s11, exec_lo, s11
; %bb.267:                              ;   in Loop: Header=BB4_144 Depth=2
	s_delay_alu instid0(VALU_DEP_2) | instskip(SKIP_2) | instid1(VALU_DEP_2)
	v_cmp_lt_u32_e32 vcc_lo, 0xffffff, v118
	v_sub_nc_u32_e32 v19, v119, v128
	v_cndmask_b32_e64 v119, 0, 1, vcc_lo
	v_add_co_ci_u32_e32 v19, vcc_lo, 0, v19, vcc_lo
	s_delay_alu instid0(VALU_DEP_2)
	v_lshrrev_b32_e32 v118, v119, v118
; %bb.268:                              ;   in Loop: Header=BB4_144 Depth=2
	s_and_not1_saveexec_b32 s11, s11
; %bb.269:                              ;   in Loop: Header=BB4_144 Depth=2
	s_delay_alu instid0(VALU_DEP_1)
	v_bfe_u32 v19, v118, 23, 1
; %bb.270:                              ;   in Loop: Header=BB4_144 Depth=2
	s_or_b32 exec_lo, exec_lo, s11
	v_lshrrev_b32_e32 v118, 21, v118
	s_delay_alu instid0(VALU_DEP_2) | instskip(SKIP_2) | instid1(VALU_DEP_2)
	v_cmp_gt_i32_e32 vcc_lo, 32, v19
	v_min_i32_e32 v119, 31, v19
	v_lshrrev_b32_e32 v23, 24, v23
	v_dual_cndmask_b32 v118, 3, v118 :: v_dual_lshlrev_b32 v119, 2, v119
	s_delay_alu instid0(VALU_DEP_2) | instskip(NEXT) | instid1(VALU_DEP_2)
	v_and_b32_e32 v23, 0x80, v23
	v_or_b32_e32 v19, v19, v118
	s_delay_alu instid0(VALU_DEP_3) | instskip(NEXT) | instid1(VALU_DEP_2)
	v_and_b32_e32 v119, 0xfc, v119
	v_cmp_ne_u32_e32 vcc_lo, 0, v19
	v_and_b32_e32 v128, 3, v118
	s_delay_alu instid0(VALU_DEP_1) | instskip(NEXT) | instid1(VALU_DEP_1)
	v_or3_b32 v23, v23, v119, v128
	v_lshlrev_b32_e32 v23, 8, v23
	s_delay_alu instid0(VALU_DEP_1)
	v_cndmask_b32_e32 v19, 0, v23, vcc_lo
.LBB4_271:                              ;   in Loop: Header=BB4_144 Depth=2
	s_or_b32 exec_lo, exec_lo, s25
.LBB4_272:                              ;   in Loop: Header=BB4_144 Depth=2
	s_delay_alu instid0(SALU_CYCLE_1) | instskip(SKIP_3) | instid1(VALU_DEP_1)
	s_or_b32 exec_lo, exec_lo, s24
	v_and_b32_e32 v118, 0xff, v24
	s_mov_b32 s11, 0
	s_mov_b32 s25, exec_lo
                                        ; implicit-def: $sgpr24
	v_cmpx_lt_i16_e32 0x7f, v118
	s_xor_b32 s25, exec_lo, s25
	s_cbranch_execnz .LBB4_718
; %bb.273:                              ;   in Loop: Header=BB4_144 Depth=2
	s_or_saveexec_b32 s25, s25
	v_mov_b32_e32 v23, s24
	s_xor_b32 exec_lo, exec_lo, s25
	s_cbranch_execnz .LBB4_721
.LBB4_274:                              ;   in Loop: Header=BB4_144 Depth=2
	s_or_b32 exec_lo, exec_lo, s25
	s_and_saveexec_b32 s24, s11
	s_cbranch_execz .LBB4_276
.LBB4_275:                              ;   in Loop: Header=BB4_144 Depth=2
	v_bfe_u32 v128, v24, 2, 5
	v_lshlrev_b32_e32 v129, 24, v24
	s_delay_alu instid0(VALU_DEP_2) | instskip(SKIP_1) | instid1(VALU_DEP_1)
	v_cmp_eq_u32_e32 vcc_lo, 0, v128
	v_and_b32_e32 v23, 3, v24
	v_clz_i32_u32_e32 v118, v23
	s_delay_alu instid0(VALU_DEP_1) | instskip(NEXT) | instid1(VALU_DEP_1)
	v_min_u32_e32 v118, 32, v118
	v_subrev_nc_u32_e32 v119, 29, v118
	v_sub_nc_u32_e32 v118, 30, v118
	s_delay_alu instid0(VALU_DEP_1) | instskip(NEXT) | instid1(VALU_DEP_1)
	v_dual_cndmask_b32 v118, v128, v118 :: v_dual_lshlrev_b32 v119, v119, v24
	v_and_b32_e32 v119, 3, v119
	s_delay_alu instid0(VALU_DEP_2) | instskip(NEXT) | instid1(VALU_DEP_2)
	v_lshl_add_u32 v118, v118, 23, 0x37800000
	v_cndmask_b32_e32 v23, v23, v119, vcc_lo
	v_and_b32_e32 v119, 0x80000000, v129
	s_delay_alu instid0(VALU_DEP_2) | instskip(NEXT) | instid1(VALU_DEP_1)
	v_lshlrev_b32_e32 v23, 21, v23
	v_or3_b32 v23, v119, v118, v23
.LBB4_276:                              ;   in Loop: Header=BB4_144 Depth=2
	s_or_b32 exec_lo, exec_lo, s24
	v_and_b32_e32 v119, 0xff, v20
	s_mov_b32 s11, 0
	s_mov_b32 s25, exec_lo
                                        ; implicit-def: $sgpr24
	s_delay_alu instid0(VALU_DEP_1)
	v_cmpx_lt_i16_e32 0x7f, v119
	s_xor_b32 s25, exec_lo, s25
	s_cbranch_execnz .LBB4_722
; %bb.277:                              ;   in Loop: Header=BB4_144 Depth=2
	s_or_saveexec_b32 s25, s25
	v_mov_b32_e32 v118, s24
	s_xor_b32 exec_lo, exec_lo, s25
	s_cbranch_execnz .LBB4_725
.LBB4_278:                              ;   in Loop: Header=BB4_144 Depth=2
	s_or_b32 exec_lo, exec_lo, s25
	s_and_saveexec_b32 s24, s11
	s_cbranch_execz .LBB4_280
.LBB4_279:                              ;   in Loop: Header=BB4_144 Depth=2
	v_bfe_u32 v129, v20, 2, 5
	v_lshlrev_b32_e32 v130, 24, v20
	s_delay_alu instid0(VALU_DEP_2) | instskip(SKIP_1) | instid1(VALU_DEP_1)
	v_cmp_eq_u32_e32 vcc_lo, 0, v129
	v_and_b32_e32 v118, 3, v20
	v_clz_i32_u32_e32 v119, v118
	s_delay_alu instid0(VALU_DEP_1) | instskip(NEXT) | instid1(VALU_DEP_1)
	v_min_u32_e32 v119, 32, v119
	v_subrev_nc_u32_e32 v128, 29, v119
	v_sub_nc_u32_e32 v119, 30, v119
	s_delay_alu instid0(VALU_DEP_1) | instskip(NEXT) | instid1(VALU_DEP_1)
	v_dual_cndmask_b32 v119, v129, v119 :: v_dual_lshlrev_b32 v128, v128, v20
	v_and_b32_e32 v128, 3, v128
	s_delay_alu instid0(VALU_DEP_2) | instskip(NEXT) | instid1(VALU_DEP_2)
	v_lshl_add_u32 v119, v119, 23, 0x37800000
	v_cndmask_b32_e32 v118, v118, v128, vcc_lo
	v_and_b32_e32 v128, 0x80000000, v130
	s_delay_alu instid0(VALU_DEP_2) | instskip(NEXT) | instid1(VALU_DEP_1)
	v_lshlrev_b32_e32 v118, 21, v118
	v_or3_b32 v118, v128, v119, v118
.LBB4_280:                              ;   in Loop: Header=BB4_144 Depth=2
	s_or_b32 exec_lo, exec_lo, s24
	s_delay_alu instid0(VALU_DEP_1) | instskip(NEXT) | instid1(VALU_DEP_1)
	v_mul_f32_e32 v118, v23, v118
	v_and_b32_e32 v23, 0x7f800000, v118
	s_delay_alu instid0(VALU_DEP_1)
	v_cmp_ne_u32_e32 vcc_lo, 0x7f800000, v23
	v_mov_b32_e32 v23, 0x80
	s_and_saveexec_b32 s24, vcc_lo
	s_cbranch_execz .LBB4_288
; %bb.281:                              ;   in Loop: Header=BB4_144 Depth=2
	v_mov_b32_e32 v23, 0
	s_mov_b32 s25, exec_lo
	v_cmpx_ne_u32_e32 0, v118
	s_cbranch_execz .LBB4_287
; %bb.282:                              ;   in Loop: Header=BB4_144 Depth=2
	v_bfe_u32 v23, v118, 23, 8
	s_delay_alu instid0(VALU_DEP_1) | instskip(SKIP_1) | instid1(VALU_DEP_2)
	v_sub_nc_u32_e32 v128, 0x70, v23
	v_cmp_gt_u32_e32 vcc_lo, 0x71, v23
	v_dual_cndmask_b32 v128, 0, v128 :: v_dual_and_b32 v119, 0x7fffff, v118
	s_delay_alu instid0(VALU_DEP_1) | instskip(SKIP_2) | instid1(VALU_DEP_4)
	v_or_b32_e32 v129, 0x800000, v119
	v_cmp_eq_u32_e32 vcc_lo, 0, v23
	v_add_nc_u32_e32 v23, 0xffffff91, v23
	v_cndmask_b32_e64 v128, v128, 0x6f, vcc_lo
	s_delay_alu instid0(VALU_DEP_4) | instskip(NEXT) | instid1(VALU_DEP_3)
	v_cndmask_b32_e32 v119, v129, v119, vcc_lo
	v_cndmask_b32_e64 v23, v23, 0xffffff92, vcc_lo
	s_delay_alu instid0(VALU_DEP_3) | instskip(NEXT) | instid1(VALU_DEP_3)
	v_lshl_add_u32 v129, 0x200000, v128, -1
	v_lshrrev_b32_e32 v130, v128, v119
	v_lshlrev_b32_e64 v132, v128, 0x100000
	s_delay_alu instid0(VALU_DEP_4) | instskip(NEXT) | instid1(VALU_DEP_4)
	v_add_nc_u32_e32 v128, v128, v23
	v_and_b32_e32 v119, v129, v119
	s_delay_alu instid0(VALU_DEP_4) | instskip(NEXT) | instid1(VALU_DEP_2)
	v_bfe_u32 v131, v130, 21, 1
	v_cmp_eq_u32_e64 s11, v119, v132
	s_delay_alu instid0(VALU_DEP_2) | instskip(NEXT) | instid1(VALU_DEP_1)
	v_add_nc_u32_e32 v129, -1, v131
	v_cndmask_b32_e64 v119, 0, v129, s11
	v_lshrrev_b32_e32 v129, 23, v130
	s_mov_b32 s11, exec_lo
	s_delay_alu instid0(VALU_DEP_2) | instskip(NEXT) | instid1(VALU_DEP_2)
	v_add_nc_u32_e32 v119, v119, v130
	v_xor_b32_e32 v129, 1, v129
	s_delay_alu instid0(VALU_DEP_2) | instskip(NEXT) | instid1(VALU_DEP_1)
	v_and_b32_e32 v23, 0x1fffff, v119
	v_add_nc_u32_e32 v119, v23, v130
                                        ; implicit-def: $vgpr23
	s_delay_alu instid0(VALU_DEP_3)
	v_cmpx_ne_u32_e64 v128, v129
	s_xor_b32 s11, exec_lo, s11
; %bb.283:                              ;   in Loop: Header=BB4_144 Depth=2
	s_delay_alu instid0(VALU_DEP_2) | instskip(SKIP_2) | instid1(VALU_DEP_2)
	v_cmp_lt_u32_e32 vcc_lo, 0xffffff, v119
	v_sub_nc_u32_e32 v23, v128, v129
	v_cndmask_b32_e64 v128, 0, 1, vcc_lo
	v_add_co_ci_u32_e32 v23, vcc_lo, 0, v23, vcc_lo
	s_delay_alu instid0(VALU_DEP_2)
	v_lshrrev_b32_e32 v119, v128, v119
; %bb.284:                              ;   in Loop: Header=BB4_144 Depth=2
	s_and_not1_saveexec_b32 s11, s11
; %bb.285:                              ;   in Loop: Header=BB4_144 Depth=2
	s_delay_alu instid0(VALU_DEP_1)
	v_bfe_u32 v23, v119, 23, 1
; %bb.286:                              ;   in Loop: Header=BB4_144 Depth=2
	s_or_b32 exec_lo, exec_lo, s11
	v_lshrrev_b32_e32 v119, 21, v119
	s_delay_alu instid0(VALU_DEP_2) | instskip(SKIP_2) | instid1(VALU_DEP_2)
	v_cmp_gt_i32_e32 vcc_lo, 32, v23
	v_lshrrev_b32_e32 v118, 24, v118
	v_min_i32_e32 v128, 31, v23
	v_dual_cndmask_b32 v119, 3, v119 :: v_dual_and_b32 v118, 0x80, v118
	s_delay_alu instid0(VALU_DEP_1) | instskip(SKIP_1) | instid1(VALU_DEP_2)
	v_or_b32_e32 v23, v23, v119
	v_and_b32_e32 v129, 3, v119
	v_cmp_ne_u32_e32 vcc_lo, 0, v23
	v_lshlrev_b32_e32 v128, 2, v128
	s_delay_alu instid0(VALU_DEP_1) | instskip(NEXT) | instid1(VALU_DEP_1)
	v_or3_b32 v118, v128, v118, v129
	v_cndmask_b32_e32 v23, 0, v118, vcc_lo
.LBB4_287:                              ;   in Loop: Header=BB4_144 Depth=2
	s_or_b32 exec_lo, exec_lo, s25
.LBB4_288:                              ;   in Loop: Header=BB4_144 Depth=2
	s_delay_alu instid0(SALU_CYCLE_1) | instskip(SKIP_3) | instid1(VALU_DEP_1)
	s_or_b32 exec_lo, exec_lo, s24
	v_lshrrev_b16 v119, 8, v24
	s_mov_b32 s11, 0
	s_mov_b32 s25, exec_lo
                                        ; implicit-def: $sgpr24
	v_cmpx_lt_i16_e32 0x7f, v119
	s_xor_b32 s25, exec_lo, s25
	s_cbranch_execnz .LBB4_726
; %bb.289:                              ;   in Loop: Header=BB4_144 Depth=2
	s_or_saveexec_b32 s25, s25
	v_mov_b32_e32 v118, s24
	s_xor_b32 exec_lo, exec_lo, s25
	s_cbranch_execnz .LBB4_729
.LBB4_290:                              ;   in Loop: Header=BB4_144 Depth=2
	s_or_b32 exec_lo, exec_lo, s25
	s_and_saveexec_b32 s24, s11
	s_cbranch_execz .LBB4_292
.LBB4_291:                              ;   in Loop: Header=BB4_144 Depth=2
	v_and_b32_e32 v118, 0xffff, v119
	s_delay_alu instid0(VALU_DEP_1) | instskip(NEXT) | instid1(VALU_DEP_1)
	v_and_b32_e32 v128, 3, v118
	v_clz_i32_u32_e32 v129, v128
	s_delay_alu instid0(VALU_DEP_1) | instskip(NEXT) | instid1(VALU_DEP_1)
	v_min_u32_e32 v129, 32, v129
	v_subrev_nc_u32_e32 v130, 29, v129
	v_sub_nc_u32_e32 v129, 30, v129
	s_delay_alu instid0(VALU_DEP_2) | instskip(SKIP_1) | instid1(VALU_DEP_2)
	v_lshlrev_b32_e32 v130, v130, v118
	v_bfe_u32 v118, v118, 2, 5
	v_and_b32_e32 v130, 3, v130
	s_delay_alu instid0(VALU_DEP_2) | instskip(SKIP_1) | instid1(VALU_DEP_1)
	v_cmp_eq_u32_e32 vcc_lo, 0, v118
	v_dual_cndmask_b32 v118, v118, v129 :: v_dual_lshlrev_b32 v119, 24, v119
	v_dual_cndmask_b32 v128, v128, v130 :: v_dual_and_b32 v119, 0x80000000, v119
	s_delay_alu instid0(VALU_DEP_2) | instskip(NEXT) | instid1(VALU_DEP_2)
	v_lshl_add_u32 v118, v118, 23, 0x37800000
	v_lshlrev_b32_e32 v128, 21, v128
	s_delay_alu instid0(VALU_DEP_1)
	v_or3_b32 v118, v119, v118, v128
.LBB4_292:                              ;   in Loop: Header=BB4_144 Depth=2
	s_or_b32 exec_lo, exec_lo, s24
	v_lshrrev_b16 v119, 8, v20
	s_mov_b32 s11, 0
	s_mov_b32 s25, exec_lo
                                        ; implicit-def: $sgpr24
	s_delay_alu instid0(VALU_DEP_1)
	v_cmpx_lt_i16_e32 0x7f, v119
	s_xor_b32 s25, exec_lo, s25
	s_cbranch_execnz .LBB4_730
; %bb.293:                              ;   in Loop: Header=BB4_144 Depth=2
	s_or_saveexec_b32 s25, s25
	v_mov_b32_e32 v128, s24
	s_xor_b32 exec_lo, exec_lo, s25
	s_cbranch_execnz .LBB4_733
.LBB4_294:                              ;   in Loop: Header=BB4_144 Depth=2
	s_or_b32 exec_lo, exec_lo, s25
	s_and_saveexec_b32 s24, s11
	s_cbranch_execz .LBB4_296
.LBB4_295:                              ;   in Loop: Header=BB4_144 Depth=2
	v_and_b32_e32 v128, 0xffff, v119
	v_lshlrev_b32_e32 v119, 24, v119
	s_delay_alu instid0(VALU_DEP_2) | instskip(NEXT) | instid1(VALU_DEP_2)
	v_and_b32_e32 v129, 3, v128
	v_and_b32_e32 v119, 0x80000000, v119
	s_delay_alu instid0(VALU_DEP_2) | instskip(NEXT) | instid1(VALU_DEP_1)
	v_clz_i32_u32_e32 v130, v129
	v_min_u32_e32 v130, 32, v130
	s_delay_alu instid0(VALU_DEP_1) | instskip(SKIP_1) | instid1(VALU_DEP_2)
	v_subrev_nc_u32_e32 v131, 29, v130
	v_sub_nc_u32_e32 v130, 30, v130
	v_lshlrev_b32_e32 v131, v131, v128
	v_bfe_u32 v128, v128, 2, 5
	s_delay_alu instid0(VALU_DEP_2) | instskip(NEXT) | instid1(VALU_DEP_2)
	v_and_b32_e32 v131, 3, v131
	v_cmp_eq_u32_e32 vcc_lo, 0, v128
	s_delay_alu instid0(VALU_DEP_2) | instskip(NEXT) | instid1(VALU_DEP_1)
	v_dual_cndmask_b32 v128, v128, v130 :: v_dual_cndmask_b32 v129, v129, v131
	v_lshl_add_u32 v128, v128, 23, 0x37800000
	s_delay_alu instid0(VALU_DEP_2) | instskip(NEXT) | instid1(VALU_DEP_1)
	v_lshlrev_b32_e32 v129, 21, v129
	v_or3_b32 v128, v119, v128, v129
.LBB4_296:                              ;   in Loop: Header=BB4_144 Depth=2
	s_or_b32 exec_lo, exec_lo, s24
	s_delay_alu instid0(VALU_DEP_1) | instskip(NEXT) | instid1(VALU_DEP_1)
	v_mul_f32_e32 v119, v118, v128
	v_and_b32_e32 v118, 0x7f800000, v119
	s_delay_alu instid0(VALU_DEP_1)
	v_cmp_ne_u32_e32 vcc_lo, 0x7f800000, v118
	v_mov_b32_e32 v118, 0x80
	s_and_saveexec_b32 s24, vcc_lo
	s_cbranch_execz .LBB4_304
; %bb.297:                              ;   in Loop: Header=BB4_144 Depth=2
	v_mov_b32_e32 v118, 0
	s_mov_b32 s25, exec_lo
	v_cmpx_ne_u32_e32 0, v119
	s_cbranch_execz .LBB4_303
; %bb.298:                              ;   in Loop: Header=BB4_144 Depth=2
	v_bfe_u32 v118, v119, 23, 8
	s_delay_alu instid0(VALU_DEP_1) | instskip(SKIP_1) | instid1(VALU_DEP_2)
	v_sub_nc_u32_e32 v129, 0x70, v118
	v_cmp_gt_u32_e32 vcc_lo, 0x71, v118
	v_dual_cndmask_b32 v129, 0, v129 :: v_dual_and_b32 v128, 0x7fffff, v119
	s_delay_alu instid0(VALU_DEP_1) | instskip(SKIP_2) | instid1(VALU_DEP_4)
	v_or_b32_e32 v130, 0x800000, v128
	v_cmp_eq_u32_e32 vcc_lo, 0, v118
	v_add_nc_u32_e32 v118, 0xffffff91, v118
	v_cndmask_b32_e64 v129, v129, 0x6f, vcc_lo
	s_delay_alu instid0(VALU_DEP_2) | instskip(SKIP_1) | instid1(VALU_DEP_3)
	v_cndmask_b32_e64 v118, v118, 0xffffff92, vcc_lo
	v_cndmask_b32_e32 v128, v130, v128, vcc_lo
	v_lshl_add_u32 v130, 0x200000, v129, -1
	v_lshlrev_b32_e64 v133, v129, 0x100000
	s_delay_alu instid0(VALU_DEP_3) | instskip(SKIP_1) | instid1(VALU_DEP_4)
	v_lshrrev_b32_e32 v131, v129, v128
	v_add_nc_u32_e32 v129, v129, v118
	v_and_b32_e32 v128, v130, v128
	s_delay_alu instid0(VALU_DEP_3) | instskip(NEXT) | instid1(VALU_DEP_2)
	v_bfe_u32 v132, v131, 21, 1
	v_cmp_eq_u32_e64 s11, v128, v133
	s_delay_alu instid0(VALU_DEP_2) | instskip(NEXT) | instid1(VALU_DEP_1)
	v_add_nc_u32_e32 v130, -1, v132
	v_cndmask_b32_e64 v128, 0, v130, s11
	v_lshrrev_b32_e32 v130, 23, v131
	s_mov_b32 s11, exec_lo
	s_delay_alu instid0(VALU_DEP_2) | instskip(NEXT) | instid1(VALU_DEP_2)
	v_add_nc_u32_e32 v128, v128, v131
	v_xor_b32_e32 v130, 1, v130
	s_delay_alu instid0(VALU_DEP_2) | instskip(NEXT) | instid1(VALU_DEP_1)
	v_and_b32_e32 v118, 0x1fffff, v128
	v_add_nc_u32_e32 v128, v118, v131
                                        ; implicit-def: $vgpr118
	s_delay_alu instid0(VALU_DEP_3)
	v_cmpx_ne_u32_e64 v129, v130
	s_xor_b32 s11, exec_lo, s11
; %bb.299:                              ;   in Loop: Header=BB4_144 Depth=2
	s_delay_alu instid0(VALU_DEP_2) | instskip(SKIP_2) | instid1(VALU_DEP_2)
	v_cmp_lt_u32_e32 vcc_lo, 0xffffff, v128
	v_sub_nc_u32_e32 v118, v129, v130
	v_cndmask_b32_e64 v129, 0, 1, vcc_lo
	v_add_co_ci_u32_e32 v118, vcc_lo, 0, v118, vcc_lo
	s_delay_alu instid0(VALU_DEP_2)
	v_lshrrev_b32_e32 v128, v129, v128
; %bb.300:                              ;   in Loop: Header=BB4_144 Depth=2
	s_and_not1_saveexec_b32 s11, s11
; %bb.301:                              ;   in Loop: Header=BB4_144 Depth=2
	s_delay_alu instid0(VALU_DEP_1)
	v_bfe_u32 v118, v128, 23, 1
; %bb.302:                              ;   in Loop: Header=BB4_144 Depth=2
	s_or_b32 exec_lo, exec_lo, s11
	v_lshrrev_b32_e32 v128, 21, v128
	s_delay_alu instid0(VALU_DEP_2) | instskip(SKIP_2) | instid1(VALU_DEP_2)
	v_cmp_gt_i32_e32 vcc_lo, 32, v118
	v_lshrrev_b32_e32 v119, 24, v119
	v_min_i32_e32 v129, 31, v118
	v_dual_cndmask_b32 v128, 3, v128 :: v_dual_and_b32 v119, 0x80, v119
	s_delay_alu instid0(VALU_DEP_1) | instskip(SKIP_1) | instid1(VALU_DEP_2)
	v_or_b32_e32 v118, v118, v128
	v_and_b32_e32 v130, 3, v128
	v_cmp_ne_u32_e32 vcc_lo, 0, v118
	v_lshlrev_b32_e32 v129, 2, v129
	s_delay_alu instid0(VALU_DEP_1) | instskip(NEXT) | instid1(VALU_DEP_1)
	v_or3_b32 v119, v129, v119, v130
	v_cndmask_b32_e32 v118, 0, v119, vcc_lo
.LBB4_303:                              ;   in Loop: Header=BB4_144 Depth=2
	s_or_b32 exec_lo, exec_lo, s25
.LBB4_304:                              ;   in Loop: Header=BB4_144 Depth=2
	s_delay_alu instid0(SALU_CYCLE_1) | instskip(SKIP_3) | instid1(VALU_DEP_1)
	s_or_b32 exec_lo, exec_lo, s24
	v_lshrrev_b32_e32 v128, 16, v24
	s_mov_b32 s11, 0
	s_mov_b32 s25, exec_lo
                                        ; implicit-def: $sgpr24
	v_and_b32_e32 v129, 0xff, v128
	s_delay_alu instid0(VALU_DEP_1)
	v_cmpx_lt_i16_e64 0x7f, v129
	s_xor_b32 s25, exec_lo, s25
	s_cbranch_execnz .LBB4_734
; %bb.305:                              ;   in Loop: Header=BB4_144 Depth=2
	s_or_saveexec_b32 s25, s25
	v_mov_b32_e32 v119, s24
	s_xor_b32 exec_lo, exec_lo, s25
	s_cbranch_execnz .LBB4_737
.LBB4_306:                              ;   in Loop: Header=BB4_144 Depth=2
	s_or_b32 exec_lo, exec_lo, s25
	s_and_saveexec_b32 s24, s11
	s_cbranch_execz .LBB4_308
.LBB4_307:                              ;   in Loop: Header=BB4_144 Depth=2
	v_bfe_u32 v119, v24, 16, 2
	v_lshlrev_b32_e32 v131, 8, v24
	s_delay_alu instid0(VALU_DEP_2) | instskip(NEXT) | instid1(VALU_DEP_1)
	v_clz_i32_u32_e32 v129, v119
	v_min_u32_e32 v129, 32, v129
	s_delay_alu instid0(VALU_DEP_1) | instskip(SKIP_1) | instid1(VALU_DEP_2)
	v_subrev_nc_u32_e32 v130, 29, v129
	v_sub_nc_u32_e32 v129, 30, v129
	v_lshlrev_b32_e32 v128, v130, v128
	v_bfe_u32 v130, v24, 18, 5
	s_delay_alu instid0(VALU_DEP_1) | instskip(NEXT) | instid1(VALU_DEP_3)
	v_cmp_eq_u32_e32 vcc_lo, 0, v130
	v_dual_cndmask_b32 v129, v130, v129 :: v_dual_and_b32 v128, 3, v128
	s_delay_alu instid0(VALU_DEP_1) | instskip(NEXT) | instid1(VALU_DEP_2)
	v_dual_cndmask_b32 v119, v119, v128 :: v_dual_and_b32 v128, 0x80000000, v131
	v_lshl_add_u32 v129, v129, 23, 0x37800000
	s_delay_alu instid0(VALU_DEP_2) | instskip(NEXT) | instid1(VALU_DEP_1)
	v_lshlrev_b32_e32 v119, 21, v119
	v_or3_b32 v119, v128, v129, v119
.LBB4_308:                              ;   in Loop: Header=BB4_144 Depth=2
	s_or_b32 exec_lo, exec_lo, s24
	v_lshrrev_b32_e32 v128, 16, v20
	s_mov_b32 s11, 0
	s_mov_b32 s25, exec_lo
                                        ; implicit-def: $sgpr24
	s_delay_alu instid0(VALU_DEP_1) | instskip(NEXT) | instid1(VALU_DEP_1)
	v_and_b32_e32 v130, 0xff, v128
	v_cmpx_lt_i16_e64 0x7f, v130
	s_xor_b32 s25, exec_lo, s25
	s_cbranch_execnz .LBB4_738
; %bb.309:                              ;   in Loop: Header=BB4_144 Depth=2
	s_or_saveexec_b32 s25, s25
	v_mov_b32_e32 v129, s24
	s_xor_b32 exec_lo, exec_lo, s25
	s_cbranch_execnz .LBB4_741
.LBB4_310:                              ;   in Loop: Header=BB4_144 Depth=2
	s_or_b32 exec_lo, exec_lo, s25
	s_and_saveexec_b32 s24, s11
	s_cbranch_execz .LBB4_312
.LBB4_311:                              ;   in Loop: Header=BB4_144 Depth=2
	v_bfe_u32 v129, v20, 16, 2
	v_lshlrev_b32_e32 v132, 8, v20
	s_delay_alu instid0(VALU_DEP_2) | instskip(NEXT) | instid1(VALU_DEP_1)
	v_clz_i32_u32_e32 v130, v129
	v_min_u32_e32 v130, 32, v130
	s_delay_alu instid0(VALU_DEP_1) | instskip(SKIP_1) | instid1(VALU_DEP_2)
	v_subrev_nc_u32_e32 v131, 29, v130
	v_sub_nc_u32_e32 v130, 30, v130
	v_lshlrev_b32_e32 v128, v131, v128
	v_bfe_u32 v131, v20, 18, 5
	s_delay_alu instid0(VALU_DEP_2) | instskip(NEXT) | instid1(VALU_DEP_2)
	v_and_b32_e32 v128, 3, v128
	v_cmp_eq_u32_e32 vcc_lo, 0, v131
	v_cndmask_b32_e32 v130, v131, v130, vcc_lo
	s_delay_alu instid0(VALU_DEP_3) | instskip(SKIP_1) | instid1(VALU_DEP_3)
	v_cndmask_b32_e32 v128, v129, v128, vcc_lo
	v_and_b32_e32 v129, 0x80000000, v132
	v_lshl_add_u32 v130, v130, 23, 0x37800000
	s_delay_alu instid0(VALU_DEP_3) | instskip(NEXT) | instid1(VALU_DEP_1)
	v_lshlrev_b32_e32 v128, 21, v128
	v_or3_b32 v129, v129, v130, v128
.LBB4_312:                              ;   in Loop: Header=BB4_144 Depth=2
	s_or_b32 exec_lo, exec_lo, s24
	s_delay_alu instid0(VALU_DEP_1) | instskip(NEXT) | instid1(VALU_DEP_1)
	v_mul_f32_e32 v128, v119, v129
	v_and_b32_e32 v119, 0x7f800000, v128
	s_delay_alu instid0(VALU_DEP_1)
	v_cmp_ne_u32_e32 vcc_lo, 0x7f800000, v119
	v_mov_b32_e32 v119, 0x80
	s_and_saveexec_b32 s24, vcc_lo
	s_cbranch_execz .LBB4_320
; %bb.313:                              ;   in Loop: Header=BB4_144 Depth=2
	v_mov_b32_e32 v119, 0
	s_mov_b32 s25, exec_lo
	v_cmpx_ne_u32_e32 0, v128
	s_cbranch_execz .LBB4_319
; %bb.314:                              ;   in Loop: Header=BB4_144 Depth=2
	v_bfe_u32 v119, v128, 23, 8
	s_delay_alu instid0(VALU_DEP_1) | instskip(SKIP_1) | instid1(VALU_DEP_2)
	v_sub_nc_u32_e32 v130, 0x70, v119
	v_cmp_gt_u32_e32 vcc_lo, 0x71, v119
	v_dual_cndmask_b32 v130, 0, v130 :: v_dual_and_b32 v129, 0x7fffff, v128
	s_delay_alu instid0(VALU_DEP_1) | instskip(SKIP_2) | instid1(VALU_DEP_4)
	v_or_b32_e32 v131, 0x800000, v129
	v_cmp_eq_u32_e32 vcc_lo, 0, v119
	v_add_nc_u32_e32 v119, 0xffffff91, v119
	v_cndmask_b32_e64 v130, v130, 0x6f, vcc_lo
	s_delay_alu instid0(VALU_DEP_2) | instskip(SKIP_1) | instid1(VALU_DEP_3)
	v_cndmask_b32_e64 v119, v119, 0xffffff92, vcc_lo
	v_cndmask_b32_e32 v129, v131, v129, vcc_lo
	v_lshl_add_u32 v131, 0x200000, v130, -1
	v_lshlrev_b32_e64 v134, v130, 0x100000
	s_delay_alu instid0(VALU_DEP_3) | instskip(SKIP_1) | instid1(VALU_DEP_4)
	v_lshrrev_b32_e32 v132, v130, v129
	v_add_nc_u32_e32 v130, v130, v119
	v_and_b32_e32 v129, v131, v129
	s_delay_alu instid0(VALU_DEP_3) | instskip(NEXT) | instid1(VALU_DEP_2)
	v_bfe_u32 v133, v132, 21, 1
	v_cmp_eq_u32_e64 s11, v129, v134
	s_delay_alu instid0(VALU_DEP_2) | instskip(NEXT) | instid1(VALU_DEP_1)
	v_add_nc_u32_e32 v131, -1, v133
	v_cndmask_b32_e64 v129, 0, v131, s11
	v_lshrrev_b32_e32 v131, 23, v132
	s_mov_b32 s11, exec_lo
	s_delay_alu instid0(VALU_DEP_2) | instskip(NEXT) | instid1(VALU_DEP_2)
	v_add_nc_u32_e32 v129, v129, v132
	v_xor_b32_e32 v131, 1, v131
	s_delay_alu instid0(VALU_DEP_2) | instskip(NEXT) | instid1(VALU_DEP_1)
	v_and_b32_e32 v119, 0x1fffff, v129
	v_add_nc_u32_e32 v129, v119, v132
                                        ; implicit-def: $vgpr119
	s_delay_alu instid0(VALU_DEP_3)
	v_cmpx_ne_u32_e64 v130, v131
	s_xor_b32 s11, exec_lo, s11
; %bb.315:                              ;   in Loop: Header=BB4_144 Depth=2
	s_delay_alu instid0(VALU_DEP_2) | instskip(SKIP_2) | instid1(VALU_DEP_2)
	v_cmp_lt_u32_e32 vcc_lo, 0xffffff, v129
	v_sub_nc_u32_e32 v119, v130, v131
	v_cndmask_b32_e64 v130, 0, 1, vcc_lo
	v_add_co_ci_u32_e32 v119, vcc_lo, 0, v119, vcc_lo
	s_delay_alu instid0(VALU_DEP_2)
	v_lshrrev_b32_e32 v129, v130, v129
; %bb.316:                              ;   in Loop: Header=BB4_144 Depth=2
	s_and_not1_saveexec_b32 s11, s11
; %bb.317:                              ;   in Loop: Header=BB4_144 Depth=2
	s_delay_alu instid0(VALU_DEP_1)
	v_bfe_u32 v119, v129, 23, 1
; %bb.318:                              ;   in Loop: Header=BB4_144 Depth=2
	s_or_b32 exec_lo, exec_lo, s11
	v_lshrrev_b32_e32 v129, 21, v129
	s_delay_alu instid0(VALU_DEP_2) | instskip(SKIP_2) | instid1(VALU_DEP_2)
	v_cmp_gt_i32_e32 vcc_lo, 32, v119
	v_lshrrev_b32_e32 v128, 24, v128
	v_min_i32_e32 v130, 31, v119
	v_dual_cndmask_b32 v129, 3, v129 :: v_dual_and_b32 v128, 0x80, v128
	s_delay_alu instid0(VALU_DEP_1) | instskip(SKIP_1) | instid1(VALU_DEP_2)
	v_or_b32_e32 v119, v119, v129
	v_and_b32_e32 v131, 3, v129
	v_cmp_ne_u32_e32 vcc_lo, 0, v119
	v_lshlrev_b32_e32 v130, 2, v130
	s_delay_alu instid0(VALU_DEP_1) | instskip(NEXT) | instid1(VALU_DEP_1)
	v_or3_b32 v128, v130, v128, v131
	v_cndmask_b32_e32 v119, 0, v128, vcc_lo
.LBB4_319:                              ;   in Loop: Header=BB4_144 Depth=2
	s_or_b32 exec_lo, exec_lo, s25
.LBB4_320:                              ;   in Loop: Header=BB4_144 Depth=2
	s_delay_alu instid0(SALU_CYCLE_1) | instskip(SKIP_3) | instid1(VALU_DEP_1)
	s_or_b32 exec_lo, exec_lo, s24
	v_lshrrev_b32_e32 v129, 24, v24
	s_mov_b32 s11, 0
	s_mov_b32 s25, exec_lo
                                        ; implicit-def: $sgpr24
	v_cmpx_lt_i16_e64 0x7f, v129
	s_xor_b32 s25, exec_lo, s25
	s_cbranch_execnz .LBB4_742
; %bb.321:                              ;   in Loop: Header=BB4_144 Depth=2
	s_or_saveexec_b32 s25, s25
	v_mov_b32_e32 v128, s24
	s_xor_b32 exec_lo, exec_lo, s25
	s_cbranch_execnz .LBB4_745
.LBB4_322:                              ;   in Loop: Header=BB4_144 Depth=2
	s_or_b32 exec_lo, exec_lo, s25
	s_and_saveexec_b32 s24, s11
	s_cbranch_execz .LBB4_324
.LBB4_323:                              ;   in Loop: Header=BB4_144 Depth=2
	v_bfe_u32 v128, v24, 24, 2
	s_delay_alu instid0(VALU_DEP_1) | instskip(NEXT) | instid1(VALU_DEP_1)
	v_clz_i32_u32_e32 v130, v128
	v_min_u32_e32 v130, 32, v130
	s_delay_alu instid0(VALU_DEP_1) | instskip(SKIP_1) | instid1(VALU_DEP_2)
	v_subrev_nc_u32_e32 v131, 29, v130
	v_sub_nc_u32_e32 v130, 30, v130
	v_lshlrev_b32_e32 v129, v131, v129
	v_bfe_u32 v131, v24, 26, 5
	v_and_b32_e32 v24, 0x80000000, v24
	s_delay_alu instid0(VALU_DEP_2) | instskip(NEXT) | instid1(VALU_DEP_4)
	v_cmp_eq_u32_e32 vcc_lo, 0, v131
	v_dual_cndmask_b32 v130, v131, v130 :: v_dual_and_b32 v129, 3, v129
	s_delay_alu instid0(VALU_DEP_1) | instskip(NEXT) | instid1(VALU_DEP_2)
	v_cndmask_b32_e32 v128, v128, v129, vcc_lo
	v_lshl_add_u32 v129, v130, 23, 0x37800000
	s_delay_alu instid0(VALU_DEP_2) | instskip(NEXT) | instid1(VALU_DEP_1)
	v_lshlrev_b32_e32 v128, 21, v128
	v_or3_b32 v128, v24, v129, v128
.LBB4_324:                              ;   in Loop: Header=BB4_144 Depth=2
	s_or_b32 exec_lo, exec_lo, s24
	v_lshrrev_b32_e32 v24, 24, v20
	s_mov_b32 s11, 0
	s_mov_b32 s25, exec_lo
                                        ; implicit-def: $sgpr24
	s_delay_alu instid0(VALU_DEP_1)
	v_cmpx_lt_i16_e32 0x7f, v24
	s_xor_b32 s25, exec_lo, s25
	s_cbranch_execnz .LBB4_746
; %bb.325:                              ;   in Loop: Header=BB4_144 Depth=2
	s_or_saveexec_b32 s25, s25
	v_mov_b32_e32 v129, s24
	s_xor_b32 exec_lo, exec_lo, s25
	s_cbranch_execnz .LBB4_749
.LBB4_326:                              ;   in Loop: Header=BB4_144 Depth=2
	s_or_b32 exec_lo, exec_lo, s25
	s_and_saveexec_b32 s24, s11
	s_cbranch_execz .LBB4_328
.LBB4_327:                              ;   in Loop: Header=BB4_144 Depth=2
	v_bfe_u32 v129, v20, 24, 2
	s_delay_alu instid0(VALU_DEP_1) | instskip(NEXT) | instid1(VALU_DEP_1)
	v_clz_i32_u32_e32 v130, v129
	v_min_u32_e32 v130, 32, v130
	s_delay_alu instid0(VALU_DEP_1) | instskip(SKIP_1) | instid1(VALU_DEP_2)
	v_subrev_nc_u32_e32 v131, 29, v130
	v_sub_nc_u32_e32 v130, 30, v130
	v_lshlrev_b32_e32 v24, v131, v24
	v_bfe_u32 v131, v20, 26, 5
	v_and_b32_e32 v20, 0x80000000, v20
	s_delay_alu instid0(VALU_DEP_3) | instskip(NEXT) | instid1(VALU_DEP_3)
	v_and_b32_e32 v24, 3, v24
	v_cmp_eq_u32_e32 vcc_lo, 0, v131
	v_cndmask_b32_e32 v130, v131, v130, vcc_lo
	s_delay_alu instid0(VALU_DEP_3) | instskip(NEXT) | instid1(VALU_DEP_2)
	v_cndmask_b32_e32 v24, v129, v24, vcc_lo
	v_lshl_add_u32 v129, v130, 23, 0x37800000
	s_delay_alu instid0(VALU_DEP_2) | instskip(NEXT) | instid1(VALU_DEP_1)
	v_lshlrev_b32_e32 v24, 21, v24
	v_or3_b32 v129, v20, v129, v24
.LBB4_328:                              ;   in Loop: Header=BB4_144 Depth=2
	s_or_b32 exec_lo, exec_lo, s24
	s_delay_alu instid0(VALU_DEP_1) | instskip(NEXT) | instid1(VALU_DEP_1)
	v_mul_f32_e32 v24, v128, v129
	v_and_b32_e32 v20, 0x7f800000, v24
	s_delay_alu instid0(VALU_DEP_1)
	v_cmp_ne_u32_e32 vcc_lo, 0x7f800000, v20
	v_mov_b32_e32 v20, 0x80
	s_and_saveexec_b32 s24, vcc_lo
	s_cbranch_execz .LBB4_336
; %bb.329:                              ;   in Loop: Header=BB4_144 Depth=2
	v_mov_b32_e32 v20, 0
	s_mov_b32 s25, exec_lo
	v_cmpx_ne_u32_e32 0, v24
	s_cbranch_execz .LBB4_335
; %bb.330:                              ;   in Loop: Header=BB4_144 Depth=2
	v_bfe_u32 v20, v24, 23, 8
	s_delay_alu instid0(VALU_DEP_1) | instskip(SKIP_1) | instid1(VALU_DEP_2)
	v_sub_nc_u32_e32 v129, 0x70, v20
	v_cmp_gt_u32_e32 vcc_lo, 0x71, v20
	v_dual_cndmask_b32 v129, 0, v129 :: v_dual_and_b32 v128, 0x7fffff, v24
	s_delay_alu instid0(VALU_DEP_1) | instskip(SKIP_2) | instid1(VALU_DEP_4)
	v_or_b32_e32 v130, 0x800000, v128
	v_cmp_eq_u32_e32 vcc_lo, 0, v20
	v_add_nc_u32_e32 v20, 0xffffff91, v20
	v_cndmask_b32_e64 v129, v129, 0x6f, vcc_lo
	s_delay_alu instid0(VALU_DEP_4) | instskip(NEXT) | instid1(VALU_DEP_3)
	v_cndmask_b32_e32 v128, v130, v128, vcc_lo
	v_cndmask_b32_e64 v20, v20, 0xffffff92, vcc_lo
	s_delay_alu instid0(VALU_DEP_3) | instskip(NEXT) | instid1(VALU_DEP_3)
	v_lshl_add_u32 v130, 0x200000, v129, -1
	v_lshrrev_b32_e32 v131, v129, v128
	v_lshlrev_b32_e64 v133, v129, 0x100000
	s_delay_alu instid0(VALU_DEP_4) | instskip(NEXT) | instid1(VALU_DEP_4)
	v_add_nc_u32_e32 v129, v129, v20
	v_and_b32_e32 v128, v130, v128
	s_delay_alu instid0(VALU_DEP_4) | instskip(NEXT) | instid1(VALU_DEP_2)
	v_bfe_u32 v132, v131, 21, 1
	v_cmp_eq_u32_e64 s11, v128, v133
	s_delay_alu instid0(VALU_DEP_2) | instskip(NEXT) | instid1(VALU_DEP_1)
	v_add_nc_u32_e32 v130, -1, v132
	v_cndmask_b32_e64 v128, 0, v130, s11
	v_lshrrev_b32_e32 v130, 23, v131
	s_mov_b32 s11, exec_lo
	s_delay_alu instid0(VALU_DEP_2) | instskip(NEXT) | instid1(VALU_DEP_2)
	v_add_nc_u32_e32 v128, v128, v131
	v_xor_b32_e32 v130, 1, v130
	s_delay_alu instid0(VALU_DEP_2) | instskip(NEXT) | instid1(VALU_DEP_1)
	v_and_b32_e32 v20, 0x1fffff, v128
	v_add_nc_u32_e32 v128, v20, v131
                                        ; implicit-def: $vgpr20
	s_delay_alu instid0(VALU_DEP_3)
	v_cmpx_ne_u32_e64 v129, v130
	s_xor_b32 s11, exec_lo, s11
; %bb.331:                              ;   in Loop: Header=BB4_144 Depth=2
	s_delay_alu instid0(VALU_DEP_2) | instskip(SKIP_2) | instid1(VALU_DEP_2)
	v_cmp_lt_u32_e32 vcc_lo, 0xffffff, v128
	v_sub_nc_u32_e32 v20, v129, v130
	v_cndmask_b32_e64 v129, 0, 1, vcc_lo
	v_add_co_ci_u32_e32 v20, vcc_lo, 0, v20, vcc_lo
	s_delay_alu instid0(VALU_DEP_2)
	v_lshrrev_b32_e32 v128, v129, v128
; %bb.332:                              ;   in Loop: Header=BB4_144 Depth=2
	s_and_not1_saveexec_b32 s11, s11
; %bb.333:                              ;   in Loop: Header=BB4_144 Depth=2
	s_delay_alu instid0(VALU_DEP_1)
	v_bfe_u32 v20, v128, 23, 1
; %bb.334:                              ;   in Loop: Header=BB4_144 Depth=2
	s_or_b32 exec_lo, exec_lo, s11
	v_lshrrev_b32_e32 v128, 21, v128
	s_delay_alu instid0(VALU_DEP_2) | instskip(SKIP_2) | instid1(VALU_DEP_4)
	v_cmp_gt_i32_e32 vcc_lo, 32, v20
	v_lshrrev_b32_e32 v24, 24, v24
	v_min_i32_e32 v129, 31, v20
	v_cndmask_b32_e32 v128, 3, v128, vcc_lo
	s_delay_alu instid0(VALU_DEP_3) | instskip(NEXT) | instid1(VALU_DEP_3)
	v_and_b32_e32 v24, 0x80, v24
	v_lshlrev_b32_e32 v129, 2, v129
	s_delay_alu instid0(VALU_DEP_3) | instskip(SKIP_1) | instid1(VALU_DEP_2)
	v_and_b32_e32 v130, 3, v128
	v_or_b32_e32 v20, v20, v128
	v_or3_b32 v24, v129, v24, v130
	s_delay_alu instid0(VALU_DEP_2) | instskip(NEXT) | instid1(VALU_DEP_2)
	v_cmp_ne_u32_e32 vcc_lo, 0, v20
	v_cndmask_b32_e32 v20, 0, v24, vcc_lo
.LBB4_335:                              ;   in Loop: Header=BB4_144 Depth=2
	s_or_b32 exec_lo, exec_lo, s25
.LBB4_336:                              ;   in Loop: Header=BB4_144 Depth=2
	s_delay_alu instid0(SALU_CYCLE_1) | instskip(SKIP_3) | instid1(VALU_DEP_1)
	s_or_b32 exec_lo, exec_lo, s24
	v_and_b32_e32 v128, 0xff, v25
	s_mov_b32 s11, 0
	s_mov_b32 s25, exec_lo
                                        ; implicit-def: $sgpr24
	v_cmpx_lt_i16_e64 0x7f, v128
	s_xor_b32 s25, exec_lo, s25
	s_cbranch_execnz .LBB4_750
; %bb.337:                              ;   in Loop: Header=BB4_144 Depth=2
	s_or_saveexec_b32 s25, s25
	v_mov_b32_e32 v24, s24
	s_xor_b32 exec_lo, exec_lo, s25
	s_cbranch_execnz .LBB4_753
.LBB4_338:                              ;   in Loop: Header=BB4_144 Depth=2
	s_or_b32 exec_lo, exec_lo, s25
	s_and_saveexec_b32 s24, s11
	s_cbranch_execz .LBB4_340
.LBB4_339:                              ;   in Loop: Header=BB4_144 Depth=2
	v_and_b32_e32 v24, 3, v25
	v_bfe_u32 v130, v25, 2, 5
	v_lshlrev_b32_e32 v131, 24, v25
	s_delay_alu instid0(VALU_DEP_3) | instskip(NEXT) | instid1(VALU_DEP_3)
	v_clz_i32_u32_e32 v128, v24
	v_cmp_eq_u32_e32 vcc_lo, 0, v130
	s_delay_alu instid0(VALU_DEP_2) | instskip(NEXT) | instid1(VALU_DEP_1)
	v_min_u32_e32 v128, 32, v128
	v_subrev_nc_u32_e32 v129, 29, v128
	v_sub_nc_u32_e32 v128, 30, v128
	s_delay_alu instid0(VALU_DEP_1) | instskip(NEXT) | instid1(VALU_DEP_1)
	v_dual_cndmask_b32 v128, v130, v128 :: v_dual_lshlrev_b32 v129, v129, v25
	v_and_b32_e32 v129, 3, v129
	s_delay_alu instid0(VALU_DEP_2) | instskip(NEXT) | instid1(VALU_DEP_2)
	v_lshl_add_u32 v128, v128, 23, 0x37800000
	v_dual_cndmask_b32 v24, v24, v129 :: v_dual_and_b32 v129, 0x80000000, v131
	s_delay_alu instid0(VALU_DEP_1) | instskip(NEXT) | instid1(VALU_DEP_1)
	v_lshlrev_b32_e32 v24, 21, v24
	v_or3_b32 v24, v129, v128, v24
.LBB4_340:                              ;   in Loop: Header=BB4_144 Depth=2
	s_or_b32 exec_lo, exec_lo, s24
	v_and_b32_e32 v129, 0xff, v21
	s_mov_b32 s11, 0
	s_mov_b32 s25, exec_lo
                                        ; implicit-def: $sgpr24
	s_delay_alu instid0(VALU_DEP_1)
	v_cmpx_lt_i16_e64 0x7f, v129
	s_xor_b32 s25, exec_lo, s25
	s_cbranch_execnz .LBB4_754
; %bb.341:                              ;   in Loop: Header=BB4_144 Depth=2
	s_or_saveexec_b32 s25, s25
	v_mov_b32_e32 v128, s24
	s_xor_b32 exec_lo, exec_lo, s25
	s_cbranch_execnz .LBB4_757
.LBB4_342:                              ;   in Loop: Header=BB4_144 Depth=2
	s_or_b32 exec_lo, exec_lo, s25
	s_and_saveexec_b32 s24, s11
	s_cbranch_execz .LBB4_344
.LBB4_343:                              ;   in Loop: Header=BB4_144 Depth=2
	v_and_b32_e32 v128, 3, v21
	v_bfe_u32 v131, v21, 2, 5
	v_lshlrev_b32_e32 v132, 24, v21
	s_delay_alu instid0(VALU_DEP_3) | instskip(NEXT) | instid1(VALU_DEP_3)
	v_clz_i32_u32_e32 v129, v128
	v_cmp_eq_u32_e32 vcc_lo, 0, v131
	s_delay_alu instid0(VALU_DEP_2) | instskip(NEXT) | instid1(VALU_DEP_1)
	v_min_u32_e32 v129, 32, v129
	v_subrev_nc_u32_e32 v130, 29, v129
	v_sub_nc_u32_e32 v129, 30, v129
	s_delay_alu instid0(VALU_DEP_2) | instskip(NEXT) | instid1(VALU_DEP_1)
	v_lshlrev_b32_e32 v130, v130, v21
	v_dual_cndmask_b32 v129, v131, v129 :: v_dual_and_b32 v130, 3, v130
	s_delay_alu instid0(VALU_DEP_1) | instskip(NEXT) | instid1(VALU_DEP_2)
	v_lshl_add_u32 v129, v129, 23, 0x37800000
	v_cndmask_b32_e32 v128, v128, v130, vcc_lo
	v_and_b32_e32 v130, 0x80000000, v132
	s_delay_alu instid0(VALU_DEP_2) | instskip(NEXT) | instid1(VALU_DEP_1)
	v_lshlrev_b32_e32 v128, 21, v128
	v_or3_b32 v128, v130, v129, v128
.LBB4_344:                              ;   in Loop: Header=BB4_144 Depth=2
	s_or_b32 exec_lo, exec_lo, s24
	s_delay_alu instid0(VALU_DEP_1) | instskip(NEXT) | instid1(VALU_DEP_1)
	v_mul_f32_e32 v128, v24, v128
	v_and_b32_e32 v24, 0x7f800000, v128
	s_delay_alu instid0(VALU_DEP_1)
	v_cmp_ne_u32_e32 vcc_lo, 0x7f800000, v24
	v_mov_b32_e32 v24, 0x80
	s_and_saveexec_b32 s24, vcc_lo
	s_cbranch_execz .LBB4_352
; %bb.345:                              ;   in Loop: Header=BB4_144 Depth=2
	v_mov_b32_e32 v24, 0
	s_mov_b32 s25, exec_lo
	v_cmpx_ne_u32_e32 0, v128
	s_cbranch_execz .LBB4_351
; %bb.346:                              ;   in Loop: Header=BB4_144 Depth=2
	v_bfe_u32 v24, v128, 23, 8
	s_delay_alu instid0(VALU_DEP_1) | instskip(SKIP_1) | instid1(VALU_DEP_2)
	v_sub_nc_u32_e32 v130, 0x70, v24
	v_cmp_gt_u32_e32 vcc_lo, 0x71, v24
	v_dual_cndmask_b32 v130, 0, v130 :: v_dual_and_b32 v129, 0x7fffff, v128
	s_delay_alu instid0(VALU_DEP_1) | instskip(SKIP_2) | instid1(VALU_DEP_4)
	v_or_b32_e32 v131, 0x800000, v129
	v_cmp_eq_u32_e32 vcc_lo, 0, v24
	v_add_nc_u32_e32 v24, 0xffffff91, v24
	v_cndmask_b32_e64 v130, v130, 0x6f, vcc_lo
	s_delay_alu instid0(VALU_DEP_4) | instskip(NEXT) | instid1(VALU_DEP_3)
	v_cndmask_b32_e32 v129, v131, v129, vcc_lo
	v_cndmask_b32_e64 v24, v24, 0xffffff92, vcc_lo
	s_delay_alu instid0(VALU_DEP_3) | instskip(NEXT) | instid1(VALU_DEP_3)
	v_lshl_add_u32 v131, 0x200000, v130, -1
	v_lshrrev_b32_e32 v132, v130, v129
	v_lshlrev_b32_e64 v134, v130, 0x100000
	s_delay_alu instid0(VALU_DEP_4) | instskip(NEXT) | instid1(VALU_DEP_4)
	v_add_nc_u32_e32 v130, v130, v24
	v_and_b32_e32 v129, v131, v129
	s_delay_alu instid0(VALU_DEP_4) | instskip(NEXT) | instid1(VALU_DEP_2)
	v_bfe_u32 v133, v132, 21, 1
	v_cmp_eq_u32_e64 s11, v129, v134
	s_delay_alu instid0(VALU_DEP_2) | instskip(NEXT) | instid1(VALU_DEP_1)
	v_add_nc_u32_e32 v131, -1, v133
	v_cndmask_b32_e64 v129, 0, v131, s11
	v_lshrrev_b32_e32 v131, 23, v132
	s_mov_b32 s11, exec_lo
	s_delay_alu instid0(VALU_DEP_2) | instskip(NEXT) | instid1(VALU_DEP_2)
	v_add_nc_u32_e32 v129, v129, v132
	v_xor_b32_e32 v131, 1, v131
	s_delay_alu instid0(VALU_DEP_2) | instskip(NEXT) | instid1(VALU_DEP_1)
	v_and_b32_e32 v24, 0x1fffff, v129
	v_add_nc_u32_e32 v129, v24, v132
                                        ; implicit-def: $vgpr24
	s_delay_alu instid0(VALU_DEP_3)
	v_cmpx_ne_u32_e64 v130, v131
	s_xor_b32 s11, exec_lo, s11
; %bb.347:                              ;   in Loop: Header=BB4_144 Depth=2
	s_delay_alu instid0(VALU_DEP_2) | instskip(SKIP_2) | instid1(VALU_DEP_2)
	v_cmp_lt_u32_e32 vcc_lo, 0xffffff, v129
	v_sub_nc_u32_e32 v24, v130, v131
	v_cndmask_b32_e64 v130, 0, 1, vcc_lo
	v_add_co_ci_u32_e32 v24, vcc_lo, 0, v24, vcc_lo
	s_delay_alu instid0(VALU_DEP_2)
	v_lshrrev_b32_e32 v129, v130, v129
; %bb.348:                              ;   in Loop: Header=BB4_144 Depth=2
	s_and_not1_saveexec_b32 s11, s11
; %bb.349:                              ;   in Loop: Header=BB4_144 Depth=2
	s_delay_alu instid0(VALU_DEP_1)
	v_bfe_u32 v24, v129, 23, 1
; %bb.350:                              ;   in Loop: Header=BB4_144 Depth=2
	s_or_b32 exec_lo, exec_lo, s11
	v_lshrrev_b32_e32 v129, 21, v129
	s_delay_alu instid0(VALU_DEP_2) | instskip(SKIP_2) | instid1(VALU_DEP_2)
	v_cmp_gt_i32_e32 vcc_lo, 32, v24
	v_lshrrev_b32_e32 v128, 24, v128
	v_min_i32_e32 v130, 31, v24
	v_dual_cndmask_b32 v129, 3, v129 :: v_dual_and_b32 v128, 0x80, v128
	s_delay_alu instid0(VALU_DEP_2) | instskip(NEXT) | instid1(VALU_DEP_2)
	v_lshlrev_b32_e32 v130, 2, v130
	v_or_b32_e32 v24, v24, v129
	s_delay_alu instid0(VALU_DEP_1) | instskip(SKIP_1) | instid1(VALU_DEP_1)
	v_cmp_ne_u32_e32 vcc_lo, 0, v24
	v_and_b32_e32 v131, 3, v129
	v_or3_b32 v128, v130, v128, v131
	s_delay_alu instid0(VALU_DEP_1)
	v_cndmask_b32_e32 v24, 0, v128, vcc_lo
.LBB4_351:                              ;   in Loop: Header=BB4_144 Depth=2
	s_or_b32 exec_lo, exec_lo, s25
.LBB4_352:                              ;   in Loop: Header=BB4_144 Depth=2
	s_delay_alu instid0(SALU_CYCLE_1) | instskip(SKIP_3) | instid1(VALU_DEP_1)
	s_or_b32 exec_lo, exec_lo, s24
	v_lshrrev_b16 v129, 8, v25
	s_mov_b32 s11, 0
	s_mov_b32 s25, exec_lo
                                        ; implicit-def: $sgpr24
	v_cmpx_lt_i16_e64 0x7f, v129
	s_xor_b32 s25, exec_lo, s25
	s_cbranch_execnz .LBB4_758
; %bb.353:                              ;   in Loop: Header=BB4_144 Depth=2
	s_or_saveexec_b32 s25, s25
	v_mov_b32_e32 v128, s24
	s_xor_b32 exec_lo, exec_lo, s25
	s_cbranch_execnz .LBB4_761
.LBB4_354:                              ;   in Loop: Header=BB4_144 Depth=2
	s_or_b32 exec_lo, exec_lo, s25
	s_and_saveexec_b32 s24, s11
	s_cbranch_execz .LBB4_356
.LBB4_355:                              ;   in Loop: Header=BB4_144 Depth=2
	v_and_b32_e32 v128, 0xffff, v129
	s_delay_alu instid0(VALU_DEP_1) | instskip(NEXT) | instid1(VALU_DEP_1)
	v_and_b32_e32 v130, 3, v128
	v_clz_i32_u32_e32 v131, v130
	s_delay_alu instid0(VALU_DEP_1) | instskip(NEXT) | instid1(VALU_DEP_1)
	v_min_u32_e32 v131, 32, v131
	v_subrev_nc_u32_e32 v132, 29, v131
	v_sub_nc_u32_e32 v131, 30, v131
	s_delay_alu instid0(VALU_DEP_2) | instskip(SKIP_1) | instid1(VALU_DEP_2)
	v_lshlrev_b32_e32 v132, v132, v128
	v_bfe_u32 v128, v128, 2, 5
	v_and_b32_e32 v132, 3, v132
	s_delay_alu instid0(VALU_DEP_2) | instskip(SKIP_1) | instid1(VALU_DEP_1)
	v_cmp_eq_u32_e32 vcc_lo, 0, v128
	v_dual_cndmask_b32 v128, v128, v131 :: v_dual_lshlrev_b32 v129, 24, v129
	v_dual_cndmask_b32 v130, v130, v132 :: v_dual_and_b32 v129, 0x80000000, v129
	s_delay_alu instid0(VALU_DEP_2) | instskip(NEXT) | instid1(VALU_DEP_2)
	v_lshl_add_u32 v128, v128, 23, 0x37800000
	v_lshlrev_b32_e32 v130, 21, v130
	s_delay_alu instid0(VALU_DEP_1)
	v_or3_b32 v128, v129, v128, v130
.LBB4_356:                              ;   in Loop: Header=BB4_144 Depth=2
	s_or_b32 exec_lo, exec_lo, s24
	v_lshrrev_b16 v129, 8, v21
	s_mov_b32 s11, 0
	s_mov_b32 s25, exec_lo
                                        ; implicit-def: $sgpr24
	s_delay_alu instid0(VALU_DEP_1)
	v_cmpx_lt_i16_e64 0x7f, v129
	s_xor_b32 s25, exec_lo, s25
	s_cbranch_execnz .LBB4_762
; %bb.357:                              ;   in Loop: Header=BB4_144 Depth=2
	s_or_saveexec_b32 s25, s25
	v_mov_b32_e32 v130, s24
	s_xor_b32 exec_lo, exec_lo, s25
	s_cbranch_execnz .LBB4_765
.LBB4_358:                              ;   in Loop: Header=BB4_144 Depth=2
	s_or_b32 exec_lo, exec_lo, s25
	s_and_saveexec_b32 s24, s11
	s_cbranch_execz .LBB4_360
.LBB4_359:                              ;   in Loop: Header=BB4_144 Depth=2
	v_and_b32_e32 v130, 0xffff, v129
	v_lshlrev_b32_e32 v129, 24, v129
	s_delay_alu instid0(VALU_DEP_2) | instskip(NEXT) | instid1(VALU_DEP_2)
	v_and_b32_e32 v131, 3, v130
	v_and_b32_e32 v129, 0x80000000, v129
	s_delay_alu instid0(VALU_DEP_2) | instskip(NEXT) | instid1(VALU_DEP_1)
	v_clz_i32_u32_e32 v132, v131
	v_min_u32_e32 v132, 32, v132
	s_delay_alu instid0(VALU_DEP_1) | instskip(SKIP_1) | instid1(VALU_DEP_2)
	v_subrev_nc_u32_e32 v133, 29, v132
	v_sub_nc_u32_e32 v132, 30, v132
	v_lshlrev_b32_e32 v133, v133, v130
	v_bfe_u32 v130, v130, 2, 5
	s_delay_alu instid0(VALU_DEP_2) | instskip(NEXT) | instid1(VALU_DEP_2)
	v_and_b32_e32 v133, 3, v133
	v_cmp_eq_u32_e32 vcc_lo, 0, v130
	s_delay_alu instid0(VALU_DEP_2) | instskip(NEXT) | instid1(VALU_DEP_1)
	v_dual_cndmask_b32 v130, v130, v132 :: v_dual_cndmask_b32 v131, v131, v133
	v_lshl_add_u32 v130, v130, 23, 0x37800000
	s_delay_alu instid0(VALU_DEP_2) | instskip(NEXT) | instid1(VALU_DEP_1)
	v_lshlrev_b32_e32 v131, 21, v131
	v_or3_b32 v130, v129, v130, v131
.LBB4_360:                              ;   in Loop: Header=BB4_144 Depth=2
	s_or_b32 exec_lo, exec_lo, s24
	s_delay_alu instid0(VALU_DEP_1) | instskip(NEXT) | instid1(VALU_DEP_1)
	v_mul_f32_e32 v129, v128, v130
	v_and_b32_e32 v128, 0x7f800000, v129
	s_delay_alu instid0(VALU_DEP_1)
	v_cmp_ne_u32_e32 vcc_lo, 0x7f800000, v128
	v_mov_b32_e32 v128, 0x8000
	s_and_saveexec_b32 s24, vcc_lo
	s_cbranch_execz .LBB4_368
; %bb.361:                              ;   in Loop: Header=BB4_144 Depth=2
	v_mov_b32_e32 v128, 0
	s_mov_b32 s25, exec_lo
	v_cmpx_ne_u32_e32 0, v129
	s_cbranch_execz .LBB4_367
; %bb.362:                              ;   in Loop: Header=BB4_144 Depth=2
	v_bfe_u32 v128, v129, 23, 8
	s_delay_alu instid0(VALU_DEP_1) | instskip(SKIP_1) | instid1(VALU_DEP_2)
	v_sub_nc_u32_e32 v131, 0x70, v128
	v_cmp_gt_u32_e32 vcc_lo, 0x71, v128
	v_dual_cndmask_b32 v131, 0, v131 :: v_dual_and_b32 v130, 0x7fffff, v129
	s_delay_alu instid0(VALU_DEP_1) | instskip(SKIP_2) | instid1(VALU_DEP_4)
	v_or_b32_e32 v132, 0x800000, v130
	v_cmp_eq_u32_e32 vcc_lo, 0, v128
	v_add_nc_u32_e32 v128, 0xffffff91, v128
	v_cndmask_b32_e64 v131, v131, 0x6f, vcc_lo
	s_delay_alu instid0(VALU_DEP_2) | instskip(SKIP_1) | instid1(VALU_DEP_3)
	v_cndmask_b32_e64 v128, v128, 0xffffff92, vcc_lo
	v_cndmask_b32_e32 v130, v132, v130, vcc_lo
	v_lshl_add_u32 v132, 0x200000, v131, -1
	v_lshlrev_b32_e64 v135, v131, 0x100000
	s_delay_alu instid0(VALU_DEP_3) | instskip(SKIP_1) | instid1(VALU_DEP_4)
	v_lshrrev_b32_e32 v133, v131, v130
	v_add_nc_u32_e32 v131, v131, v128
	v_and_b32_e32 v130, v132, v130
	s_delay_alu instid0(VALU_DEP_3) | instskip(NEXT) | instid1(VALU_DEP_2)
	v_bfe_u32 v134, v133, 21, 1
	v_cmp_eq_u32_e64 s11, v130, v135
	s_delay_alu instid0(VALU_DEP_2) | instskip(NEXT) | instid1(VALU_DEP_1)
	v_add_nc_u32_e32 v132, -1, v134
	v_cndmask_b32_e64 v130, 0, v132, s11
	v_lshrrev_b32_e32 v132, 23, v133
	s_mov_b32 s11, exec_lo
	s_delay_alu instid0(VALU_DEP_2) | instskip(NEXT) | instid1(VALU_DEP_2)
	v_add_nc_u32_e32 v130, v130, v133
	v_xor_b32_e32 v132, 1, v132
	s_delay_alu instid0(VALU_DEP_2) | instskip(NEXT) | instid1(VALU_DEP_1)
	v_and_b32_e32 v128, 0x1fffff, v130
	v_add_nc_u32_e32 v130, v128, v133
                                        ; implicit-def: $vgpr128
	s_delay_alu instid0(VALU_DEP_3)
	v_cmpx_ne_u32_e64 v131, v132
	s_xor_b32 s11, exec_lo, s11
; %bb.363:                              ;   in Loop: Header=BB4_144 Depth=2
	s_delay_alu instid0(VALU_DEP_2) | instskip(SKIP_2) | instid1(VALU_DEP_2)
	v_cmp_lt_u32_e32 vcc_lo, 0xffffff, v130
	v_sub_nc_u32_e32 v128, v131, v132
	v_cndmask_b32_e64 v131, 0, 1, vcc_lo
	v_add_co_ci_u32_e32 v128, vcc_lo, 0, v128, vcc_lo
	s_delay_alu instid0(VALU_DEP_2)
	v_lshrrev_b32_e32 v130, v131, v130
; %bb.364:                              ;   in Loop: Header=BB4_144 Depth=2
	s_and_not1_saveexec_b32 s11, s11
; %bb.365:                              ;   in Loop: Header=BB4_144 Depth=2
	s_delay_alu instid0(VALU_DEP_1)
	v_bfe_u32 v128, v130, 23, 1
; %bb.366:                              ;   in Loop: Header=BB4_144 Depth=2
	s_or_b32 exec_lo, exec_lo, s11
	v_lshrrev_b32_e32 v130, 21, v130
	s_delay_alu instid0(VALU_DEP_2) | instskip(SKIP_2) | instid1(VALU_DEP_2)
	v_cmp_gt_i32_e32 vcc_lo, 32, v128
	v_min_i32_e32 v131, 31, v128
	v_lshrrev_b32_e32 v129, 24, v129
	v_dual_cndmask_b32 v130, 3, v130 :: v_dual_lshlrev_b32 v131, 2, v131
	s_delay_alu instid0(VALU_DEP_2) | instskip(NEXT) | instid1(VALU_DEP_2)
	v_and_b32_e32 v129, 0x80, v129
	v_or_b32_e32 v128, v128, v130
	v_and_b32_e32 v132, 3, v130
	s_delay_alu instid0(VALU_DEP_2) | instskip(SKIP_1) | instid1(VALU_DEP_1)
	v_cmp_ne_u32_e32 vcc_lo, 0, v128
	v_and_b32_e32 v131, 0xfc, v131
	v_or3_b32 v129, v129, v131, v132
	s_delay_alu instid0(VALU_DEP_1) | instskip(NEXT) | instid1(VALU_DEP_1)
	v_lshlrev_b32_e32 v129, 8, v129
	v_cndmask_b32_e32 v128, 0, v129, vcc_lo
.LBB4_367:                              ;   in Loop: Header=BB4_144 Depth=2
	s_or_b32 exec_lo, exec_lo, s25
.LBB4_368:                              ;   in Loop: Header=BB4_144 Depth=2
	s_delay_alu instid0(SALU_CYCLE_1) | instskip(SKIP_3) | instid1(VALU_DEP_1)
	s_or_b32 exec_lo, exec_lo, s24
	v_lshrrev_b32_e32 v130, 16, v25
	s_mov_b32 s11, 0
	s_mov_b32 s25, exec_lo
                                        ; implicit-def: $sgpr24
	v_and_b32_e32 v131, 0xff, v130
	s_delay_alu instid0(VALU_DEP_1)
	v_cmpx_lt_i16_e64 0x7f, v131
	s_xor_b32 s25, exec_lo, s25
	s_cbranch_execnz .LBB4_766
; %bb.369:                              ;   in Loop: Header=BB4_144 Depth=2
	s_or_saveexec_b32 s25, s25
	v_mov_b32_e32 v129, s24
	s_xor_b32 exec_lo, exec_lo, s25
	s_cbranch_execnz .LBB4_769
.LBB4_370:                              ;   in Loop: Header=BB4_144 Depth=2
	s_or_b32 exec_lo, exec_lo, s25
	s_and_saveexec_b32 s24, s11
	s_cbranch_execz .LBB4_372
.LBB4_371:                              ;   in Loop: Header=BB4_144 Depth=2
	v_bfe_u32 v129, v25, 16, 2
	v_lshlrev_b32_e32 v133, 8, v25
	s_delay_alu instid0(VALU_DEP_2) | instskip(NEXT) | instid1(VALU_DEP_1)
	v_clz_i32_u32_e32 v131, v129
	v_min_u32_e32 v131, 32, v131
	s_delay_alu instid0(VALU_DEP_1) | instskip(SKIP_1) | instid1(VALU_DEP_2)
	v_subrev_nc_u32_e32 v132, 29, v131
	v_sub_nc_u32_e32 v131, 30, v131
	v_lshlrev_b32_e32 v130, v132, v130
	v_bfe_u32 v132, v25, 18, 5
	s_delay_alu instid0(VALU_DEP_1) | instskip(NEXT) | instid1(VALU_DEP_3)
	v_cmp_eq_u32_e32 vcc_lo, 0, v132
	v_dual_cndmask_b32 v131, v132, v131 :: v_dual_and_b32 v130, 3, v130
	s_delay_alu instid0(VALU_DEP_1) | instskip(NEXT) | instid1(VALU_DEP_2)
	v_dual_cndmask_b32 v129, v129, v130 :: v_dual_and_b32 v130, 0x80000000, v133
	v_lshl_add_u32 v131, v131, 23, 0x37800000
	s_delay_alu instid0(VALU_DEP_2) | instskip(NEXT) | instid1(VALU_DEP_1)
	v_lshlrev_b32_e32 v129, 21, v129
	v_or3_b32 v129, v130, v131, v129
.LBB4_372:                              ;   in Loop: Header=BB4_144 Depth=2
	s_or_b32 exec_lo, exec_lo, s24
	v_lshrrev_b32_e32 v130, 16, v21
	s_mov_b32 s11, 0
	s_mov_b32 s25, exec_lo
                                        ; implicit-def: $sgpr24
	s_delay_alu instid0(VALU_DEP_1) | instskip(NEXT) | instid1(VALU_DEP_1)
	v_and_b32_e32 v132, 0xff, v130
	v_cmpx_lt_i16_e64 0x7f, v132
	s_xor_b32 s25, exec_lo, s25
	s_cbranch_execnz .LBB4_770
; %bb.373:                              ;   in Loop: Header=BB4_144 Depth=2
	s_or_saveexec_b32 s25, s25
	v_mov_b32_e32 v131, s24
	s_xor_b32 exec_lo, exec_lo, s25
	s_cbranch_execnz .LBB4_773
.LBB4_374:                              ;   in Loop: Header=BB4_144 Depth=2
	s_or_b32 exec_lo, exec_lo, s25
	s_and_saveexec_b32 s24, s11
	s_cbranch_execz .LBB4_376
.LBB4_375:                              ;   in Loop: Header=BB4_144 Depth=2
	v_bfe_u32 v131, v21, 16, 2
	v_lshlrev_b32_e32 v134, 8, v21
	s_delay_alu instid0(VALU_DEP_2) | instskip(NEXT) | instid1(VALU_DEP_1)
	v_clz_i32_u32_e32 v132, v131
	v_min_u32_e32 v132, 32, v132
	s_delay_alu instid0(VALU_DEP_1) | instskip(SKIP_1) | instid1(VALU_DEP_2)
	v_subrev_nc_u32_e32 v133, 29, v132
	v_sub_nc_u32_e32 v132, 30, v132
	v_lshlrev_b32_e32 v130, v133, v130
	v_bfe_u32 v133, v21, 18, 5
	s_delay_alu instid0(VALU_DEP_2) | instskip(NEXT) | instid1(VALU_DEP_2)
	v_and_b32_e32 v130, 3, v130
	v_cmp_eq_u32_e32 vcc_lo, 0, v133
	v_cndmask_b32_e32 v132, v133, v132, vcc_lo
	s_delay_alu instid0(VALU_DEP_3) | instskip(SKIP_1) | instid1(VALU_DEP_3)
	v_cndmask_b32_e32 v130, v131, v130, vcc_lo
	v_and_b32_e32 v131, 0x80000000, v134
	v_lshl_add_u32 v132, v132, 23, 0x37800000
	s_delay_alu instid0(VALU_DEP_3) | instskip(NEXT) | instid1(VALU_DEP_1)
	v_lshlrev_b32_e32 v130, 21, v130
	v_or3_b32 v131, v131, v132, v130
.LBB4_376:                              ;   in Loop: Header=BB4_144 Depth=2
	s_or_b32 exec_lo, exec_lo, s24
	s_delay_alu instid0(VALU_DEP_1) | instskip(NEXT) | instid1(VALU_DEP_1)
	v_mul_f32_e32 v130, v129, v131
	v_and_b32_e32 v129, 0x7f800000, v130
	s_delay_alu instid0(VALU_DEP_1)
	v_cmp_ne_u32_e32 vcc_lo, 0x7f800000, v129
	v_mov_b32_e32 v129, 0x80
	s_and_saveexec_b32 s24, vcc_lo
	s_cbranch_execz .LBB4_384
; %bb.377:                              ;   in Loop: Header=BB4_144 Depth=2
	v_mov_b32_e32 v129, 0
	s_mov_b32 s25, exec_lo
	v_cmpx_ne_u32_e32 0, v130
	s_cbranch_execz .LBB4_383
; %bb.378:                              ;   in Loop: Header=BB4_144 Depth=2
	v_bfe_u32 v129, v130, 23, 8
	s_delay_alu instid0(VALU_DEP_1) | instskip(SKIP_1) | instid1(VALU_DEP_2)
	v_sub_nc_u32_e32 v132, 0x70, v129
	v_cmp_gt_u32_e32 vcc_lo, 0x71, v129
	v_dual_cndmask_b32 v132, 0, v132 :: v_dual_and_b32 v131, 0x7fffff, v130
	s_delay_alu instid0(VALU_DEP_1) | instskip(SKIP_2) | instid1(VALU_DEP_4)
	v_or_b32_e32 v133, 0x800000, v131
	v_cmp_eq_u32_e32 vcc_lo, 0, v129
	v_add_nc_u32_e32 v129, 0xffffff91, v129
	v_cndmask_b32_e64 v132, v132, 0x6f, vcc_lo
	s_delay_alu instid0(VALU_DEP_2) | instskip(SKIP_1) | instid1(VALU_DEP_3)
	v_cndmask_b32_e64 v129, v129, 0xffffff92, vcc_lo
	v_cndmask_b32_e32 v131, v133, v131, vcc_lo
	v_lshl_add_u32 v133, 0x200000, v132, -1
	v_lshlrev_b32_e64 v144, v132, 0x100000
	s_delay_alu instid0(VALU_DEP_3) | instskip(SKIP_1) | instid1(VALU_DEP_4)
	v_lshrrev_b32_e32 v134, v132, v131
	v_add_nc_u32_e32 v132, v132, v129
	v_and_b32_e32 v131, v133, v131
	s_delay_alu instid0(VALU_DEP_3) | instskip(NEXT) | instid1(VALU_DEP_2)
	v_bfe_u32 v135, v134, 21, 1
	v_cmp_eq_u32_e64 s11, v131, v144
	s_delay_alu instid0(VALU_DEP_2) | instskip(NEXT) | instid1(VALU_DEP_1)
	v_add_nc_u32_e32 v133, -1, v135
	v_cndmask_b32_e64 v131, 0, v133, s11
	v_lshrrev_b32_e32 v133, 23, v134
	s_mov_b32 s11, exec_lo
	s_delay_alu instid0(VALU_DEP_2) | instskip(NEXT) | instid1(VALU_DEP_2)
	v_add_nc_u32_e32 v131, v131, v134
	v_xor_b32_e32 v133, 1, v133
	s_delay_alu instid0(VALU_DEP_2) | instskip(NEXT) | instid1(VALU_DEP_1)
	v_and_b32_e32 v129, 0x1fffff, v131
	v_add_nc_u32_e32 v131, v129, v134
                                        ; implicit-def: $vgpr129
	s_delay_alu instid0(VALU_DEP_3)
	v_cmpx_ne_u32_e64 v132, v133
	s_xor_b32 s11, exec_lo, s11
; %bb.379:                              ;   in Loop: Header=BB4_144 Depth=2
	s_delay_alu instid0(VALU_DEP_2) | instskip(SKIP_2) | instid1(VALU_DEP_2)
	v_cmp_lt_u32_e32 vcc_lo, 0xffffff, v131
	v_sub_nc_u32_e32 v129, v132, v133
	v_cndmask_b32_e64 v132, 0, 1, vcc_lo
	v_add_co_ci_u32_e32 v129, vcc_lo, 0, v129, vcc_lo
	s_delay_alu instid0(VALU_DEP_2)
	v_lshrrev_b32_e32 v131, v132, v131
; %bb.380:                              ;   in Loop: Header=BB4_144 Depth=2
	s_and_not1_saveexec_b32 s11, s11
; %bb.381:                              ;   in Loop: Header=BB4_144 Depth=2
	s_delay_alu instid0(VALU_DEP_1)
	v_bfe_u32 v129, v131, 23, 1
; %bb.382:                              ;   in Loop: Header=BB4_144 Depth=2
	s_or_b32 exec_lo, exec_lo, s11
	v_lshrrev_b32_e32 v131, 21, v131
	s_delay_alu instid0(VALU_DEP_2) | instskip(SKIP_2) | instid1(VALU_DEP_2)
	v_cmp_gt_i32_e32 vcc_lo, 32, v129
	v_min_i32_e32 v132, 31, v129
	v_lshrrev_b32_e32 v130, 24, v130
	v_dual_cndmask_b32 v131, 3, v131 :: v_dual_lshlrev_b32 v132, 2, v132
	s_delay_alu instid0(VALU_DEP_2) | instskip(NEXT) | instid1(VALU_DEP_2)
	v_and_b32_e32 v130, 0x80, v130
	v_or_b32_e32 v129, v129, v131
	v_and_b32_e32 v133, 3, v131
	s_delay_alu instid0(VALU_DEP_2) | instskip(SKIP_1) | instid1(VALU_DEP_1)
	v_cmp_ne_u32_e32 vcc_lo, 0, v129
	v_and_b32_e32 v132, 0xfc, v132
	v_or3_b32 v130, v132, v130, v133
	s_delay_alu instid0(VALU_DEP_1)
	v_cndmask_b32_e32 v129, 0, v130, vcc_lo
.LBB4_383:                              ;   in Loop: Header=BB4_144 Depth=2
	s_or_b32 exec_lo, exec_lo, s25
.LBB4_384:                              ;   in Loop: Header=BB4_144 Depth=2
	s_delay_alu instid0(SALU_CYCLE_1) | instskip(SKIP_3) | instid1(VALU_DEP_1)
	s_or_b32 exec_lo, exec_lo, s24
	v_lshrrev_b32_e32 v131, 24, v25
	s_mov_b32 s11, 0
	s_mov_b32 s25, exec_lo
                                        ; implicit-def: $sgpr24
	v_cmpx_lt_i16_e64 0x7f, v131
	s_xor_b32 s25, exec_lo, s25
	s_cbranch_execnz .LBB4_774
; %bb.385:                              ;   in Loop: Header=BB4_144 Depth=2
	s_or_saveexec_b32 s25, s25
	v_mov_b32_e32 v130, s24
	s_xor_b32 exec_lo, exec_lo, s25
	s_cbranch_execnz .LBB4_777
.LBB4_386:                              ;   in Loop: Header=BB4_144 Depth=2
	s_or_b32 exec_lo, exec_lo, s25
	s_and_saveexec_b32 s24, s11
	s_cbranch_execz .LBB4_388
.LBB4_387:                              ;   in Loop: Header=BB4_144 Depth=2
	v_bfe_u32 v130, v25, 24, 2
	s_delay_alu instid0(VALU_DEP_1) | instskip(NEXT) | instid1(VALU_DEP_1)
	v_clz_i32_u32_e32 v132, v130
	v_min_u32_e32 v132, 32, v132
	s_delay_alu instid0(VALU_DEP_1) | instskip(SKIP_1) | instid1(VALU_DEP_2)
	v_subrev_nc_u32_e32 v133, 29, v132
	v_sub_nc_u32_e32 v132, 30, v132
	v_lshlrev_b32_e32 v131, v133, v131
	v_bfe_u32 v133, v25, 26, 5
	v_and_b32_e32 v25, 0x80000000, v25
	s_delay_alu instid0(VALU_DEP_2) | instskip(NEXT) | instid1(VALU_DEP_4)
	v_cmp_eq_u32_e32 vcc_lo, 0, v133
	v_dual_cndmask_b32 v132, v133, v132 :: v_dual_and_b32 v131, 3, v131
	s_delay_alu instid0(VALU_DEP_1) | instskip(NEXT) | instid1(VALU_DEP_2)
	v_cndmask_b32_e32 v130, v130, v131, vcc_lo
	v_lshl_add_u32 v131, v132, 23, 0x37800000
	s_delay_alu instid0(VALU_DEP_2) | instskip(NEXT) | instid1(VALU_DEP_1)
	v_lshlrev_b32_e32 v130, 21, v130
	v_or3_b32 v130, v25, v131, v130
.LBB4_388:                              ;   in Loop: Header=BB4_144 Depth=2
	s_or_b32 exec_lo, exec_lo, s24
	v_lshrrev_b32_e32 v25, 24, v21
	s_mov_b32 s11, 0
	s_mov_b32 s25, exec_lo
                                        ; implicit-def: $sgpr24
	s_delay_alu instid0(VALU_DEP_1)
	v_cmpx_lt_i16_e32 0x7f, v25
	s_xor_b32 s25, exec_lo, s25
	s_cbranch_execnz .LBB4_778
; %bb.389:                              ;   in Loop: Header=BB4_144 Depth=2
	s_or_saveexec_b32 s25, s25
	v_mov_b32_e32 v131, s24
	s_xor_b32 exec_lo, exec_lo, s25
	s_cbranch_execnz .LBB4_781
.LBB4_390:                              ;   in Loop: Header=BB4_144 Depth=2
	s_or_b32 exec_lo, exec_lo, s25
	s_and_saveexec_b32 s24, s11
	s_cbranch_execz .LBB4_392
.LBB4_391:                              ;   in Loop: Header=BB4_144 Depth=2
	v_bfe_u32 v131, v21, 24, 2
	s_delay_alu instid0(VALU_DEP_1) | instskip(NEXT) | instid1(VALU_DEP_1)
	v_clz_i32_u32_e32 v132, v131
	v_min_u32_e32 v132, 32, v132
	s_delay_alu instid0(VALU_DEP_1) | instskip(SKIP_1) | instid1(VALU_DEP_2)
	v_subrev_nc_u32_e32 v133, 29, v132
	v_sub_nc_u32_e32 v132, 30, v132
	v_lshlrev_b32_e32 v25, v133, v25
	v_bfe_u32 v133, v21, 26, 5
	v_and_b32_e32 v21, 0x80000000, v21
	s_delay_alu instid0(VALU_DEP_2) | instskip(NEXT) | instid1(VALU_DEP_4)
	v_cmp_eq_u32_e32 vcc_lo, 0, v133
	v_dual_cndmask_b32 v132, v133, v132 :: v_dual_and_b32 v25, 3, v25
	s_delay_alu instid0(VALU_DEP_1) | instskip(NEXT) | instid1(VALU_DEP_2)
	v_cndmask_b32_e32 v25, v131, v25, vcc_lo
	v_lshl_add_u32 v131, v132, 23, 0x37800000
	s_delay_alu instid0(VALU_DEP_2) | instskip(NEXT) | instid1(VALU_DEP_1)
	v_lshlrev_b32_e32 v25, 21, v25
	v_or3_b32 v131, v21, v131, v25
.LBB4_392:                              ;   in Loop: Header=BB4_144 Depth=2
	s_or_b32 exec_lo, exec_lo, s24
	s_delay_alu instid0(VALU_DEP_1) | instskip(NEXT) | instid1(VALU_DEP_1)
	v_mul_f32_e32 v25, v130, v131
	v_and_b32_e32 v21, 0x7f800000, v25
	s_delay_alu instid0(VALU_DEP_1)
	v_cmp_ne_u32_e32 vcc_lo, 0x7f800000, v21
	v_mov_b32_e32 v21, 0x8000
	s_and_saveexec_b32 s24, vcc_lo
	s_cbranch_execz .LBB4_400
; %bb.393:                              ;   in Loop: Header=BB4_144 Depth=2
	v_mov_b32_e32 v21, 0
	s_mov_b32 s25, exec_lo
	v_cmpx_ne_u32_e32 0, v25
	s_cbranch_execz .LBB4_399
; %bb.394:                              ;   in Loop: Header=BB4_144 Depth=2
	v_bfe_u32 v21, v25, 23, 8
	s_delay_alu instid0(VALU_DEP_1) | instskip(SKIP_1) | instid1(VALU_DEP_2)
	v_sub_nc_u32_e32 v131, 0x70, v21
	v_cmp_gt_u32_e32 vcc_lo, 0x71, v21
	v_dual_cndmask_b32 v131, 0, v131 :: v_dual_and_b32 v130, 0x7fffff, v25
	s_delay_alu instid0(VALU_DEP_1) | instskip(SKIP_2) | instid1(VALU_DEP_4)
	v_or_b32_e32 v132, 0x800000, v130
	v_cmp_eq_u32_e32 vcc_lo, 0, v21
	v_add_nc_u32_e32 v21, 0xffffff91, v21
	v_cndmask_b32_e64 v131, v131, 0x6f, vcc_lo
	s_delay_alu instid0(VALU_DEP_4) | instskip(NEXT) | instid1(VALU_DEP_3)
	v_cndmask_b32_e32 v130, v132, v130, vcc_lo
	v_cndmask_b32_e64 v21, v21, 0xffffff92, vcc_lo
	s_delay_alu instid0(VALU_DEP_3) | instskip(NEXT) | instid1(VALU_DEP_3)
	v_lshl_add_u32 v132, 0x200000, v131, -1
	v_lshrrev_b32_e32 v133, v131, v130
	v_lshlrev_b32_e64 v135, v131, 0x100000
	s_delay_alu instid0(VALU_DEP_4) | instskip(NEXT) | instid1(VALU_DEP_4)
	v_add_nc_u32_e32 v131, v131, v21
	v_and_b32_e32 v130, v132, v130
	s_delay_alu instid0(VALU_DEP_4) | instskip(NEXT) | instid1(VALU_DEP_2)
	v_bfe_u32 v134, v133, 21, 1
	v_cmp_eq_u32_e64 s11, v130, v135
	s_delay_alu instid0(VALU_DEP_2) | instskip(NEXT) | instid1(VALU_DEP_1)
	v_add_nc_u32_e32 v132, -1, v134
	v_cndmask_b32_e64 v130, 0, v132, s11
	v_lshrrev_b32_e32 v132, 23, v133
	s_mov_b32 s11, exec_lo
	s_delay_alu instid0(VALU_DEP_2) | instskip(NEXT) | instid1(VALU_DEP_2)
	v_add_nc_u32_e32 v130, v130, v133
	v_xor_b32_e32 v132, 1, v132
	s_delay_alu instid0(VALU_DEP_2) | instskip(NEXT) | instid1(VALU_DEP_1)
	v_and_b32_e32 v21, 0x1fffff, v130
	v_add_nc_u32_e32 v130, v21, v133
                                        ; implicit-def: $vgpr21
	s_delay_alu instid0(VALU_DEP_3)
	v_cmpx_ne_u32_e64 v131, v132
	s_xor_b32 s11, exec_lo, s11
; %bb.395:                              ;   in Loop: Header=BB4_144 Depth=2
	s_delay_alu instid0(VALU_DEP_2) | instskip(SKIP_2) | instid1(VALU_DEP_2)
	v_cmp_lt_u32_e32 vcc_lo, 0xffffff, v130
	v_sub_nc_u32_e32 v21, v131, v132
	v_cndmask_b32_e64 v131, 0, 1, vcc_lo
	v_add_co_ci_u32_e32 v21, vcc_lo, 0, v21, vcc_lo
	s_delay_alu instid0(VALU_DEP_2)
	v_lshrrev_b32_e32 v130, v131, v130
; %bb.396:                              ;   in Loop: Header=BB4_144 Depth=2
	s_and_not1_saveexec_b32 s11, s11
; %bb.397:                              ;   in Loop: Header=BB4_144 Depth=2
	s_delay_alu instid0(VALU_DEP_1)
	v_bfe_u32 v21, v130, 23, 1
; %bb.398:                              ;   in Loop: Header=BB4_144 Depth=2
	s_or_b32 exec_lo, exec_lo, s11
	v_lshrrev_b32_e32 v130, 21, v130
	s_delay_alu instid0(VALU_DEP_2) | instskip(SKIP_2) | instid1(VALU_DEP_2)
	v_cmp_gt_i32_e32 vcc_lo, 32, v21
	v_min_i32_e32 v131, 31, v21
	v_lshrrev_b32_e32 v25, 24, v25
	v_dual_cndmask_b32 v130, 3, v130 :: v_dual_lshlrev_b32 v131, 2, v131
	s_delay_alu instid0(VALU_DEP_2) | instskip(NEXT) | instid1(VALU_DEP_2)
	v_and_b32_e32 v25, 0x80, v25
	v_or_b32_e32 v21, v21, v130
	s_delay_alu instid0(VALU_DEP_3) | instskip(NEXT) | instid1(VALU_DEP_2)
	v_and_b32_e32 v131, 0xfc, v131
	v_cmp_ne_u32_e32 vcc_lo, 0, v21
	v_and_b32_e32 v132, 3, v130
	s_delay_alu instid0(VALU_DEP_1) | instskip(NEXT) | instid1(VALU_DEP_1)
	v_or3_b32 v25, v25, v131, v132
	v_lshlrev_b32_e32 v25, 8, v25
	s_delay_alu instid0(VALU_DEP_1)
	v_cndmask_b32_e32 v21, 0, v25, vcc_lo
.LBB4_399:                              ;   in Loop: Header=BB4_144 Depth=2
	s_or_b32 exec_lo, exec_lo, s25
.LBB4_400:                              ;   in Loop: Header=BB4_144 Depth=2
	s_delay_alu instid0(SALU_CYCLE_1) | instskip(SKIP_3) | instid1(VALU_DEP_1)
	s_or_b32 exec_lo, exec_lo, s24
	v_and_b32_e32 v130, 0xff, v14
	s_mov_b32 s11, 0
	s_mov_b32 s25, exec_lo
                                        ; implicit-def: $sgpr24
	v_cmpx_lt_i16_e64 0x7f, v130
	s_xor_b32 s25, exec_lo, s25
	s_cbranch_execnz .LBB4_782
; %bb.401:                              ;   in Loop: Header=BB4_144 Depth=2
	s_or_saveexec_b32 s25, s25
	v_mov_b32_e32 v25, s24
	s_xor_b32 exec_lo, exec_lo, s25
	s_cbranch_execnz .LBB4_785
.LBB4_402:                              ;   in Loop: Header=BB4_144 Depth=2
	s_or_b32 exec_lo, exec_lo, s25
	s_and_saveexec_b32 s24, s11
	s_cbranch_execz .LBB4_404
.LBB4_403:                              ;   in Loop: Header=BB4_144 Depth=2
	v_and_b32_e32 v25, 3, v14
	v_bfe_u32 v132, v14, 2, 5
	v_lshlrev_b32_e32 v133, 24, v14
	s_delay_alu instid0(VALU_DEP_3) | instskip(NEXT) | instid1(VALU_DEP_3)
	v_clz_i32_u32_e32 v130, v25
	v_cmp_eq_u32_e32 vcc_lo, 0, v132
	s_delay_alu instid0(VALU_DEP_2) | instskip(NEXT) | instid1(VALU_DEP_1)
	v_min_u32_e32 v130, 32, v130
	v_subrev_nc_u32_e32 v131, 29, v130
	v_sub_nc_u32_e32 v130, 30, v130
	s_delay_alu instid0(VALU_DEP_2) | instskip(NEXT) | instid1(VALU_DEP_1)
	v_lshlrev_b32_e32 v131, v131, v14
	v_dual_cndmask_b32 v130, v132, v130 :: v_dual_and_b32 v131, 3, v131
	s_delay_alu instid0(VALU_DEP_1) | instskip(NEXT) | instid1(VALU_DEP_2)
	v_lshl_add_u32 v130, v130, 23, 0x37800000
	v_cndmask_b32_e32 v25, v25, v131, vcc_lo
	v_and_b32_e32 v131, 0x80000000, v133
	s_delay_alu instid0(VALU_DEP_2) | instskip(NEXT) | instid1(VALU_DEP_1)
	v_lshlrev_b32_e32 v25, 21, v25
	v_or3_b32 v25, v131, v130, v25
.LBB4_404:                              ;   in Loop: Header=BB4_144 Depth=2
	s_or_b32 exec_lo, exec_lo, s24
	s_waitcnt vmcnt(0)
	v_and_b32_e32 v131, 0xff, v10
	s_mov_b32 s11, 0
	s_mov_b32 s25, exec_lo
                                        ; implicit-def: $sgpr24
	s_delay_alu instid0(VALU_DEP_1)
	v_cmpx_lt_i16_e64 0x7f, v131
	s_xor_b32 s25, exec_lo, s25
	s_cbranch_execnz .LBB4_786
; %bb.405:                              ;   in Loop: Header=BB4_144 Depth=2
	s_or_saveexec_b32 s25, s25
	v_mov_b32_e32 v130, s24
	s_xor_b32 exec_lo, exec_lo, s25
	s_cbranch_execnz .LBB4_789
.LBB4_406:                              ;   in Loop: Header=BB4_144 Depth=2
	s_or_b32 exec_lo, exec_lo, s25
	s_and_saveexec_b32 s24, s11
	s_cbranch_execz .LBB4_408
.LBB4_407:                              ;   in Loop: Header=BB4_144 Depth=2
	v_bfe_u32 v133, v10, 2, 5
	v_lshlrev_b32_e32 v134, 24, v10
	s_delay_alu instid0(VALU_DEP_2) | instskip(SKIP_1) | instid1(VALU_DEP_1)
	v_cmp_eq_u32_e32 vcc_lo, 0, v133
	v_and_b32_e32 v130, 3, v10
	v_clz_i32_u32_e32 v131, v130
	s_delay_alu instid0(VALU_DEP_1) | instskip(NEXT) | instid1(VALU_DEP_1)
	v_min_u32_e32 v131, 32, v131
	v_subrev_nc_u32_e32 v132, 29, v131
	v_sub_nc_u32_e32 v131, 30, v131
	s_delay_alu instid0(VALU_DEP_1) | instskip(NEXT) | instid1(VALU_DEP_1)
	v_dual_cndmask_b32 v131, v133, v131 :: v_dual_lshlrev_b32 v132, v132, v10
	v_and_b32_e32 v132, 3, v132
	s_delay_alu instid0(VALU_DEP_2) | instskip(NEXT) | instid1(VALU_DEP_2)
	v_lshl_add_u32 v131, v131, 23, 0x37800000
	v_cndmask_b32_e32 v130, v130, v132, vcc_lo
	v_and_b32_e32 v132, 0x80000000, v134
	s_delay_alu instid0(VALU_DEP_2) | instskip(NEXT) | instid1(VALU_DEP_1)
	v_lshlrev_b32_e32 v130, 21, v130
	v_or3_b32 v130, v132, v131, v130
.LBB4_408:                              ;   in Loop: Header=BB4_144 Depth=2
	s_or_b32 exec_lo, exec_lo, s24
	s_delay_alu instid0(VALU_DEP_1) | instskip(NEXT) | instid1(VALU_DEP_1)
	v_mul_f32_e32 v130, v25, v130
	v_and_b32_e32 v25, 0x7f800000, v130
	s_delay_alu instid0(VALU_DEP_1)
	v_cmp_ne_u32_e32 vcc_lo, 0x7f800000, v25
	v_mov_b32_e32 v25, 0x80
	s_and_saveexec_b32 s24, vcc_lo
	s_cbranch_execz .LBB4_416
; %bb.409:                              ;   in Loop: Header=BB4_144 Depth=2
	v_mov_b32_e32 v25, 0
	s_mov_b32 s25, exec_lo
	v_cmpx_ne_u32_e32 0, v130
	s_cbranch_execz .LBB4_415
; %bb.410:                              ;   in Loop: Header=BB4_144 Depth=2
	v_bfe_u32 v25, v130, 23, 8
	s_delay_alu instid0(VALU_DEP_1) | instskip(SKIP_1) | instid1(VALU_DEP_2)
	v_sub_nc_u32_e32 v132, 0x70, v25
	v_cmp_gt_u32_e32 vcc_lo, 0x71, v25
	v_dual_cndmask_b32 v132, 0, v132 :: v_dual_and_b32 v131, 0x7fffff, v130
	s_delay_alu instid0(VALU_DEP_1) | instskip(SKIP_2) | instid1(VALU_DEP_4)
	v_or_b32_e32 v133, 0x800000, v131
	v_cmp_eq_u32_e32 vcc_lo, 0, v25
	v_add_nc_u32_e32 v25, 0xffffff91, v25
	v_cndmask_b32_e64 v132, v132, 0x6f, vcc_lo
	s_delay_alu instid0(VALU_DEP_2) | instskip(SKIP_1) | instid1(VALU_DEP_3)
	v_cndmask_b32_e64 v25, v25, 0xffffff92, vcc_lo
	v_cndmask_b32_e32 v131, v133, v131, vcc_lo
	v_lshl_add_u32 v133, 0x200000, v132, -1
	v_lshlrev_b32_e64 v144, v132, 0x100000
	s_delay_alu instid0(VALU_DEP_3) | instskip(SKIP_1) | instid1(VALU_DEP_4)
	v_lshrrev_b32_e32 v134, v132, v131
	v_add_nc_u32_e32 v132, v132, v25
	v_and_b32_e32 v131, v133, v131
	s_delay_alu instid0(VALU_DEP_3) | instskip(NEXT) | instid1(VALU_DEP_2)
	v_bfe_u32 v135, v134, 21, 1
	v_cmp_eq_u32_e64 s11, v131, v144
	s_delay_alu instid0(VALU_DEP_2) | instskip(NEXT) | instid1(VALU_DEP_1)
	v_add_nc_u32_e32 v133, -1, v135
	v_cndmask_b32_e64 v131, 0, v133, s11
	v_lshrrev_b32_e32 v133, 23, v134
	s_mov_b32 s11, exec_lo
	s_delay_alu instid0(VALU_DEP_2) | instskip(NEXT) | instid1(VALU_DEP_2)
	v_add_nc_u32_e32 v131, v131, v134
	v_xor_b32_e32 v133, 1, v133
	s_delay_alu instid0(VALU_DEP_2) | instskip(NEXT) | instid1(VALU_DEP_1)
	v_and_b32_e32 v25, 0x1fffff, v131
	v_add_nc_u32_e32 v131, v25, v134
                                        ; implicit-def: $vgpr25
	s_delay_alu instid0(VALU_DEP_3)
	v_cmpx_ne_u32_e64 v132, v133
	s_xor_b32 s11, exec_lo, s11
; %bb.411:                              ;   in Loop: Header=BB4_144 Depth=2
	s_delay_alu instid0(VALU_DEP_2) | instskip(SKIP_2) | instid1(VALU_DEP_2)
	v_cmp_lt_u32_e32 vcc_lo, 0xffffff, v131
	v_sub_nc_u32_e32 v25, v132, v133
	v_cndmask_b32_e64 v132, 0, 1, vcc_lo
	v_add_co_ci_u32_e32 v25, vcc_lo, 0, v25, vcc_lo
	s_delay_alu instid0(VALU_DEP_2)
	v_lshrrev_b32_e32 v131, v132, v131
; %bb.412:                              ;   in Loop: Header=BB4_144 Depth=2
	s_and_not1_saveexec_b32 s11, s11
; %bb.413:                              ;   in Loop: Header=BB4_144 Depth=2
	s_delay_alu instid0(VALU_DEP_1)
	v_bfe_u32 v25, v131, 23, 1
; %bb.414:                              ;   in Loop: Header=BB4_144 Depth=2
	s_or_b32 exec_lo, exec_lo, s11
	v_lshrrev_b32_e32 v131, 21, v131
	s_delay_alu instid0(VALU_DEP_2) | instskip(SKIP_2) | instid1(VALU_DEP_2)
	v_cmp_gt_i32_e32 vcc_lo, 32, v25
	v_lshrrev_b32_e32 v130, 24, v130
	v_min_i32_e32 v132, 31, v25
	v_dual_cndmask_b32 v131, 3, v131 :: v_dual_and_b32 v130, 0x80, v130
	s_delay_alu instid0(VALU_DEP_1) | instskip(SKIP_1) | instid1(VALU_DEP_2)
	v_or_b32_e32 v25, v25, v131
	v_and_b32_e32 v133, 3, v131
	v_cmp_ne_u32_e32 vcc_lo, 0, v25
	v_lshlrev_b32_e32 v132, 2, v132
	s_delay_alu instid0(VALU_DEP_1) | instskip(NEXT) | instid1(VALU_DEP_1)
	v_or3_b32 v130, v132, v130, v133
	v_cndmask_b32_e32 v25, 0, v130, vcc_lo
.LBB4_415:                              ;   in Loop: Header=BB4_144 Depth=2
	s_or_b32 exec_lo, exec_lo, s25
.LBB4_416:                              ;   in Loop: Header=BB4_144 Depth=2
	s_delay_alu instid0(SALU_CYCLE_1) | instskip(SKIP_3) | instid1(VALU_DEP_1)
	s_or_b32 exec_lo, exec_lo, s24
	v_lshrrev_b16 v131, 8, v14
	s_mov_b32 s11, 0
	s_mov_b32 s25, exec_lo
                                        ; implicit-def: $sgpr24
	v_cmpx_lt_i16_e64 0x7f, v131
	s_xor_b32 s25, exec_lo, s25
	s_cbranch_execnz .LBB4_790
; %bb.417:                              ;   in Loop: Header=BB4_144 Depth=2
	s_or_saveexec_b32 s25, s25
	v_mov_b32_e32 v130, s24
	s_xor_b32 exec_lo, exec_lo, s25
	s_cbranch_execnz .LBB4_793
.LBB4_418:                              ;   in Loop: Header=BB4_144 Depth=2
	s_or_b32 exec_lo, exec_lo, s25
	s_and_saveexec_b32 s24, s11
	s_cbranch_execz .LBB4_420
.LBB4_419:                              ;   in Loop: Header=BB4_144 Depth=2
	v_and_b32_e32 v130, 0xffff, v131
	s_delay_alu instid0(VALU_DEP_1) | instskip(NEXT) | instid1(VALU_DEP_1)
	v_and_b32_e32 v132, 3, v130
	v_clz_i32_u32_e32 v133, v132
	s_delay_alu instid0(VALU_DEP_1) | instskip(NEXT) | instid1(VALU_DEP_1)
	v_min_u32_e32 v133, 32, v133
	v_subrev_nc_u32_e32 v134, 29, v133
	v_sub_nc_u32_e32 v133, 30, v133
	s_delay_alu instid0(VALU_DEP_2) | instskip(SKIP_1) | instid1(VALU_DEP_2)
	v_lshlrev_b32_e32 v134, v134, v130
	v_bfe_u32 v130, v130, 2, 5
	v_and_b32_e32 v134, 3, v134
	s_delay_alu instid0(VALU_DEP_2) | instskip(SKIP_1) | instid1(VALU_DEP_1)
	v_cmp_eq_u32_e32 vcc_lo, 0, v130
	v_dual_cndmask_b32 v130, v130, v133 :: v_dual_lshlrev_b32 v131, 24, v131
	v_dual_cndmask_b32 v132, v132, v134 :: v_dual_and_b32 v131, 0x80000000, v131
	s_delay_alu instid0(VALU_DEP_2) | instskip(NEXT) | instid1(VALU_DEP_2)
	v_lshl_add_u32 v130, v130, 23, 0x37800000
	v_lshlrev_b32_e32 v132, 21, v132
	s_delay_alu instid0(VALU_DEP_1)
	v_or3_b32 v130, v131, v130, v132
.LBB4_420:                              ;   in Loop: Header=BB4_144 Depth=2
	s_or_b32 exec_lo, exec_lo, s24
	v_lshrrev_b16 v131, 8, v10
	s_mov_b32 s11, 0
	s_mov_b32 s25, exec_lo
                                        ; implicit-def: $sgpr24
	s_delay_alu instid0(VALU_DEP_1)
	v_cmpx_lt_i16_e64 0x7f, v131
	s_xor_b32 s25, exec_lo, s25
	s_cbranch_execnz .LBB4_794
; %bb.421:                              ;   in Loop: Header=BB4_144 Depth=2
	s_or_saveexec_b32 s25, s25
	v_mov_b32_e32 v132, s24
	s_xor_b32 exec_lo, exec_lo, s25
	s_cbranch_execnz .LBB4_797
.LBB4_422:                              ;   in Loop: Header=BB4_144 Depth=2
	s_or_b32 exec_lo, exec_lo, s25
	s_and_saveexec_b32 s24, s11
	s_cbranch_execz .LBB4_424
.LBB4_423:                              ;   in Loop: Header=BB4_144 Depth=2
	v_and_b32_e32 v132, 0xffff, v131
	v_lshlrev_b32_e32 v131, 24, v131
	s_delay_alu instid0(VALU_DEP_2) | instskip(NEXT) | instid1(VALU_DEP_2)
	v_and_b32_e32 v133, 3, v132
	v_and_b32_e32 v131, 0x80000000, v131
	s_delay_alu instid0(VALU_DEP_2) | instskip(NEXT) | instid1(VALU_DEP_1)
	v_clz_i32_u32_e32 v134, v133
	v_min_u32_e32 v134, 32, v134
	s_delay_alu instid0(VALU_DEP_1) | instskip(SKIP_1) | instid1(VALU_DEP_2)
	v_subrev_nc_u32_e32 v135, 29, v134
	v_sub_nc_u32_e32 v134, 30, v134
	v_lshlrev_b32_e32 v135, v135, v132
	v_bfe_u32 v132, v132, 2, 5
	s_delay_alu instid0(VALU_DEP_2) | instskip(NEXT) | instid1(VALU_DEP_2)
	v_and_b32_e32 v135, 3, v135
	v_cmp_eq_u32_e32 vcc_lo, 0, v132
	s_delay_alu instid0(VALU_DEP_2) | instskip(NEXT) | instid1(VALU_DEP_1)
	v_dual_cndmask_b32 v132, v132, v134 :: v_dual_cndmask_b32 v133, v133, v135
	v_lshl_add_u32 v132, v132, 23, 0x37800000
	s_delay_alu instid0(VALU_DEP_2) | instskip(NEXT) | instid1(VALU_DEP_1)
	v_lshlrev_b32_e32 v133, 21, v133
	v_or3_b32 v132, v131, v132, v133
.LBB4_424:                              ;   in Loop: Header=BB4_144 Depth=2
	s_or_b32 exec_lo, exec_lo, s24
	s_delay_alu instid0(VALU_DEP_1) | instskip(NEXT) | instid1(VALU_DEP_1)
	v_mul_f32_e32 v131, v130, v132
	v_and_b32_e32 v130, 0x7f800000, v131
	s_delay_alu instid0(VALU_DEP_1)
	v_cmp_ne_u32_e32 vcc_lo, 0x7f800000, v130
	v_mov_b32_e32 v130, 0x80
	s_and_saveexec_b32 s24, vcc_lo
	s_cbranch_execz .LBB4_432
; %bb.425:                              ;   in Loop: Header=BB4_144 Depth=2
	v_mov_b32_e32 v130, 0
	s_mov_b32 s25, exec_lo
	v_cmpx_ne_u32_e32 0, v131
	s_cbranch_execz .LBB4_431
; %bb.426:                              ;   in Loop: Header=BB4_144 Depth=2
	v_bfe_u32 v130, v131, 23, 8
	s_delay_alu instid0(VALU_DEP_1) | instskip(SKIP_1) | instid1(VALU_DEP_2)
	v_sub_nc_u32_e32 v133, 0x70, v130
	v_cmp_gt_u32_e32 vcc_lo, 0x71, v130
	v_dual_cndmask_b32 v133, 0, v133 :: v_dual_and_b32 v132, 0x7fffff, v131
	s_delay_alu instid0(VALU_DEP_1) | instskip(SKIP_2) | instid1(VALU_DEP_4)
	v_or_b32_e32 v134, 0x800000, v132
	v_cmp_eq_u32_e32 vcc_lo, 0, v130
	v_add_nc_u32_e32 v130, 0xffffff91, v130
	v_cndmask_b32_e64 v133, v133, 0x6f, vcc_lo
	s_delay_alu instid0(VALU_DEP_2) | instskip(SKIP_1) | instid1(VALU_DEP_3)
	v_cndmask_b32_e64 v130, v130, 0xffffff92, vcc_lo
	v_cndmask_b32_e32 v132, v134, v132, vcc_lo
	v_lshl_add_u32 v134, 0x200000, v133, -1
	v_lshlrev_b32_e64 v145, v133, 0x100000
	s_delay_alu instid0(VALU_DEP_3) | instskip(SKIP_1) | instid1(VALU_DEP_4)
	v_lshrrev_b32_e32 v135, v133, v132
	v_add_nc_u32_e32 v133, v133, v130
	v_and_b32_e32 v132, v134, v132
	s_delay_alu instid0(VALU_DEP_3) | instskip(NEXT) | instid1(VALU_DEP_2)
	v_bfe_u32 v144, v135, 21, 1
	v_cmp_eq_u32_e64 s11, v132, v145
	s_delay_alu instid0(VALU_DEP_2) | instskip(NEXT) | instid1(VALU_DEP_1)
	v_add_nc_u32_e32 v134, -1, v144
	v_cndmask_b32_e64 v132, 0, v134, s11
	v_lshrrev_b32_e32 v134, 23, v135
	s_mov_b32 s11, exec_lo
	s_delay_alu instid0(VALU_DEP_2) | instskip(NEXT) | instid1(VALU_DEP_2)
	v_add_nc_u32_e32 v132, v132, v135
	v_xor_b32_e32 v134, 1, v134
	s_delay_alu instid0(VALU_DEP_2) | instskip(NEXT) | instid1(VALU_DEP_1)
	v_and_b32_e32 v130, 0x1fffff, v132
	v_add_nc_u32_e32 v132, v130, v135
                                        ; implicit-def: $vgpr130
	s_delay_alu instid0(VALU_DEP_3)
	v_cmpx_ne_u32_e64 v133, v134
	s_xor_b32 s11, exec_lo, s11
; %bb.427:                              ;   in Loop: Header=BB4_144 Depth=2
	s_delay_alu instid0(VALU_DEP_2) | instskip(SKIP_2) | instid1(VALU_DEP_2)
	v_cmp_lt_u32_e32 vcc_lo, 0xffffff, v132
	v_sub_nc_u32_e32 v130, v133, v134
	v_cndmask_b32_e64 v133, 0, 1, vcc_lo
	v_add_co_ci_u32_e32 v130, vcc_lo, 0, v130, vcc_lo
	s_delay_alu instid0(VALU_DEP_2)
	v_lshrrev_b32_e32 v132, v133, v132
; %bb.428:                              ;   in Loop: Header=BB4_144 Depth=2
	s_and_not1_saveexec_b32 s11, s11
; %bb.429:                              ;   in Loop: Header=BB4_144 Depth=2
	s_delay_alu instid0(VALU_DEP_1)
	v_bfe_u32 v130, v132, 23, 1
; %bb.430:                              ;   in Loop: Header=BB4_144 Depth=2
	s_or_b32 exec_lo, exec_lo, s11
	v_lshrrev_b32_e32 v132, 21, v132
	s_delay_alu instid0(VALU_DEP_2) | instskip(SKIP_2) | instid1(VALU_DEP_2)
	v_cmp_gt_i32_e32 vcc_lo, 32, v130
	v_lshrrev_b32_e32 v131, 24, v131
	v_min_i32_e32 v133, 31, v130
	v_dual_cndmask_b32 v132, 3, v132 :: v_dual_and_b32 v131, 0x80, v131
	s_delay_alu instid0(VALU_DEP_1) | instskip(SKIP_1) | instid1(VALU_DEP_2)
	v_or_b32_e32 v130, v130, v132
	v_and_b32_e32 v134, 3, v132
	v_cmp_ne_u32_e32 vcc_lo, 0, v130
	v_lshlrev_b32_e32 v133, 2, v133
	s_delay_alu instid0(VALU_DEP_1) | instskip(NEXT) | instid1(VALU_DEP_1)
	v_or3_b32 v131, v133, v131, v134
	v_cndmask_b32_e32 v130, 0, v131, vcc_lo
.LBB4_431:                              ;   in Loop: Header=BB4_144 Depth=2
	s_or_b32 exec_lo, exec_lo, s25
.LBB4_432:                              ;   in Loop: Header=BB4_144 Depth=2
	s_delay_alu instid0(SALU_CYCLE_1) | instskip(SKIP_3) | instid1(VALU_DEP_1)
	s_or_b32 exec_lo, exec_lo, s24
	v_lshrrev_b32_e32 v132, 16, v14
	s_mov_b32 s11, 0
	s_mov_b32 s25, exec_lo
                                        ; implicit-def: $sgpr24
	v_and_b32_e32 v133, 0xff, v132
	s_delay_alu instid0(VALU_DEP_1)
	v_cmpx_lt_i16_e64 0x7f, v133
	s_xor_b32 s25, exec_lo, s25
	s_cbranch_execnz .LBB4_798
; %bb.433:                              ;   in Loop: Header=BB4_144 Depth=2
	s_or_saveexec_b32 s25, s25
	v_mov_b32_e32 v131, s24
	s_xor_b32 exec_lo, exec_lo, s25
	s_cbranch_execnz .LBB4_801
.LBB4_434:                              ;   in Loop: Header=BB4_144 Depth=2
	s_or_b32 exec_lo, exec_lo, s25
	s_and_saveexec_b32 s24, s11
	s_cbranch_execz .LBB4_436
.LBB4_435:                              ;   in Loop: Header=BB4_144 Depth=2
	v_bfe_u32 v131, v14, 16, 2
	v_lshlrev_b32_e32 v135, 8, v14
	s_delay_alu instid0(VALU_DEP_2) | instskip(NEXT) | instid1(VALU_DEP_1)
	v_clz_i32_u32_e32 v133, v131
	v_min_u32_e32 v133, 32, v133
	s_delay_alu instid0(VALU_DEP_1) | instskip(SKIP_1) | instid1(VALU_DEP_2)
	v_subrev_nc_u32_e32 v134, 29, v133
	v_sub_nc_u32_e32 v133, 30, v133
	v_lshlrev_b32_e32 v132, v134, v132
	v_bfe_u32 v134, v14, 18, 5
	s_delay_alu instid0(VALU_DEP_1) | instskip(NEXT) | instid1(VALU_DEP_3)
	v_cmp_eq_u32_e32 vcc_lo, 0, v134
	v_dual_cndmask_b32 v133, v134, v133 :: v_dual_and_b32 v132, 3, v132
	s_delay_alu instid0(VALU_DEP_1) | instskip(NEXT) | instid1(VALU_DEP_2)
	v_dual_cndmask_b32 v131, v131, v132 :: v_dual_and_b32 v132, 0x80000000, v135
	v_lshl_add_u32 v133, v133, 23, 0x37800000
	s_delay_alu instid0(VALU_DEP_2) | instskip(NEXT) | instid1(VALU_DEP_1)
	v_lshlrev_b32_e32 v131, 21, v131
	v_or3_b32 v131, v132, v133, v131
.LBB4_436:                              ;   in Loop: Header=BB4_144 Depth=2
	s_or_b32 exec_lo, exec_lo, s24
	v_lshrrev_b32_e32 v132, 16, v10
	s_mov_b32 s11, 0
	s_mov_b32 s25, exec_lo
                                        ; implicit-def: $sgpr24
	s_delay_alu instid0(VALU_DEP_1) | instskip(NEXT) | instid1(VALU_DEP_1)
	v_and_b32_e32 v134, 0xff, v132
	v_cmpx_lt_i16_e64 0x7f, v134
	s_xor_b32 s25, exec_lo, s25
	s_cbranch_execnz .LBB4_802
; %bb.437:                              ;   in Loop: Header=BB4_144 Depth=2
	s_or_saveexec_b32 s25, s25
	v_mov_b32_e32 v133, s24
	s_xor_b32 exec_lo, exec_lo, s25
	s_cbranch_execnz .LBB4_805
.LBB4_438:                              ;   in Loop: Header=BB4_144 Depth=2
	s_or_b32 exec_lo, exec_lo, s25
	s_and_saveexec_b32 s24, s11
	s_cbranch_execz .LBB4_440
.LBB4_439:                              ;   in Loop: Header=BB4_144 Depth=2
	v_bfe_u32 v133, v10, 16, 2
	v_lshlrev_b32_e32 v144, 8, v10
	s_delay_alu instid0(VALU_DEP_2) | instskip(NEXT) | instid1(VALU_DEP_1)
	v_clz_i32_u32_e32 v134, v133
	v_min_u32_e32 v134, 32, v134
	s_delay_alu instid0(VALU_DEP_1) | instskip(SKIP_1) | instid1(VALU_DEP_2)
	v_subrev_nc_u32_e32 v135, 29, v134
	v_sub_nc_u32_e32 v134, 30, v134
	v_lshlrev_b32_e32 v132, v135, v132
	v_bfe_u32 v135, v10, 18, 5
	s_delay_alu instid0(VALU_DEP_2) | instskip(NEXT) | instid1(VALU_DEP_2)
	v_and_b32_e32 v132, 3, v132
	v_cmp_eq_u32_e32 vcc_lo, 0, v135
	v_cndmask_b32_e32 v134, v135, v134, vcc_lo
	s_delay_alu instid0(VALU_DEP_3) | instskip(SKIP_1) | instid1(VALU_DEP_3)
	v_cndmask_b32_e32 v132, v133, v132, vcc_lo
	v_and_b32_e32 v133, 0x80000000, v144
	v_lshl_add_u32 v134, v134, 23, 0x37800000
	s_delay_alu instid0(VALU_DEP_3) | instskip(NEXT) | instid1(VALU_DEP_1)
	v_lshlrev_b32_e32 v132, 21, v132
	v_or3_b32 v133, v133, v134, v132
.LBB4_440:                              ;   in Loop: Header=BB4_144 Depth=2
	s_or_b32 exec_lo, exec_lo, s24
	s_delay_alu instid0(VALU_DEP_1) | instskip(NEXT) | instid1(VALU_DEP_1)
	v_mul_f32_e32 v132, v131, v133
	v_and_b32_e32 v131, 0x7f800000, v132
	s_delay_alu instid0(VALU_DEP_1)
	v_cmp_ne_u32_e32 vcc_lo, 0x7f800000, v131
	v_mov_b32_e32 v131, 0x80
	s_and_saveexec_b32 s24, vcc_lo
	s_cbranch_execz .LBB4_448
; %bb.441:                              ;   in Loop: Header=BB4_144 Depth=2
	v_mov_b32_e32 v131, 0
	s_mov_b32 s25, exec_lo
	v_cmpx_ne_u32_e32 0, v132
	s_cbranch_execz .LBB4_447
; %bb.442:                              ;   in Loop: Header=BB4_144 Depth=2
	v_bfe_u32 v131, v132, 23, 8
	s_delay_alu instid0(VALU_DEP_1) | instskip(SKIP_1) | instid1(VALU_DEP_2)
	v_sub_nc_u32_e32 v134, 0x70, v131
	v_cmp_gt_u32_e32 vcc_lo, 0x71, v131
	v_dual_cndmask_b32 v134, 0, v134 :: v_dual_and_b32 v133, 0x7fffff, v132
	s_delay_alu instid0(VALU_DEP_1) | instskip(SKIP_2) | instid1(VALU_DEP_4)
	v_or_b32_e32 v135, 0x800000, v133
	v_cmp_eq_u32_e32 vcc_lo, 0, v131
	v_add_nc_u32_e32 v131, 0xffffff91, v131
	v_cndmask_b32_e64 v134, v134, 0x6f, vcc_lo
	s_delay_alu instid0(VALU_DEP_2) | instskip(SKIP_1) | instid1(VALU_DEP_3)
	v_cndmask_b32_e64 v131, v131, 0xffffff92, vcc_lo
	v_cndmask_b32_e32 v133, v135, v133, vcc_lo
	v_lshl_add_u32 v135, 0x200000, v134, -1
	v_lshlrev_b32_e64 v146, v134, 0x100000
	s_delay_alu instid0(VALU_DEP_3) | instskip(SKIP_1) | instid1(VALU_DEP_4)
	v_lshrrev_b32_e32 v144, v134, v133
	v_add_nc_u32_e32 v134, v134, v131
	v_and_b32_e32 v133, v135, v133
	s_delay_alu instid0(VALU_DEP_3) | instskip(NEXT) | instid1(VALU_DEP_2)
	v_bfe_u32 v145, v144, 21, 1
	v_cmp_eq_u32_e64 s11, v133, v146
	s_delay_alu instid0(VALU_DEP_2) | instskip(NEXT) | instid1(VALU_DEP_1)
	v_add_nc_u32_e32 v135, -1, v145
	v_cndmask_b32_e64 v133, 0, v135, s11
	v_lshrrev_b32_e32 v135, 23, v144
	s_mov_b32 s11, exec_lo
	s_delay_alu instid0(VALU_DEP_2) | instskip(NEXT) | instid1(VALU_DEP_2)
	v_add_nc_u32_e32 v133, v133, v144
	v_xor_b32_e32 v135, 1, v135
	s_delay_alu instid0(VALU_DEP_2) | instskip(NEXT) | instid1(VALU_DEP_1)
	v_and_b32_e32 v131, 0x1fffff, v133
	v_add_nc_u32_e32 v133, v131, v144
                                        ; implicit-def: $vgpr131
	s_delay_alu instid0(VALU_DEP_3)
	v_cmpx_ne_u32_e64 v134, v135
	s_xor_b32 s11, exec_lo, s11
; %bb.443:                              ;   in Loop: Header=BB4_144 Depth=2
	s_delay_alu instid0(VALU_DEP_2) | instskip(SKIP_2) | instid1(VALU_DEP_2)
	v_cmp_lt_u32_e32 vcc_lo, 0xffffff, v133
	v_sub_nc_u32_e32 v131, v134, v135
	v_cndmask_b32_e64 v134, 0, 1, vcc_lo
	v_add_co_ci_u32_e32 v131, vcc_lo, 0, v131, vcc_lo
	s_delay_alu instid0(VALU_DEP_2)
	v_lshrrev_b32_e32 v133, v134, v133
; %bb.444:                              ;   in Loop: Header=BB4_144 Depth=2
	s_and_not1_saveexec_b32 s11, s11
; %bb.445:                              ;   in Loop: Header=BB4_144 Depth=2
	s_delay_alu instid0(VALU_DEP_1)
	v_bfe_u32 v131, v133, 23, 1
; %bb.446:                              ;   in Loop: Header=BB4_144 Depth=2
	s_or_b32 exec_lo, exec_lo, s11
	v_lshrrev_b32_e32 v133, 21, v133
	s_delay_alu instid0(VALU_DEP_2) | instskip(SKIP_2) | instid1(VALU_DEP_2)
	v_cmp_gt_i32_e32 vcc_lo, 32, v131
	v_lshrrev_b32_e32 v132, 24, v132
	v_min_i32_e32 v134, 31, v131
	v_dual_cndmask_b32 v133, 3, v133 :: v_dual_and_b32 v132, 0x80, v132
	s_delay_alu instid0(VALU_DEP_1) | instskip(SKIP_1) | instid1(VALU_DEP_2)
	v_or_b32_e32 v131, v131, v133
	v_and_b32_e32 v135, 3, v133
	v_cmp_ne_u32_e32 vcc_lo, 0, v131
	v_lshlrev_b32_e32 v134, 2, v134
	s_delay_alu instid0(VALU_DEP_1) | instskip(NEXT) | instid1(VALU_DEP_1)
	v_or3_b32 v132, v134, v132, v135
	v_cndmask_b32_e32 v131, 0, v132, vcc_lo
.LBB4_447:                              ;   in Loop: Header=BB4_144 Depth=2
	s_or_b32 exec_lo, exec_lo, s25
.LBB4_448:                              ;   in Loop: Header=BB4_144 Depth=2
	s_delay_alu instid0(SALU_CYCLE_1) | instskip(SKIP_3) | instid1(VALU_DEP_1)
	s_or_b32 exec_lo, exec_lo, s24
	v_lshrrev_b32_e32 v133, 24, v14
	s_mov_b32 s11, 0
	s_mov_b32 s25, exec_lo
                                        ; implicit-def: $sgpr24
	v_cmpx_lt_i16_e64 0x7f, v133
	s_xor_b32 s25, exec_lo, s25
	s_cbranch_execnz .LBB4_806
; %bb.449:                              ;   in Loop: Header=BB4_144 Depth=2
	s_or_saveexec_b32 s25, s25
	v_mov_b32_e32 v132, s24
	s_xor_b32 exec_lo, exec_lo, s25
	s_cbranch_execnz .LBB4_809
.LBB4_450:                              ;   in Loop: Header=BB4_144 Depth=2
	s_or_b32 exec_lo, exec_lo, s25
	s_and_saveexec_b32 s24, s11
	s_cbranch_execz .LBB4_452
.LBB4_451:                              ;   in Loop: Header=BB4_144 Depth=2
	v_bfe_u32 v132, v14, 24, 2
	s_delay_alu instid0(VALU_DEP_1) | instskip(NEXT) | instid1(VALU_DEP_1)
	v_clz_i32_u32_e32 v134, v132
	v_min_u32_e32 v134, 32, v134
	s_delay_alu instid0(VALU_DEP_1) | instskip(SKIP_1) | instid1(VALU_DEP_2)
	v_subrev_nc_u32_e32 v135, 29, v134
	v_sub_nc_u32_e32 v134, 30, v134
	v_lshlrev_b32_e32 v133, v135, v133
	v_bfe_u32 v135, v14, 26, 5
	v_and_b32_e32 v14, 0x80000000, v14
	s_delay_alu instid0(VALU_DEP_2) | instskip(NEXT) | instid1(VALU_DEP_4)
	v_cmp_eq_u32_e32 vcc_lo, 0, v135
	v_dual_cndmask_b32 v134, v135, v134 :: v_dual_and_b32 v133, 3, v133
	s_delay_alu instid0(VALU_DEP_1) | instskip(NEXT) | instid1(VALU_DEP_2)
	v_cndmask_b32_e32 v132, v132, v133, vcc_lo
	v_lshl_add_u32 v133, v134, 23, 0x37800000
	s_delay_alu instid0(VALU_DEP_2) | instskip(NEXT) | instid1(VALU_DEP_1)
	v_lshlrev_b32_e32 v132, 21, v132
	v_or3_b32 v132, v14, v133, v132
.LBB4_452:                              ;   in Loop: Header=BB4_144 Depth=2
	s_or_b32 exec_lo, exec_lo, s24
	v_lshrrev_b32_e32 v14, 24, v10
	s_mov_b32 s11, 0
	s_mov_b32 s25, exec_lo
                                        ; implicit-def: $sgpr24
	s_delay_alu instid0(VALU_DEP_1)
	v_cmpx_lt_i16_e32 0x7f, v14
	s_xor_b32 s25, exec_lo, s25
	s_cbranch_execnz .LBB4_810
; %bb.453:                              ;   in Loop: Header=BB4_144 Depth=2
	s_or_saveexec_b32 s25, s25
	v_mov_b32_e32 v133, s24
	s_xor_b32 exec_lo, exec_lo, s25
	s_cbranch_execnz .LBB4_813
.LBB4_454:                              ;   in Loop: Header=BB4_144 Depth=2
	s_or_b32 exec_lo, exec_lo, s25
	s_and_saveexec_b32 s24, s11
	s_cbranch_execz .LBB4_456
.LBB4_455:                              ;   in Loop: Header=BB4_144 Depth=2
	v_bfe_u32 v133, v10, 24, 2
	s_delay_alu instid0(VALU_DEP_1) | instskip(NEXT) | instid1(VALU_DEP_1)
	v_clz_i32_u32_e32 v134, v133
	v_min_u32_e32 v134, 32, v134
	s_delay_alu instid0(VALU_DEP_1) | instskip(SKIP_1) | instid1(VALU_DEP_2)
	v_subrev_nc_u32_e32 v135, 29, v134
	v_sub_nc_u32_e32 v134, 30, v134
	v_lshlrev_b32_e32 v14, v135, v14
	v_bfe_u32 v135, v10, 26, 5
	v_and_b32_e32 v10, 0x80000000, v10
	s_delay_alu instid0(VALU_DEP_3) | instskip(NEXT) | instid1(VALU_DEP_3)
	v_and_b32_e32 v14, 3, v14
	v_cmp_eq_u32_e32 vcc_lo, 0, v135
	v_cndmask_b32_e32 v134, v135, v134, vcc_lo
	s_delay_alu instid0(VALU_DEP_3) | instskip(NEXT) | instid1(VALU_DEP_2)
	v_cndmask_b32_e32 v14, v133, v14, vcc_lo
	v_lshl_add_u32 v133, v134, 23, 0x37800000
	s_delay_alu instid0(VALU_DEP_2) | instskip(NEXT) | instid1(VALU_DEP_1)
	v_lshlrev_b32_e32 v14, 21, v14
	v_or3_b32 v133, v10, v133, v14
.LBB4_456:                              ;   in Loop: Header=BB4_144 Depth=2
	s_or_b32 exec_lo, exec_lo, s24
	s_delay_alu instid0(VALU_DEP_1) | instskip(NEXT) | instid1(VALU_DEP_1)
	v_mul_f32_e32 v14, v132, v133
	v_and_b32_e32 v10, 0x7f800000, v14
	s_delay_alu instid0(VALU_DEP_1)
	v_cmp_ne_u32_e32 vcc_lo, 0x7f800000, v10
	v_mov_b32_e32 v10, 0x80
	s_and_saveexec_b32 s24, vcc_lo
	s_cbranch_execz .LBB4_464
; %bb.457:                              ;   in Loop: Header=BB4_144 Depth=2
	v_mov_b32_e32 v10, 0
	s_mov_b32 s25, exec_lo
	v_cmpx_ne_u32_e32 0, v14
	s_cbranch_execz .LBB4_463
; %bb.458:                              ;   in Loop: Header=BB4_144 Depth=2
	v_bfe_u32 v10, v14, 23, 8
	s_delay_alu instid0(VALU_DEP_1) | instskip(SKIP_1) | instid1(VALU_DEP_2)
	v_sub_nc_u32_e32 v133, 0x70, v10
	v_cmp_gt_u32_e32 vcc_lo, 0x71, v10
	v_dual_cndmask_b32 v133, 0, v133 :: v_dual_and_b32 v132, 0x7fffff, v14
	s_delay_alu instid0(VALU_DEP_1) | instskip(SKIP_2) | instid1(VALU_DEP_4)
	v_or_b32_e32 v134, 0x800000, v132
	v_cmp_eq_u32_e32 vcc_lo, 0, v10
	v_add_nc_u32_e32 v10, 0xffffff91, v10
	v_cndmask_b32_e64 v133, v133, 0x6f, vcc_lo
	s_delay_alu instid0(VALU_DEP_2) | instskip(SKIP_1) | instid1(VALU_DEP_3)
	v_cndmask_b32_e64 v10, v10, 0xffffff92, vcc_lo
	v_cndmask_b32_e32 v132, v134, v132, vcc_lo
	v_lshl_add_u32 v134, 0x200000, v133, -1
	v_lshlrev_b32_e64 v145, v133, 0x100000
	s_delay_alu instid0(VALU_DEP_3) | instskip(SKIP_1) | instid1(VALU_DEP_4)
	v_lshrrev_b32_e32 v135, v133, v132
	v_add_nc_u32_e32 v133, v133, v10
	v_and_b32_e32 v132, v134, v132
	s_delay_alu instid0(VALU_DEP_3) | instskip(NEXT) | instid1(VALU_DEP_2)
	v_bfe_u32 v144, v135, 21, 1
	v_cmp_eq_u32_e64 s11, v132, v145
	s_delay_alu instid0(VALU_DEP_2) | instskip(NEXT) | instid1(VALU_DEP_1)
	v_add_nc_u32_e32 v134, -1, v144
	v_cndmask_b32_e64 v132, 0, v134, s11
	v_lshrrev_b32_e32 v134, 23, v135
	s_mov_b32 s11, exec_lo
	s_delay_alu instid0(VALU_DEP_2) | instskip(NEXT) | instid1(VALU_DEP_2)
	v_add_nc_u32_e32 v132, v132, v135
	v_xor_b32_e32 v134, 1, v134
	s_delay_alu instid0(VALU_DEP_2) | instskip(NEXT) | instid1(VALU_DEP_1)
	v_and_b32_e32 v10, 0x1fffff, v132
	v_add_nc_u32_e32 v132, v10, v135
                                        ; implicit-def: $vgpr10
	s_delay_alu instid0(VALU_DEP_3)
	v_cmpx_ne_u32_e64 v133, v134
	s_xor_b32 s11, exec_lo, s11
; %bb.459:                              ;   in Loop: Header=BB4_144 Depth=2
	s_delay_alu instid0(VALU_DEP_2) | instskip(SKIP_2) | instid1(VALU_DEP_2)
	v_cmp_lt_u32_e32 vcc_lo, 0xffffff, v132
	v_sub_nc_u32_e32 v10, v133, v134
	v_cndmask_b32_e64 v133, 0, 1, vcc_lo
	v_add_co_ci_u32_e32 v10, vcc_lo, 0, v10, vcc_lo
	s_delay_alu instid0(VALU_DEP_2)
	v_lshrrev_b32_e32 v132, v133, v132
; %bb.460:                              ;   in Loop: Header=BB4_144 Depth=2
	s_and_not1_saveexec_b32 s11, s11
; %bb.461:                              ;   in Loop: Header=BB4_144 Depth=2
	s_delay_alu instid0(VALU_DEP_1)
	v_bfe_u32 v10, v132, 23, 1
; %bb.462:                              ;   in Loop: Header=BB4_144 Depth=2
	s_or_b32 exec_lo, exec_lo, s11
	v_lshrrev_b32_e32 v132, 21, v132
	s_delay_alu instid0(VALU_DEP_2) | instskip(SKIP_2) | instid1(VALU_DEP_4)
	v_cmp_gt_i32_e32 vcc_lo, 32, v10
	v_lshrrev_b32_e32 v14, 24, v14
	v_min_i32_e32 v133, 31, v10
	v_cndmask_b32_e32 v132, 3, v132, vcc_lo
	s_delay_alu instid0(VALU_DEP_3) | instskip(NEXT) | instid1(VALU_DEP_3)
	v_and_b32_e32 v14, 0x80, v14
	v_lshlrev_b32_e32 v133, 2, v133
	s_delay_alu instid0(VALU_DEP_3) | instskip(SKIP_1) | instid1(VALU_DEP_2)
	v_and_b32_e32 v134, 3, v132
	v_or_b32_e32 v10, v10, v132
	v_or3_b32 v14, v133, v14, v134
	s_delay_alu instid0(VALU_DEP_2) | instskip(NEXT) | instid1(VALU_DEP_2)
	v_cmp_ne_u32_e32 vcc_lo, 0, v10
	v_cndmask_b32_e32 v10, 0, v14, vcc_lo
.LBB4_463:                              ;   in Loop: Header=BB4_144 Depth=2
	s_or_b32 exec_lo, exec_lo, s25
.LBB4_464:                              ;   in Loop: Header=BB4_144 Depth=2
	s_delay_alu instid0(SALU_CYCLE_1) | instskip(SKIP_3) | instid1(VALU_DEP_1)
	s_or_b32 exec_lo, exec_lo, s24
	v_and_b32_e32 v132, 0xff, v15
	s_mov_b32 s11, 0
	s_mov_b32 s25, exec_lo
                                        ; implicit-def: $sgpr24
	v_cmpx_lt_i16_e64 0x7f, v132
	s_xor_b32 s25, exec_lo, s25
	s_cbranch_execnz .LBB4_814
; %bb.465:                              ;   in Loop: Header=BB4_144 Depth=2
	s_or_saveexec_b32 s25, s25
	v_mov_b32_e32 v14, s24
	s_xor_b32 exec_lo, exec_lo, s25
	s_cbranch_execnz .LBB4_817
.LBB4_466:                              ;   in Loop: Header=BB4_144 Depth=2
	s_or_b32 exec_lo, exec_lo, s25
	s_and_saveexec_b32 s24, s11
	s_cbranch_execz .LBB4_468
.LBB4_467:                              ;   in Loop: Header=BB4_144 Depth=2
	v_and_b32_e32 v14, 3, v15
	v_bfe_u32 v134, v15, 2, 5
	s_delay_alu instid0(VALU_DEP_2) | instskip(NEXT) | instid1(VALU_DEP_2)
	v_clz_i32_u32_e32 v132, v14
	v_cmp_eq_u32_e32 vcc_lo, 0, v134
	s_delay_alu instid0(VALU_DEP_2) | instskip(NEXT) | instid1(VALU_DEP_1)
	v_min_u32_e32 v132, 32, v132
	v_subrev_nc_u32_e32 v133, 29, v132
	v_sub_nc_u32_e32 v132, 30, v132
	s_delay_alu instid0(VALU_DEP_1) | instskip(NEXT) | instid1(VALU_DEP_1)
	v_dual_cndmask_b32 v132, v134, v132 :: v_dual_lshlrev_b32 v133, v133, v15
	v_and_b32_e32 v133, 3, v133
	v_lshlrev_b32_e32 v135, 24, v15
	s_delay_alu instid0(VALU_DEP_3) | instskip(NEXT) | instid1(VALU_DEP_2)
	v_lshl_add_u32 v132, v132, 23, 0x37800000
	v_dual_cndmask_b32 v14, v14, v133 :: v_dual_and_b32 v133, 0x80000000, v135
	s_delay_alu instid0(VALU_DEP_1) | instskip(NEXT) | instid1(VALU_DEP_1)
	v_lshlrev_b32_e32 v14, 21, v14
	v_or3_b32 v14, v133, v132, v14
.LBB4_468:                              ;   in Loop: Header=BB4_144 Depth=2
	s_or_b32 exec_lo, exec_lo, s24
	v_and_b32_e32 v133, 0xff, v11
	s_mov_b32 s11, 0
	s_mov_b32 s25, exec_lo
                                        ; implicit-def: $sgpr24
	s_delay_alu instid0(VALU_DEP_1)
	v_cmpx_lt_i16_e64 0x7f, v133
	s_xor_b32 s25, exec_lo, s25
	s_cbranch_execnz .LBB4_818
; %bb.469:                              ;   in Loop: Header=BB4_144 Depth=2
	s_or_saveexec_b32 s25, s25
	v_mov_b32_e32 v132, s24
	s_xor_b32 exec_lo, exec_lo, s25
	s_cbranch_execnz .LBB4_821
.LBB4_470:                              ;   in Loop: Header=BB4_144 Depth=2
	s_or_b32 exec_lo, exec_lo, s25
	s_and_saveexec_b32 s24, s11
	s_cbranch_execz .LBB4_472
.LBB4_471:                              ;   in Loop: Header=BB4_144 Depth=2
	v_bfe_u32 v135, v11, 2, 5
	v_lshlrev_b32_e32 v144, 24, v11
	s_delay_alu instid0(VALU_DEP_2) | instskip(SKIP_1) | instid1(VALU_DEP_1)
	v_cmp_eq_u32_e32 vcc_lo, 0, v135
	v_and_b32_e32 v132, 3, v11
	v_clz_i32_u32_e32 v133, v132
	s_delay_alu instid0(VALU_DEP_1) | instskip(NEXT) | instid1(VALU_DEP_1)
	v_min_u32_e32 v133, 32, v133
	v_subrev_nc_u32_e32 v134, 29, v133
	v_sub_nc_u32_e32 v133, 30, v133
	s_delay_alu instid0(VALU_DEP_1) | instskip(NEXT) | instid1(VALU_DEP_1)
	v_dual_cndmask_b32 v133, v135, v133 :: v_dual_lshlrev_b32 v134, v134, v11
	v_and_b32_e32 v134, 3, v134
	s_delay_alu instid0(VALU_DEP_2) | instskip(NEXT) | instid1(VALU_DEP_2)
	v_lshl_add_u32 v133, v133, 23, 0x37800000
	v_cndmask_b32_e32 v132, v132, v134, vcc_lo
	v_and_b32_e32 v134, 0x80000000, v144
	s_delay_alu instid0(VALU_DEP_2) | instskip(NEXT) | instid1(VALU_DEP_1)
	v_lshlrev_b32_e32 v132, 21, v132
	v_or3_b32 v132, v134, v133, v132
.LBB4_472:                              ;   in Loop: Header=BB4_144 Depth=2
	s_or_b32 exec_lo, exec_lo, s24
	s_delay_alu instid0(VALU_DEP_1) | instskip(NEXT) | instid1(VALU_DEP_1)
	v_mul_f32_e32 v132, v14, v132
	v_and_b32_e32 v14, 0x7f800000, v132
	s_delay_alu instid0(VALU_DEP_1)
	v_cmp_ne_u32_e32 vcc_lo, 0x7f800000, v14
	v_mov_b32_e32 v14, 0x80
	s_and_saveexec_b32 s24, vcc_lo
	s_cbranch_execz .LBB4_480
; %bb.473:                              ;   in Loop: Header=BB4_144 Depth=2
	v_mov_b32_e32 v14, 0
	s_mov_b32 s25, exec_lo
	v_cmpx_ne_u32_e32 0, v132
	s_cbranch_execz .LBB4_479
; %bb.474:                              ;   in Loop: Header=BB4_144 Depth=2
	v_bfe_u32 v14, v132, 23, 8
	s_delay_alu instid0(VALU_DEP_1) | instskip(SKIP_1) | instid1(VALU_DEP_2)
	v_sub_nc_u32_e32 v134, 0x70, v14
	v_cmp_gt_u32_e32 vcc_lo, 0x71, v14
	v_dual_cndmask_b32 v134, 0, v134 :: v_dual_and_b32 v133, 0x7fffff, v132
	s_delay_alu instid0(VALU_DEP_1) | instskip(SKIP_2) | instid1(VALU_DEP_4)
	v_or_b32_e32 v135, 0x800000, v133
	v_cmp_eq_u32_e32 vcc_lo, 0, v14
	v_add_nc_u32_e32 v14, 0xffffff91, v14
	v_cndmask_b32_e64 v134, v134, 0x6f, vcc_lo
	s_delay_alu instid0(VALU_DEP_4) | instskip(NEXT) | instid1(VALU_DEP_3)
	v_cndmask_b32_e32 v133, v135, v133, vcc_lo
	v_cndmask_b32_e64 v14, v14, 0xffffff92, vcc_lo
	s_delay_alu instid0(VALU_DEP_3) | instskip(NEXT) | instid1(VALU_DEP_3)
	v_lshl_add_u32 v135, 0x200000, v134, -1
	v_lshrrev_b32_e32 v144, v134, v133
	v_lshlrev_b32_e64 v146, v134, 0x100000
	s_delay_alu instid0(VALU_DEP_4) | instskip(NEXT) | instid1(VALU_DEP_4)
	v_add_nc_u32_e32 v134, v134, v14
	v_and_b32_e32 v133, v135, v133
	s_delay_alu instid0(VALU_DEP_4) | instskip(NEXT) | instid1(VALU_DEP_2)
	v_bfe_u32 v145, v144, 21, 1
	v_cmp_eq_u32_e64 s11, v133, v146
	s_delay_alu instid0(VALU_DEP_2) | instskip(NEXT) | instid1(VALU_DEP_1)
	v_add_nc_u32_e32 v135, -1, v145
	v_cndmask_b32_e64 v133, 0, v135, s11
	v_lshrrev_b32_e32 v135, 23, v144
	s_mov_b32 s11, exec_lo
	s_delay_alu instid0(VALU_DEP_2) | instskip(NEXT) | instid1(VALU_DEP_2)
	v_add_nc_u32_e32 v133, v133, v144
	v_xor_b32_e32 v135, 1, v135
	s_delay_alu instid0(VALU_DEP_2) | instskip(NEXT) | instid1(VALU_DEP_1)
	v_and_b32_e32 v14, 0x1fffff, v133
	v_add_nc_u32_e32 v133, v14, v144
                                        ; implicit-def: $vgpr14
	s_delay_alu instid0(VALU_DEP_3)
	v_cmpx_ne_u32_e64 v134, v135
	s_xor_b32 s11, exec_lo, s11
; %bb.475:                              ;   in Loop: Header=BB4_144 Depth=2
	s_delay_alu instid0(VALU_DEP_2) | instskip(SKIP_2) | instid1(VALU_DEP_2)
	v_cmp_lt_u32_e32 vcc_lo, 0xffffff, v133
	v_sub_nc_u32_e32 v14, v134, v135
	v_cndmask_b32_e64 v134, 0, 1, vcc_lo
	v_add_co_ci_u32_e32 v14, vcc_lo, 0, v14, vcc_lo
	s_delay_alu instid0(VALU_DEP_2)
	v_lshrrev_b32_e32 v133, v134, v133
; %bb.476:                              ;   in Loop: Header=BB4_144 Depth=2
	s_and_not1_saveexec_b32 s11, s11
; %bb.477:                              ;   in Loop: Header=BB4_144 Depth=2
	s_delay_alu instid0(VALU_DEP_1)
	v_bfe_u32 v14, v133, 23, 1
; %bb.478:                              ;   in Loop: Header=BB4_144 Depth=2
	s_or_b32 exec_lo, exec_lo, s11
	v_lshrrev_b32_e32 v133, 21, v133
	s_delay_alu instid0(VALU_DEP_2) | instskip(SKIP_2) | instid1(VALU_DEP_2)
	v_cmp_gt_i32_e32 vcc_lo, 32, v14
	v_lshrrev_b32_e32 v132, 24, v132
	v_min_i32_e32 v134, 31, v14
	v_dual_cndmask_b32 v133, 3, v133 :: v_dual_and_b32 v132, 0x80, v132
	s_delay_alu instid0(VALU_DEP_2) | instskip(NEXT) | instid1(VALU_DEP_2)
	v_lshlrev_b32_e32 v134, 2, v134
	v_or_b32_e32 v14, v14, v133
	s_delay_alu instid0(VALU_DEP_1) | instskip(SKIP_1) | instid1(VALU_DEP_1)
	v_cmp_ne_u32_e32 vcc_lo, 0, v14
	v_and_b32_e32 v135, 3, v133
	v_or3_b32 v132, v134, v132, v135
	s_delay_alu instid0(VALU_DEP_1)
	v_cndmask_b32_e32 v14, 0, v132, vcc_lo
.LBB4_479:                              ;   in Loop: Header=BB4_144 Depth=2
	s_or_b32 exec_lo, exec_lo, s25
.LBB4_480:                              ;   in Loop: Header=BB4_144 Depth=2
	s_delay_alu instid0(SALU_CYCLE_1) | instskip(SKIP_3) | instid1(VALU_DEP_1)
	s_or_b32 exec_lo, exec_lo, s24
	v_lshrrev_b16 v133, 8, v15
	s_mov_b32 s11, 0
	s_mov_b32 s25, exec_lo
                                        ; implicit-def: $sgpr24
	v_cmpx_lt_i16_e64 0x7f, v133
	s_xor_b32 s25, exec_lo, s25
	s_cbranch_execnz .LBB4_822
; %bb.481:                              ;   in Loop: Header=BB4_144 Depth=2
	s_or_saveexec_b32 s25, s25
	v_mov_b32_e32 v132, s24
	s_xor_b32 exec_lo, exec_lo, s25
	s_cbranch_execnz .LBB4_825
.LBB4_482:                              ;   in Loop: Header=BB4_144 Depth=2
	s_or_b32 exec_lo, exec_lo, s25
	s_and_saveexec_b32 s24, s11
	s_cbranch_execz .LBB4_484
.LBB4_483:                              ;   in Loop: Header=BB4_144 Depth=2
	v_and_b32_e32 v132, 0xffff, v133
	s_delay_alu instid0(VALU_DEP_1) | instskip(NEXT) | instid1(VALU_DEP_1)
	v_and_b32_e32 v134, 3, v132
	v_clz_i32_u32_e32 v135, v134
	s_delay_alu instid0(VALU_DEP_1) | instskip(NEXT) | instid1(VALU_DEP_1)
	v_min_u32_e32 v135, 32, v135
	v_subrev_nc_u32_e32 v144, 29, v135
	v_sub_nc_u32_e32 v135, 30, v135
	s_delay_alu instid0(VALU_DEP_2) | instskip(SKIP_1) | instid1(VALU_DEP_2)
	v_lshlrev_b32_e32 v144, v144, v132
	v_bfe_u32 v132, v132, 2, 5
	v_and_b32_e32 v144, 3, v144
	s_delay_alu instid0(VALU_DEP_2) | instskip(SKIP_1) | instid1(VALU_DEP_1)
	v_cmp_eq_u32_e32 vcc_lo, 0, v132
	v_dual_cndmask_b32 v132, v132, v135 :: v_dual_lshlrev_b32 v133, 24, v133
	v_dual_cndmask_b32 v134, v134, v144 :: v_dual_and_b32 v133, 0x80000000, v133
	s_delay_alu instid0(VALU_DEP_2) | instskip(NEXT) | instid1(VALU_DEP_2)
	v_lshl_add_u32 v132, v132, 23, 0x37800000
	v_lshlrev_b32_e32 v134, 21, v134
	s_delay_alu instid0(VALU_DEP_1)
	v_or3_b32 v132, v133, v132, v134
.LBB4_484:                              ;   in Loop: Header=BB4_144 Depth=2
	s_or_b32 exec_lo, exec_lo, s24
	v_lshrrev_b16 v133, 8, v11
	s_mov_b32 s11, 0
	s_mov_b32 s25, exec_lo
                                        ; implicit-def: $sgpr24
	s_delay_alu instid0(VALU_DEP_1)
	v_cmpx_lt_i16_e64 0x7f, v133
	s_xor_b32 s25, exec_lo, s25
	s_cbranch_execnz .LBB4_826
; %bb.485:                              ;   in Loop: Header=BB4_144 Depth=2
	s_or_saveexec_b32 s25, s25
	v_mov_b32_e32 v134, s24
	s_xor_b32 exec_lo, exec_lo, s25
	s_cbranch_execnz .LBB4_829
.LBB4_486:                              ;   in Loop: Header=BB4_144 Depth=2
	s_or_b32 exec_lo, exec_lo, s25
	s_and_saveexec_b32 s24, s11
	s_cbranch_execz .LBB4_488
.LBB4_487:                              ;   in Loop: Header=BB4_144 Depth=2
	v_and_b32_e32 v134, 0xffff, v133
	v_lshlrev_b32_e32 v133, 24, v133
	s_delay_alu instid0(VALU_DEP_2) | instskip(NEXT) | instid1(VALU_DEP_2)
	v_and_b32_e32 v135, 3, v134
	v_and_b32_e32 v133, 0x80000000, v133
	s_delay_alu instid0(VALU_DEP_2) | instskip(NEXT) | instid1(VALU_DEP_1)
	v_clz_i32_u32_e32 v144, v135
	v_min_u32_e32 v144, 32, v144
	s_delay_alu instid0(VALU_DEP_1) | instskip(SKIP_1) | instid1(VALU_DEP_2)
	v_subrev_nc_u32_e32 v145, 29, v144
	v_sub_nc_u32_e32 v144, 30, v144
	v_lshlrev_b32_e32 v145, v145, v134
	v_bfe_u32 v134, v134, 2, 5
	s_delay_alu instid0(VALU_DEP_2) | instskip(NEXT) | instid1(VALU_DEP_2)
	v_and_b32_e32 v145, 3, v145
	v_cmp_eq_u32_e32 vcc_lo, 0, v134
	s_delay_alu instid0(VALU_DEP_2) | instskip(NEXT) | instid1(VALU_DEP_1)
	v_dual_cndmask_b32 v134, v134, v144 :: v_dual_cndmask_b32 v135, v135, v145
	v_lshl_add_u32 v134, v134, 23, 0x37800000
	s_delay_alu instid0(VALU_DEP_2) | instskip(NEXT) | instid1(VALU_DEP_1)
	v_lshlrev_b32_e32 v135, 21, v135
	v_or3_b32 v134, v133, v134, v135
.LBB4_488:                              ;   in Loop: Header=BB4_144 Depth=2
	s_or_b32 exec_lo, exec_lo, s24
	s_delay_alu instid0(VALU_DEP_1) | instskip(NEXT) | instid1(VALU_DEP_1)
	v_mul_f32_e32 v133, v132, v134
	v_and_b32_e32 v132, 0x7f800000, v133
	s_delay_alu instid0(VALU_DEP_1)
	v_cmp_ne_u32_e32 vcc_lo, 0x7f800000, v132
	v_mov_b32_e32 v132, 0x8000
	s_and_saveexec_b32 s24, vcc_lo
	s_cbranch_execz .LBB4_496
; %bb.489:                              ;   in Loop: Header=BB4_144 Depth=2
	v_mov_b32_e32 v132, 0
	s_mov_b32 s25, exec_lo
	v_cmpx_ne_u32_e32 0, v133
	s_cbranch_execz .LBB4_495
; %bb.490:                              ;   in Loop: Header=BB4_144 Depth=2
	v_bfe_u32 v132, v133, 23, 8
	s_delay_alu instid0(VALU_DEP_1) | instskip(SKIP_1) | instid1(VALU_DEP_2)
	v_sub_nc_u32_e32 v135, 0x70, v132
	v_cmp_gt_u32_e32 vcc_lo, 0x71, v132
	v_dual_cndmask_b32 v135, 0, v135 :: v_dual_and_b32 v134, 0x7fffff, v133
	s_delay_alu instid0(VALU_DEP_1) | instskip(SKIP_2) | instid1(VALU_DEP_4)
	v_or_b32_e32 v144, 0x800000, v134
	v_cmp_eq_u32_e32 vcc_lo, 0, v132
	v_add_nc_u32_e32 v132, 0xffffff91, v132
	v_cndmask_b32_e64 v135, v135, 0x6f, vcc_lo
	s_delay_alu instid0(VALU_DEP_2) | instskip(SKIP_1) | instid1(VALU_DEP_3)
	v_cndmask_b32_e64 v132, v132, 0xffffff92, vcc_lo
	v_cndmask_b32_e32 v134, v144, v134, vcc_lo
	v_lshl_add_u32 v144, 0x200000, v135, -1
	v_lshlrev_b32_e64 v147, v135, 0x100000
	s_delay_alu instid0(VALU_DEP_3) | instskip(SKIP_1) | instid1(VALU_DEP_4)
	v_lshrrev_b32_e32 v145, v135, v134
	v_add_nc_u32_e32 v135, v135, v132
	v_and_b32_e32 v134, v144, v134
	s_delay_alu instid0(VALU_DEP_3) | instskip(NEXT) | instid1(VALU_DEP_2)
	v_bfe_u32 v146, v145, 21, 1
	v_cmp_eq_u32_e64 s11, v134, v147
	s_delay_alu instid0(VALU_DEP_2) | instskip(NEXT) | instid1(VALU_DEP_1)
	v_add_nc_u32_e32 v144, -1, v146
	v_cndmask_b32_e64 v134, 0, v144, s11
	v_lshrrev_b32_e32 v144, 23, v145
	s_mov_b32 s11, exec_lo
	s_delay_alu instid0(VALU_DEP_2) | instskip(NEXT) | instid1(VALU_DEP_2)
	v_add_nc_u32_e32 v134, v134, v145
	v_xor_b32_e32 v144, 1, v144
	s_delay_alu instid0(VALU_DEP_2) | instskip(NEXT) | instid1(VALU_DEP_1)
	v_and_b32_e32 v132, 0x1fffff, v134
	v_add_nc_u32_e32 v134, v132, v145
                                        ; implicit-def: $vgpr132
	s_delay_alu instid0(VALU_DEP_3)
	v_cmpx_ne_u32_e64 v135, v144
	s_xor_b32 s11, exec_lo, s11
; %bb.491:                              ;   in Loop: Header=BB4_144 Depth=2
	s_delay_alu instid0(VALU_DEP_2) | instskip(SKIP_2) | instid1(VALU_DEP_2)
	v_cmp_lt_u32_e32 vcc_lo, 0xffffff, v134
	v_sub_nc_u32_e32 v132, v135, v144
	v_cndmask_b32_e64 v135, 0, 1, vcc_lo
	v_add_co_ci_u32_e32 v132, vcc_lo, 0, v132, vcc_lo
	s_delay_alu instid0(VALU_DEP_2)
	v_lshrrev_b32_e32 v134, v135, v134
; %bb.492:                              ;   in Loop: Header=BB4_144 Depth=2
	s_and_not1_saveexec_b32 s11, s11
; %bb.493:                              ;   in Loop: Header=BB4_144 Depth=2
	s_delay_alu instid0(VALU_DEP_1)
	v_bfe_u32 v132, v134, 23, 1
; %bb.494:                              ;   in Loop: Header=BB4_144 Depth=2
	s_or_b32 exec_lo, exec_lo, s11
	v_lshrrev_b32_e32 v134, 21, v134
	s_delay_alu instid0(VALU_DEP_2) | instskip(SKIP_2) | instid1(VALU_DEP_2)
	v_cmp_gt_i32_e32 vcc_lo, 32, v132
	v_min_i32_e32 v135, 31, v132
	v_lshrrev_b32_e32 v133, 24, v133
	v_dual_cndmask_b32 v134, 3, v134 :: v_dual_lshlrev_b32 v135, 2, v135
	s_delay_alu instid0(VALU_DEP_2) | instskip(NEXT) | instid1(VALU_DEP_2)
	v_and_b32_e32 v133, 0x80, v133
	v_or_b32_e32 v132, v132, v134
	v_and_b32_e32 v144, 3, v134
	s_delay_alu instid0(VALU_DEP_2) | instskip(SKIP_1) | instid1(VALU_DEP_1)
	v_cmp_ne_u32_e32 vcc_lo, 0, v132
	v_and_b32_e32 v135, 0xfc, v135
	v_or3_b32 v133, v133, v135, v144
	s_delay_alu instid0(VALU_DEP_1) | instskip(NEXT) | instid1(VALU_DEP_1)
	v_lshlrev_b32_e32 v133, 8, v133
	v_cndmask_b32_e32 v132, 0, v133, vcc_lo
.LBB4_495:                              ;   in Loop: Header=BB4_144 Depth=2
	s_or_b32 exec_lo, exec_lo, s25
.LBB4_496:                              ;   in Loop: Header=BB4_144 Depth=2
	s_delay_alu instid0(SALU_CYCLE_1) | instskip(SKIP_3) | instid1(VALU_DEP_1)
	s_or_b32 exec_lo, exec_lo, s24
	v_lshrrev_b32_e32 v134, 16, v15
	s_mov_b32 s11, 0
	s_mov_b32 s25, exec_lo
                                        ; implicit-def: $sgpr24
	v_and_b32_e32 v135, 0xff, v134
	s_delay_alu instid0(VALU_DEP_1)
	v_cmpx_lt_i16_e64 0x7f, v135
	s_xor_b32 s25, exec_lo, s25
	s_cbranch_execnz .LBB4_830
; %bb.497:                              ;   in Loop: Header=BB4_144 Depth=2
	s_or_saveexec_b32 s25, s25
	v_mov_b32_e32 v133, s24
	s_xor_b32 exec_lo, exec_lo, s25
	s_cbranch_execnz .LBB4_833
.LBB4_498:                              ;   in Loop: Header=BB4_144 Depth=2
	s_or_b32 exec_lo, exec_lo, s25
	s_and_saveexec_b32 s24, s11
	s_cbranch_execz .LBB4_500
.LBB4_499:                              ;   in Loop: Header=BB4_144 Depth=2
	v_bfe_u32 v133, v15, 16, 2
	v_lshlrev_b32_e32 v145, 8, v15
	s_delay_alu instid0(VALU_DEP_2) | instskip(NEXT) | instid1(VALU_DEP_1)
	v_clz_i32_u32_e32 v135, v133
	v_min_u32_e32 v135, 32, v135
	s_delay_alu instid0(VALU_DEP_1) | instskip(SKIP_1) | instid1(VALU_DEP_2)
	v_subrev_nc_u32_e32 v144, 29, v135
	v_sub_nc_u32_e32 v135, 30, v135
	v_lshlrev_b32_e32 v134, v144, v134
	v_bfe_u32 v144, v15, 18, 5
	s_delay_alu instid0(VALU_DEP_1) | instskip(NEXT) | instid1(VALU_DEP_3)
	v_cmp_eq_u32_e32 vcc_lo, 0, v144
	v_dual_cndmask_b32 v135, v144, v135 :: v_dual_and_b32 v134, 3, v134
	s_delay_alu instid0(VALU_DEP_1) | instskip(NEXT) | instid1(VALU_DEP_2)
	v_dual_cndmask_b32 v133, v133, v134 :: v_dual_and_b32 v134, 0x80000000, v145
	v_lshl_add_u32 v135, v135, 23, 0x37800000
	s_delay_alu instid0(VALU_DEP_2) | instskip(NEXT) | instid1(VALU_DEP_1)
	v_lshlrev_b32_e32 v133, 21, v133
	v_or3_b32 v133, v134, v135, v133
.LBB4_500:                              ;   in Loop: Header=BB4_144 Depth=2
	s_or_b32 exec_lo, exec_lo, s24
	v_lshrrev_b32_e32 v134, 16, v11
	s_mov_b32 s11, 0
	s_mov_b32 s25, exec_lo
                                        ; implicit-def: $sgpr24
	s_delay_alu instid0(VALU_DEP_1) | instskip(NEXT) | instid1(VALU_DEP_1)
	v_and_b32_e32 v144, 0xff, v134
	v_cmpx_lt_i16_e64 0x7f, v144
	s_xor_b32 s25, exec_lo, s25
	s_cbranch_execnz .LBB4_834
; %bb.501:                              ;   in Loop: Header=BB4_144 Depth=2
	s_or_saveexec_b32 s25, s25
	v_mov_b32_e32 v135, s24
	s_xor_b32 exec_lo, exec_lo, s25
	s_cbranch_execnz .LBB4_837
.LBB4_502:                              ;   in Loop: Header=BB4_144 Depth=2
	s_or_b32 exec_lo, exec_lo, s25
	s_and_saveexec_b32 s24, s11
	s_cbranch_execz .LBB4_504
.LBB4_503:                              ;   in Loop: Header=BB4_144 Depth=2
	v_bfe_u32 v135, v11, 16, 2
	v_lshlrev_b32_e32 v146, 8, v11
	s_delay_alu instid0(VALU_DEP_2) | instskip(NEXT) | instid1(VALU_DEP_1)
	v_clz_i32_u32_e32 v144, v135
	v_min_u32_e32 v144, 32, v144
	s_delay_alu instid0(VALU_DEP_1) | instskip(SKIP_1) | instid1(VALU_DEP_2)
	v_subrev_nc_u32_e32 v145, 29, v144
	v_sub_nc_u32_e32 v144, 30, v144
	v_lshlrev_b32_e32 v134, v145, v134
	v_bfe_u32 v145, v11, 18, 5
	s_delay_alu instid0(VALU_DEP_2) | instskip(NEXT) | instid1(VALU_DEP_2)
	v_and_b32_e32 v134, 3, v134
	v_cmp_eq_u32_e32 vcc_lo, 0, v145
	v_cndmask_b32_e32 v144, v145, v144, vcc_lo
	s_delay_alu instid0(VALU_DEP_3) | instskip(SKIP_1) | instid1(VALU_DEP_3)
	v_cndmask_b32_e32 v134, v135, v134, vcc_lo
	v_and_b32_e32 v135, 0x80000000, v146
	v_lshl_add_u32 v144, v144, 23, 0x37800000
	s_delay_alu instid0(VALU_DEP_3) | instskip(NEXT) | instid1(VALU_DEP_1)
	v_lshlrev_b32_e32 v134, 21, v134
	v_or3_b32 v135, v135, v144, v134
.LBB4_504:                              ;   in Loop: Header=BB4_144 Depth=2
	s_or_b32 exec_lo, exec_lo, s24
	s_delay_alu instid0(VALU_DEP_1) | instskip(NEXT) | instid1(VALU_DEP_1)
	v_mul_f32_e32 v134, v133, v135
	v_and_b32_e32 v133, 0x7f800000, v134
	s_delay_alu instid0(VALU_DEP_1)
	v_cmp_ne_u32_e32 vcc_lo, 0x7f800000, v133
	v_mov_b32_e32 v133, 0x80
	s_and_saveexec_b32 s24, vcc_lo
	s_cbranch_execz .LBB4_512
; %bb.505:                              ;   in Loop: Header=BB4_144 Depth=2
	v_mov_b32_e32 v133, 0
	s_mov_b32 s25, exec_lo
	v_cmpx_ne_u32_e32 0, v134
	s_cbranch_execz .LBB4_511
; %bb.506:                              ;   in Loop: Header=BB4_144 Depth=2
	v_bfe_u32 v133, v134, 23, 8
	s_delay_alu instid0(VALU_DEP_1) | instskip(SKIP_1) | instid1(VALU_DEP_2)
	v_sub_nc_u32_e32 v144, 0x70, v133
	v_cmp_gt_u32_e32 vcc_lo, 0x71, v133
	v_dual_cndmask_b32 v144, 0, v144 :: v_dual_and_b32 v135, 0x7fffff, v134
	s_delay_alu instid0(VALU_DEP_1) | instskip(SKIP_2) | instid1(VALU_DEP_4)
	v_or_b32_e32 v145, 0x800000, v135
	v_cmp_eq_u32_e32 vcc_lo, 0, v133
	v_add_nc_u32_e32 v133, 0xffffff91, v133
	v_cndmask_b32_e64 v144, v144, 0x6f, vcc_lo
	s_delay_alu instid0(VALU_DEP_2) | instskip(SKIP_1) | instid1(VALU_DEP_3)
	v_cndmask_b32_e64 v133, v133, 0xffffff92, vcc_lo
	v_cndmask_b32_e32 v135, v145, v135, vcc_lo
	v_lshl_add_u32 v145, 0x200000, v144, -1
	v_lshlrev_b32_e64 v148, v144, 0x100000
	s_delay_alu instid0(VALU_DEP_3) | instskip(SKIP_1) | instid1(VALU_DEP_4)
	v_lshrrev_b32_e32 v146, v144, v135
	v_add_nc_u32_e32 v144, v144, v133
	v_and_b32_e32 v135, v145, v135
	s_delay_alu instid0(VALU_DEP_3) | instskip(NEXT) | instid1(VALU_DEP_2)
	v_bfe_u32 v147, v146, 21, 1
	v_cmp_eq_u32_e64 s11, v135, v148
	s_delay_alu instid0(VALU_DEP_2) | instskip(NEXT) | instid1(VALU_DEP_1)
	v_add_nc_u32_e32 v145, -1, v147
	v_cndmask_b32_e64 v135, 0, v145, s11
	v_lshrrev_b32_e32 v145, 23, v146
	s_mov_b32 s11, exec_lo
	s_delay_alu instid0(VALU_DEP_2) | instskip(NEXT) | instid1(VALU_DEP_2)
	v_add_nc_u32_e32 v135, v135, v146
	v_xor_b32_e32 v145, 1, v145
	s_delay_alu instid0(VALU_DEP_2) | instskip(NEXT) | instid1(VALU_DEP_1)
	v_and_b32_e32 v133, 0x1fffff, v135
	v_add_nc_u32_e32 v135, v133, v146
                                        ; implicit-def: $vgpr133
	s_delay_alu instid0(VALU_DEP_3)
	v_cmpx_ne_u32_e64 v144, v145
	s_xor_b32 s11, exec_lo, s11
; %bb.507:                              ;   in Loop: Header=BB4_144 Depth=2
	s_delay_alu instid0(VALU_DEP_2) | instskip(SKIP_2) | instid1(VALU_DEP_2)
	v_cmp_lt_u32_e32 vcc_lo, 0xffffff, v135
	v_sub_nc_u32_e32 v133, v144, v145
	v_cndmask_b32_e64 v144, 0, 1, vcc_lo
	v_add_co_ci_u32_e32 v133, vcc_lo, 0, v133, vcc_lo
	s_delay_alu instid0(VALU_DEP_2)
	v_lshrrev_b32_e32 v135, v144, v135
; %bb.508:                              ;   in Loop: Header=BB4_144 Depth=2
	s_and_not1_saveexec_b32 s11, s11
; %bb.509:                              ;   in Loop: Header=BB4_144 Depth=2
	s_delay_alu instid0(VALU_DEP_1)
	v_bfe_u32 v133, v135, 23, 1
; %bb.510:                              ;   in Loop: Header=BB4_144 Depth=2
	s_or_b32 exec_lo, exec_lo, s11
	v_lshrrev_b32_e32 v135, 21, v135
	s_delay_alu instid0(VALU_DEP_2) | instskip(SKIP_2) | instid1(VALU_DEP_2)
	v_cmp_gt_i32_e32 vcc_lo, 32, v133
	v_min_i32_e32 v144, 31, v133
	v_lshrrev_b32_e32 v134, 24, v134
	v_dual_cndmask_b32 v135, 3, v135 :: v_dual_lshlrev_b32 v144, 2, v144
	s_delay_alu instid0(VALU_DEP_2) | instskip(NEXT) | instid1(VALU_DEP_2)
	v_and_b32_e32 v134, 0x80, v134
	v_or_b32_e32 v133, v133, v135
	v_and_b32_e32 v145, 3, v135
	s_delay_alu instid0(VALU_DEP_2) | instskip(SKIP_1) | instid1(VALU_DEP_1)
	v_cmp_ne_u32_e32 vcc_lo, 0, v133
	v_and_b32_e32 v144, 0xfc, v144
	v_or3_b32 v134, v144, v134, v145
	s_delay_alu instid0(VALU_DEP_1)
	v_cndmask_b32_e32 v133, 0, v134, vcc_lo
.LBB4_511:                              ;   in Loop: Header=BB4_144 Depth=2
	s_or_b32 exec_lo, exec_lo, s25
.LBB4_512:                              ;   in Loop: Header=BB4_144 Depth=2
	s_delay_alu instid0(SALU_CYCLE_1) | instskip(SKIP_3) | instid1(VALU_DEP_1)
	s_or_b32 exec_lo, exec_lo, s24
	v_lshrrev_b32_e32 v135, 24, v15
	s_mov_b32 s11, 0
	s_mov_b32 s25, exec_lo
                                        ; implicit-def: $sgpr24
	v_cmpx_lt_i16_e64 0x7f, v135
	s_xor_b32 s25, exec_lo, s25
	s_cbranch_execnz .LBB4_838
; %bb.513:                              ;   in Loop: Header=BB4_144 Depth=2
	s_or_saveexec_b32 s25, s25
	v_mov_b32_e32 v134, s24
	s_xor_b32 exec_lo, exec_lo, s25
	s_cbranch_execnz .LBB4_841
.LBB4_514:                              ;   in Loop: Header=BB4_144 Depth=2
	s_or_b32 exec_lo, exec_lo, s25
	s_and_saveexec_b32 s24, s11
	s_cbranch_execz .LBB4_516
.LBB4_515:                              ;   in Loop: Header=BB4_144 Depth=2
	v_bfe_u32 v134, v15, 24, 2
	s_delay_alu instid0(VALU_DEP_1) | instskip(NEXT) | instid1(VALU_DEP_1)
	v_clz_i32_u32_e32 v144, v134
	v_min_u32_e32 v144, 32, v144
	s_delay_alu instid0(VALU_DEP_1) | instskip(SKIP_1) | instid1(VALU_DEP_2)
	v_subrev_nc_u32_e32 v145, 29, v144
	v_sub_nc_u32_e32 v144, 30, v144
	v_lshlrev_b32_e32 v135, v145, v135
	v_bfe_u32 v145, v15, 26, 5
	v_and_b32_e32 v15, 0x80000000, v15
	s_delay_alu instid0(VALU_DEP_2) | instskip(NEXT) | instid1(VALU_DEP_4)
	v_cmp_eq_u32_e32 vcc_lo, 0, v145
	v_dual_cndmask_b32 v144, v145, v144 :: v_dual_and_b32 v135, 3, v135
	s_delay_alu instid0(VALU_DEP_1) | instskip(NEXT) | instid1(VALU_DEP_2)
	v_cndmask_b32_e32 v134, v134, v135, vcc_lo
	v_lshl_add_u32 v135, v144, 23, 0x37800000
	s_delay_alu instid0(VALU_DEP_2) | instskip(NEXT) | instid1(VALU_DEP_1)
	v_lshlrev_b32_e32 v134, 21, v134
	v_or3_b32 v134, v15, v135, v134
.LBB4_516:                              ;   in Loop: Header=BB4_144 Depth=2
	s_or_b32 exec_lo, exec_lo, s24
	v_lshrrev_b32_e32 v15, 24, v11
	s_mov_b32 s11, 0
	s_mov_b32 s25, exec_lo
                                        ; implicit-def: $sgpr24
	s_delay_alu instid0(VALU_DEP_1)
	v_cmpx_lt_i16_e32 0x7f, v15
	s_xor_b32 s25, exec_lo, s25
	s_cbranch_execnz .LBB4_842
; %bb.517:                              ;   in Loop: Header=BB4_144 Depth=2
	s_or_saveexec_b32 s25, s25
	v_mov_b32_e32 v135, s24
	s_xor_b32 exec_lo, exec_lo, s25
	s_cbranch_execnz .LBB4_845
.LBB4_518:                              ;   in Loop: Header=BB4_144 Depth=2
	s_or_b32 exec_lo, exec_lo, s25
	s_and_saveexec_b32 s24, s11
	s_cbranch_execz .LBB4_520
.LBB4_519:                              ;   in Loop: Header=BB4_144 Depth=2
	v_bfe_u32 v135, v11, 24, 2
	s_delay_alu instid0(VALU_DEP_1) | instskip(NEXT) | instid1(VALU_DEP_1)
	v_clz_i32_u32_e32 v144, v135
	v_min_u32_e32 v144, 32, v144
	s_delay_alu instid0(VALU_DEP_1) | instskip(SKIP_1) | instid1(VALU_DEP_2)
	v_subrev_nc_u32_e32 v145, 29, v144
	v_sub_nc_u32_e32 v144, 30, v144
	v_lshlrev_b32_e32 v15, v145, v15
	v_bfe_u32 v145, v11, 26, 5
	v_and_b32_e32 v11, 0x80000000, v11
	s_delay_alu instid0(VALU_DEP_2) | instskip(NEXT) | instid1(VALU_DEP_4)
	v_cmp_eq_u32_e32 vcc_lo, 0, v145
	v_dual_cndmask_b32 v144, v145, v144 :: v_dual_and_b32 v15, 3, v15
	s_delay_alu instid0(VALU_DEP_1) | instskip(NEXT) | instid1(VALU_DEP_2)
	v_cndmask_b32_e32 v15, v135, v15, vcc_lo
	v_lshl_add_u32 v135, v144, 23, 0x37800000
	s_delay_alu instid0(VALU_DEP_2) | instskip(NEXT) | instid1(VALU_DEP_1)
	v_lshlrev_b32_e32 v15, 21, v15
	v_or3_b32 v135, v11, v135, v15
.LBB4_520:                              ;   in Loop: Header=BB4_144 Depth=2
	s_or_b32 exec_lo, exec_lo, s24
	s_delay_alu instid0(VALU_DEP_1) | instskip(NEXT) | instid1(VALU_DEP_1)
	v_mul_f32_e32 v15, v134, v135
	v_and_b32_e32 v11, 0x7f800000, v15
	s_delay_alu instid0(VALU_DEP_1)
	v_cmp_ne_u32_e32 vcc_lo, 0x7f800000, v11
	v_mov_b32_e32 v11, 0x8000
	s_and_saveexec_b32 s24, vcc_lo
	s_cbranch_execz .LBB4_528
; %bb.521:                              ;   in Loop: Header=BB4_144 Depth=2
	v_mov_b32_e32 v11, 0
	s_mov_b32 s25, exec_lo
	v_cmpx_ne_u32_e32 0, v15
	s_cbranch_execz .LBB4_527
; %bb.522:                              ;   in Loop: Header=BB4_144 Depth=2
	v_bfe_u32 v11, v15, 23, 8
	v_and_b32_e32 v134, 0x7fffff, v15
	s_delay_alu instid0(VALU_DEP_2) | instskip(SKIP_1) | instid1(VALU_DEP_3)
	v_sub_nc_u32_e32 v135, 0x70, v11
	v_cmp_gt_u32_e32 vcc_lo, 0x71, v11
	v_or_b32_e32 v144, 0x800000, v134
	s_delay_alu instid0(VALU_DEP_3) | instskip(SKIP_1) | instid1(VALU_DEP_3)
	v_cndmask_b32_e32 v135, 0, v135, vcc_lo
	v_cmp_eq_u32_e32 vcc_lo, 0, v11
	v_dual_cndmask_b32 v134, v144, v134 :: v_dual_add_nc_u32 v11, 0xffffff91, v11
	s_delay_alu instid0(VALU_DEP_3) | instskip(NEXT) | instid1(VALU_DEP_2)
	v_cndmask_b32_e64 v135, v135, 0x6f, vcc_lo
	v_cndmask_b32_e64 v11, v11, 0xffffff92, vcc_lo
	s_delay_alu instid0(VALU_DEP_2) | instskip(SKIP_2) | instid1(VALU_DEP_4)
	v_lshrrev_b32_e32 v145, v135, v134
	v_lshl_add_u32 v144, 0x200000, v135, -1
	v_lshlrev_b32_e64 v147, v135, 0x100000
	v_add_nc_u32_e32 v135, v135, v11
	s_delay_alu instid0(VALU_DEP_4) | instskip(NEXT) | instid1(VALU_DEP_4)
	v_bfe_u32 v146, v145, 21, 1
	v_and_b32_e32 v134, v144, v134
	s_delay_alu instid0(VALU_DEP_2) | instskip(NEXT) | instid1(VALU_DEP_2)
	v_add_nc_u32_e32 v144, -1, v146
	v_cmp_eq_u32_e64 s11, v134, v147
	s_delay_alu instid0(VALU_DEP_1) | instskip(SKIP_2) | instid1(VALU_DEP_2)
	v_cndmask_b32_e64 v134, 0, v144, s11
	v_lshrrev_b32_e32 v144, 23, v145
	s_mov_b32 s11, exec_lo
	v_add_nc_u32_e32 v134, v134, v145
	s_delay_alu instid0(VALU_DEP_2) | instskip(NEXT) | instid1(VALU_DEP_2)
	v_xor_b32_e32 v144, 1, v144
	v_and_b32_e32 v11, 0x1fffff, v134
	s_delay_alu instid0(VALU_DEP_1) | instskip(NEXT) | instid1(VALU_DEP_3)
	v_add_nc_u32_e32 v134, v11, v145
                                        ; implicit-def: $vgpr11
	v_cmpx_ne_u32_e64 v135, v144
	s_xor_b32 s11, exec_lo, s11
; %bb.523:                              ;   in Loop: Header=BB4_144 Depth=2
	s_delay_alu instid0(VALU_DEP_2) | instskip(SKIP_2) | instid1(VALU_DEP_2)
	v_cmp_lt_u32_e32 vcc_lo, 0xffffff, v134
	v_sub_nc_u32_e32 v11, v135, v144
	v_cndmask_b32_e64 v135, 0, 1, vcc_lo
	v_add_co_ci_u32_e32 v11, vcc_lo, 0, v11, vcc_lo
	s_delay_alu instid0(VALU_DEP_2)
	v_lshrrev_b32_e32 v134, v135, v134
; %bb.524:                              ;   in Loop: Header=BB4_144 Depth=2
	s_and_not1_saveexec_b32 s11, s11
; %bb.525:                              ;   in Loop: Header=BB4_144 Depth=2
	s_delay_alu instid0(VALU_DEP_1)
	v_bfe_u32 v11, v134, 23, 1
; %bb.526:                              ;   in Loop: Header=BB4_144 Depth=2
	s_or_b32 exec_lo, exec_lo, s11
	v_lshrrev_b32_e32 v134, 21, v134
	s_delay_alu instid0(VALU_DEP_2) | instskip(SKIP_2) | instid1(VALU_DEP_2)
	v_cmp_gt_i32_e32 vcc_lo, 32, v11
	v_min_i32_e32 v135, 31, v11
	v_lshrrev_b32_e32 v15, 24, v15
	v_dual_cndmask_b32 v134, 3, v134 :: v_dual_lshlrev_b32 v135, 2, v135
	s_delay_alu instid0(VALU_DEP_2) | instskip(NEXT) | instid1(VALU_DEP_2)
	v_and_b32_e32 v15, 0x80, v15
	v_or_b32_e32 v11, v11, v134
	s_delay_alu instid0(VALU_DEP_3) | instskip(NEXT) | instid1(VALU_DEP_2)
	v_and_b32_e32 v135, 0xfc, v135
	v_cmp_ne_u32_e32 vcc_lo, 0, v11
	v_and_b32_e32 v144, 3, v134
	s_delay_alu instid0(VALU_DEP_1) | instskip(NEXT) | instid1(VALU_DEP_1)
	v_or3_b32 v15, v15, v135, v144
	v_lshlrev_b32_e32 v15, 8, v15
	s_delay_alu instid0(VALU_DEP_1)
	v_cndmask_b32_e32 v11, 0, v15, vcc_lo
.LBB4_527:                              ;   in Loop: Header=BB4_144 Depth=2
	s_or_b32 exec_lo, exec_lo, s25
.LBB4_528:                              ;   in Loop: Header=BB4_144 Depth=2
	s_delay_alu instid0(SALU_CYCLE_1) | instskip(SKIP_3) | instid1(VALU_DEP_1)
	s_or_b32 exec_lo, exec_lo, s24
	v_and_b32_e32 v134, 0xff, v16
	s_mov_b32 s11, 0
	s_mov_b32 s25, exec_lo
                                        ; implicit-def: $sgpr24
	v_cmpx_lt_i16_e64 0x7f, v134
	s_xor_b32 s25, exec_lo, s25
	s_cbranch_execnz .LBB4_846
; %bb.529:                              ;   in Loop: Header=BB4_144 Depth=2
	s_or_saveexec_b32 s25, s25
	v_mov_b32_e32 v15, s24
	s_xor_b32 exec_lo, exec_lo, s25
	s_cbranch_execnz .LBB4_849
.LBB4_530:                              ;   in Loop: Header=BB4_144 Depth=2
	s_or_b32 exec_lo, exec_lo, s25
	s_and_saveexec_b32 s24, s11
	s_cbranch_execz .LBB4_532
.LBB4_531:                              ;   in Loop: Header=BB4_144 Depth=2
	v_bfe_u32 v144, v16, 2, 5
	v_lshlrev_b32_e32 v145, 24, v16
	s_delay_alu instid0(VALU_DEP_2) | instskip(SKIP_1) | instid1(VALU_DEP_1)
	v_cmp_eq_u32_e32 vcc_lo, 0, v144
	v_and_b32_e32 v15, 3, v16
	v_clz_i32_u32_e32 v134, v15
	s_delay_alu instid0(VALU_DEP_1) | instskip(NEXT) | instid1(VALU_DEP_1)
	v_min_u32_e32 v134, 32, v134
	v_subrev_nc_u32_e32 v135, 29, v134
	v_sub_nc_u32_e32 v134, 30, v134
	s_delay_alu instid0(VALU_DEP_1) | instskip(NEXT) | instid1(VALU_DEP_1)
	v_dual_cndmask_b32 v134, v144, v134 :: v_dual_lshlrev_b32 v135, v135, v16
	v_and_b32_e32 v135, 3, v135
	s_delay_alu instid0(VALU_DEP_2) | instskip(NEXT) | instid1(VALU_DEP_2)
	v_lshl_add_u32 v134, v134, 23, 0x37800000
	v_cndmask_b32_e32 v15, v15, v135, vcc_lo
	v_and_b32_e32 v135, 0x80000000, v145
	s_delay_alu instid0(VALU_DEP_2) | instskip(NEXT) | instid1(VALU_DEP_1)
	v_lshlrev_b32_e32 v15, 21, v15
	v_or3_b32 v15, v135, v134, v15
.LBB4_532:                              ;   in Loop: Header=BB4_144 Depth=2
	s_or_b32 exec_lo, exec_lo, s24
	v_and_b32_e32 v135, 0xff, v12
	s_mov_b32 s11, 0
	s_mov_b32 s25, exec_lo
                                        ; implicit-def: $sgpr24
	s_delay_alu instid0(VALU_DEP_1)
	v_cmpx_lt_i16_e64 0x7f, v135
	s_xor_b32 s25, exec_lo, s25
	s_cbranch_execnz .LBB4_850
; %bb.533:                              ;   in Loop: Header=BB4_144 Depth=2
	s_or_saveexec_b32 s25, s25
	v_mov_b32_e32 v134, s24
	s_xor_b32 exec_lo, exec_lo, s25
	s_cbranch_execnz .LBB4_853
.LBB4_534:                              ;   in Loop: Header=BB4_144 Depth=2
	s_or_b32 exec_lo, exec_lo, s25
	s_and_saveexec_b32 s24, s11
	s_cbranch_execz .LBB4_536
.LBB4_535:                              ;   in Loop: Header=BB4_144 Depth=2
	v_bfe_u32 v145, v12, 2, 5
	v_lshlrev_b32_e32 v146, 24, v12
	s_delay_alu instid0(VALU_DEP_2) | instskip(SKIP_1) | instid1(VALU_DEP_1)
	v_cmp_eq_u32_e32 vcc_lo, 0, v145
	v_and_b32_e32 v134, 3, v12
	v_clz_i32_u32_e32 v135, v134
	s_delay_alu instid0(VALU_DEP_1) | instskip(NEXT) | instid1(VALU_DEP_1)
	v_min_u32_e32 v135, 32, v135
	v_subrev_nc_u32_e32 v144, 29, v135
	v_sub_nc_u32_e32 v135, 30, v135
	s_delay_alu instid0(VALU_DEP_1) | instskip(NEXT) | instid1(VALU_DEP_1)
	v_dual_cndmask_b32 v135, v145, v135 :: v_dual_lshlrev_b32 v144, v144, v12
	v_and_b32_e32 v144, 3, v144
	s_delay_alu instid0(VALU_DEP_2) | instskip(NEXT) | instid1(VALU_DEP_2)
	v_lshl_add_u32 v135, v135, 23, 0x37800000
	v_cndmask_b32_e32 v134, v134, v144, vcc_lo
	v_and_b32_e32 v144, 0x80000000, v146
	s_delay_alu instid0(VALU_DEP_2) | instskip(NEXT) | instid1(VALU_DEP_1)
	v_lshlrev_b32_e32 v134, 21, v134
	v_or3_b32 v134, v144, v135, v134
.LBB4_536:                              ;   in Loop: Header=BB4_144 Depth=2
	s_or_b32 exec_lo, exec_lo, s24
	s_delay_alu instid0(VALU_DEP_1) | instskip(NEXT) | instid1(VALU_DEP_1)
	v_mul_f32_e32 v134, v15, v134
	v_and_b32_e32 v15, 0x7f800000, v134
	s_delay_alu instid0(VALU_DEP_1)
	v_cmp_ne_u32_e32 vcc_lo, 0x7f800000, v15
	v_mov_b32_e32 v15, 0x80
	s_and_saveexec_b32 s24, vcc_lo
	s_cbranch_execz .LBB4_544
; %bb.537:                              ;   in Loop: Header=BB4_144 Depth=2
	v_mov_b32_e32 v15, 0
	s_mov_b32 s25, exec_lo
	v_cmpx_ne_u32_e32 0, v134
	s_cbranch_execz .LBB4_543
; %bb.538:                              ;   in Loop: Header=BB4_144 Depth=2
	v_bfe_u32 v15, v134, 23, 8
	s_delay_alu instid0(VALU_DEP_1) | instskip(SKIP_1) | instid1(VALU_DEP_2)
	v_sub_nc_u32_e32 v144, 0x70, v15
	v_cmp_gt_u32_e32 vcc_lo, 0x71, v15
	v_dual_cndmask_b32 v144, 0, v144 :: v_dual_and_b32 v135, 0x7fffff, v134
	s_delay_alu instid0(VALU_DEP_1) | instskip(SKIP_2) | instid1(VALU_DEP_4)
	v_or_b32_e32 v145, 0x800000, v135
	v_cmp_eq_u32_e32 vcc_lo, 0, v15
	v_add_nc_u32_e32 v15, 0xffffff91, v15
	v_cndmask_b32_e64 v144, v144, 0x6f, vcc_lo
	s_delay_alu instid0(VALU_DEP_4) | instskip(NEXT) | instid1(VALU_DEP_3)
	v_cndmask_b32_e32 v135, v145, v135, vcc_lo
	v_cndmask_b32_e64 v15, v15, 0xffffff92, vcc_lo
	s_delay_alu instid0(VALU_DEP_3) | instskip(NEXT) | instid1(VALU_DEP_3)
	v_lshl_add_u32 v145, 0x200000, v144, -1
	v_lshrrev_b32_e32 v146, v144, v135
	v_lshlrev_b32_e64 v148, v144, 0x100000
	s_delay_alu instid0(VALU_DEP_4) | instskip(NEXT) | instid1(VALU_DEP_4)
	v_add_nc_u32_e32 v144, v144, v15
	v_and_b32_e32 v135, v145, v135
	s_delay_alu instid0(VALU_DEP_4) | instskip(NEXT) | instid1(VALU_DEP_2)
	v_bfe_u32 v147, v146, 21, 1
	v_cmp_eq_u32_e64 s11, v135, v148
	s_delay_alu instid0(VALU_DEP_2) | instskip(NEXT) | instid1(VALU_DEP_1)
	v_add_nc_u32_e32 v145, -1, v147
	v_cndmask_b32_e64 v135, 0, v145, s11
	v_lshrrev_b32_e32 v145, 23, v146
	s_mov_b32 s11, exec_lo
	s_delay_alu instid0(VALU_DEP_2) | instskip(NEXT) | instid1(VALU_DEP_2)
	v_add_nc_u32_e32 v135, v135, v146
	v_xor_b32_e32 v145, 1, v145
	s_delay_alu instid0(VALU_DEP_2) | instskip(NEXT) | instid1(VALU_DEP_1)
	v_and_b32_e32 v15, 0x1fffff, v135
	v_add_nc_u32_e32 v135, v15, v146
                                        ; implicit-def: $vgpr15
	s_delay_alu instid0(VALU_DEP_3)
	v_cmpx_ne_u32_e64 v144, v145
	s_xor_b32 s11, exec_lo, s11
; %bb.539:                              ;   in Loop: Header=BB4_144 Depth=2
	s_delay_alu instid0(VALU_DEP_2) | instskip(SKIP_2) | instid1(VALU_DEP_2)
	v_cmp_lt_u32_e32 vcc_lo, 0xffffff, v135
	v_sub_nc_u32_e32 v15, v144, v145
	v_cndmask_b32_e64 v144, 0, 1, vcc_lo
	v_add_co_ci_u32_e32 v15, vcc_lo, 0, v15, vcc_lo
	s_delay_alu instid0(VALU_DEP_2)
	v_lshrrev_b32_e32 v135, v144, v135
; %bb.540:                              ;   in Loop: Header=BB4_144 Depth=2
	s_and_not1_saveexec_b32 s11, s11
; %bb.541:                              ;   in Loop: Header=BB4_144 Depth=2
	s_delay_alu instid0(VALU_DEP_1)
	v_bfe_u32 v15, v135, 23, 1
; %bb.542:                              ;   in Loop: Header=BB4_144 Depth=2
	s_or_b32 exec_lo, exec_lo, s11
	v_lshrrev_b32_e32 v135, 21, v135
	s_delay_alu instid0(VALU_DEP_2) | instskip(SKIP_2) | instid1(VALU_DEP_2)
	v_cmp_gt_i32_e32 vcc_lo, 32, v15
	v_lshrrev_b32_e32 v134, 24, v134
	v_min_i32_e32 v144, 31, v15
	v_dual_cndmask_b32 v135, 3, v135 :: v_dual_and_b32 v134, 0x80, v134
	s_delay_alu instid0(VALU_DEP_1) | instskip(SKIP_1) | instid1(VALU_DEP_2)
	v_or_b32_e32 v15, v15, v135
	v_and_b32_e32 v145, 3, v135
	v_cmp_ne_u32_e32 vcc_lo, 0, v15
	v_lshlrev_b32_e32 v144, 2, v144
	s_delay_alu instid0(VALU_DEP_1) | instskip(NEXT) | instid1(VALU_DEP_1)
	v_or3_b32 v134, v144, v134, v145
	v_cndmask_b32_e32 v15, 0, v134, vcc_lo
.LBB4_543:                              ;   in Loop: Header=BB4_144 Depth=2
	s_or_b32 exec_lo, exec_lo, s25
.LBB4_544:                              ;   in Loop: Header=BB4_144 Depth=2
	s_delay_alu instid0(SALU_CYCLE_1) | instskip(SKIP_3) | instid1(VALU_DEP_1)
	s_or_b32 exec_lo, exec_lo, s24
	v_lshrrev_b16 v135, 8, v16
	s_mov_b32 s11, 0
	s_mov_b32 s25, exec_lo
                                        ; implicit-def: $sgpr24
	v_cmpx_lt_i16_e64 0x7f, v135
	s_xor_b32 s25, exec_lo, s25
	s_cbranch_execnz .LBB4_854
; %bb.545:                              ;   in Loop: Header=BB4_144 Depth=2
	s_or_saveexec_b32 s25, s25
	v_mov_b32_e32 v134, s24
	s_xor_b32 exec_lo, exec_lo, s25
	s_cbranch_execnz .LBB4_857
.LBB4_546:                              ;   in Loop: Header=BB4_144 Depth=2
	s_or_b32 exec_lo, exec_lo, s25
	s_and_saveexec_b32 s24, s11
	s_cbranch_execz .LBB4_548
.LBB4_547:                              ;   in Loop: Header=BB4_144 Depth=2
	v_and_b32_e32 v134, 0xffff, v135
	s_delay_alu instid0(VALU_DEP_1) | instskip(NEXT) | instid1(VALU_DEP_1)
	v_and_b32_e32 v144, 3, v134
	v_clz_i32_u32_e32 v145, v144
	s_delay_alu instid0(VALU_DEP_1) | instskip(NEXT) | instid1(VALU_DEP_1)
	v_min_u32_e32 v145, 32, v145
	v_subrev_nc_u32_e32 v146, 29, v145
	v_sub_nc_u32_e32 v145, 30, v145
	s_delay_alu instid0(VALU_DEP_2) | instskip(SKIP_1) | instid1(VALU_DEP_2)
	v_lshlrev_b32_e32 v146, v146, v134
	v_bfe_u32 v134, v134, 2, 5
	v_and_b32_e32 v146, 3, v146
	s_delay_alu instid0(VALU_DEP_2) | instskip(SKIP_1) | instid1(VALU_DEP_1)
	v_cmp_eq_u32_e32 vcc_lo, 0, v134
	v_dual_cndmask_b32 v134, v134, v145 :: v_dual_lshlrev_b32 v135, 24, v135
	v_dual_cndmask_b32 v144, v144, v146 :: v_dual_and_b32 v135, 0x80000000, v135
	s_delay_alu instid0(VALU_DEP_2) | instskip(NEXT) | instid1(VALU_DEP_2)
	v_lshl_add_u32 v134, v134, 23, 0x37800000
	v_lshlrev_b32_e32 v144, 21, v144
	s_delay_alu instid0(VALU_DEP_1)
	v_or3_b32 v134, v135, v134, v144
.LBB4_548:                              ;   in Loop: Header=BB4_144 Depth=2
	s_or_b32 exec_lo, exec_lo, s24
	v_lshrrev_b16 v135, 8, v12
	s_mov_b32 s11, 0
	s_mov_b32 s25, exec_lo
                                        ; implicit-def: $sgpr24
	s_delay_alu instid0(VALU_DEP_1)
	v_cmpx_lt_i16_e64 0x7f, v135
	s_xor_b32 s25, exec_lo, s25
	s_cbranch_execnz .LBB4_858
; %bb.549:                              ;   in Loop: Header=BB4_144 Depth=2
	s_or_saveexec_b32 s25, s25
	v_mov_b32_e32 v144, s24
	s_xor_b32 exec_lo, exec_lo, s25
	s_cbranch_execnz .LBB4_861
.LBB4_550:                              ;   in Loop: Header=BB4_144 Depth=2
	s_or_b32 exec_lo, exec_lo, s25
	s_and_saveexec_b32 s24, s11
	s_cbranch_execz .LBB4_552
.LBB4_551:                              ;   in Loop: Header=BB4_144 Depth=2
	v_and_b32_e32 v144, 0xffff, v135
	v_lshlrev_b32_e32 v135, 24, v135
	s_delay_alu instid0(VALU_DEP_2) | instskip(NEXT) | instid1(VALU_DEP_2)
	v_and_b32_e32 v145, 3, v144
	v_and_b32_e32 v135, 0x80000000, v135
	s_delay_alu instid0(VALU_DEP_2) | instskip(NEXT) | instid1(VALU_DEP_1)
	v_clz_i32_u32_e32 v146, v145
	v_min_u32_e32 v146, 32, v146
	s_delay_alu instid0(VALU_DEP_1) | instskip(SKIP_1) | instid1(VALU_DEP_2)
	v_subrev_nc_u32_e32 v147, 29, v146
	v_sub_nc_u32_e32 v146, 30, v146
	v_lshlrev_b32_e32 v147, v147, v144
	v_bfe_u32 v144, v144, 2, 5
	s_delay_alu instid0(VALU_DEP_2) | instskip(NEXT) | instid1(VALU_DEP_2)
	v_and_b32_e32 v147, 3, v147
	v_cmp_eq_u32_e32 vcc_lo, 0, v144
	s_delay_alu instid0(VALU_DEP_2) | instskip(NEXT) | instid1(VALU_DEP_1)
	v_dual_cndmask_b32 v144, v144, v146 :: v_dual_cndmask_b32 v145, v145, v147
	v_lshl_add_u32 v144, v144, 23, 0x37800000
	s_delay_alu instid0(VALU_DEP_2) | instskip(NEXT) | instid1(VALU_DEP_1)
	v_lshlrev_b32_e32 v145, 21, v145
	v_or3_b32 v144, v135, v144, v145
.LBB4_552:                              ;   in Loop: Header=BB4_144 Depth=2
	s_or_b32 exec_lo, exec_lo, s24
	s_delay_alu instid0(VALU_DEP_1) | instskip(NEXT) | instid1(VALU_DEP_1)
	v_mul_f32_e32 v135, v134, v144
	v_and_b32_e32 v134, 0x7f800000, v135
	s_delay_alu instid0(VALU_DEP_1)
	v_cmp_ne_u32_e32 vcc_lo, 0x7f800000, v134
	v_mov_b32_e32 v134, 0x80
	s_and_saveexec_b32 s24, vcc_lo
	s_cbranch_execz .LBB4_560
; %bb.553:                              ;   in Loop: Header=BB4_144 Depth=2
	v_mov_b32_e32 v134, 0
	s_mov_b32 s25, exec_lo
	v_cmpx_ne_u32_e32 0, v135
	s_cbranch_execz .LBB4_559
; %bb.554:                              ;   in Loop: Header=BB4_144 Depth=2
	v_bfe_u32 v134, v135, 23, 8
	s_delay_alu instid0(VALU_DEP_1) | instskip(SKIP_1) | instid1(VALU_DEP_2)
	v_sub_nc_u32_e32 v145, 0x70, v134
	v_cmp_gt_u32_e32 vcc_lo, 0x71, v134
	v_dual_cndmask_b32 v145, 0, v145 :: v_dual_and_b32 v144, 0x7fffff, v135
	s_delay_alu instid0(VALU_DEP_1) | instskip(SKIP_2) | instid1(VALU_DEP_4)
	v_or_b32_e32 v146, 0x800000, v144
	v_cmp_eq_u32_e32 vcc_lo, 0, v134
	v_add_nc_u32_e32 v134, 0xffffff91, v134
	v_cndmask_b32_e64 v145, v145, 0x6f, vcc_lo
	s_delay_alu instid0(VALU_DEP_2) | instskip(SKIP_1) | instid1(VALU_DEP_3)
	v_cndmask_b32_e64 v134, v134, 0xffffff92, vcc_lo
	v_cndmask_b32_e32 v144, v146, v144, vcc_lo
	v_lshl_add_u32 v146, 0x200000, v145, -1
	v_lshlrev_b32_e64 v149, v145, 0x100000
	s_delay_alu instid0(VALU_DEP_3) | instskip(SKIP_1) | instid1(VALU_DEP_4)
	v_lshrrev_b32_e32 v147, v145, v144
	v_add_nc_u32_e32 v145, v145, v134
	v_and_b32_e32 v144, v146, v144
	s_delay_alu instid0(VALU_DEP_3) | instskip(NEXT) | instid1(VALU_DEP_2)
	v_bfe_u32 v148, v147, 21, 1
	v_cmp_eq_u32_e64 s11, v144, v149
	s_delay_alu instid0(VALU_DEP_2) | instskip(NEXT) | instid1(VALU_DEP_1)
	v_add_nc_u32_e32 v146, -1, v148
	v_cndmask_b32_e64 v144, 0, v146, s11
	v_lshrrev_b32_e32 v146, 23, v147
	s_mov_b32 s11, exec_lo
	s_delay_alu instid0(VALU_DEP_2) | instskip(NEXT) | instid1(VALU_DEP_2)
	v_add_nc_u32_e32 v144, v144, v147
	v_xor_b32_e32 v146, 1, v146
	s_delay_alu instid0(VALU_DEP_2) | instskip(NEXT) | instid1(VALU_DEP_1)
	v_and_b32_e32 v134, 0x1fffff, v144
	v_add_nc_u32_e32 v144, v134, v147
                                        ; implicit-def: $vgpr134
	s_delay_alu instid0(VALU_DEP_3)
	v_cmpx_ne_u32_e64 v145, v146
	s_xor_b32 s11, exec_lo, s11
; %bb.555:                              ;   in Loop: Header=BB4_144 Depth=2
	s_delay_alu instid0(VALU_DEP_2) | instskip(SKIP_2) | instid1(VALU_DEP_2)
	v_cmp_lt_u32_e32 vcc_lo, 0xffffff, v144
	v_sub_nc_u32_e32 v134, v145, v146
	v_cndmask_b32_e64 v145, 0, 1, vcc_lo
	v_add_co_ci_u32_e32 v134, vcc_lo, 0, v134, vcc_lo
	s_delay_alu instid0(VALU_DEP_2)
	v_lshrrev_b32_e32 v144, v145, v144
; %bb.556:                              ;   in Loop: Header=BB4_144 Depth=2
	s_and_not1_saveexec_b32 s11, s11
; %bb.557:                              ;   in Loop: Header=BB4_144 Depth=2
	s_delay_alu instid0(VALU_DEP_1)
	v_bfe_u32 v134, v144, 23, 1
; %bb.558:                              ;   in Loop: Header=BB4_144 Depth=2
	s_or_b32 exec_lo, exec_lo, s11
	v_lshrrev_b32_e32 v144, 21, v144
	s_delay_alu instid0(VALU_DEP_2) | instskip(SKIP_2) | instid1(VALU_DEP_2)
	v_cmp_gt_i32_e32 vcc_lo, 32, v134
	v_lshrrev_b32_e32 v135, 24, v135
	v_min_i32_e32 v145, 31, v134
	v_dual_cndmask_b32 v144, 3, v144 :: v_dual_and_b32 v135, 0x80, v135
	s_delay_alu instid0(VALU_DEP_1) | instskip(SKIP_1) | instid1(VALU_DEP_2)
	v_or_b32_e32 v134, v134, v144
	v_and_b32_e32 v146, 3, v144
	v_cmp_ne_u32_e32 vcc_lo, 0, v134
	v_lshlrev_b32_e32 v145, 2, v145
	s_delay_alu instid0(VALU_DEP_1) | instskip(NEXT) | instid1(VALU_DEP_1)
	v_or3_b32 v135, v145, v135, v146
	v_cndmask_b32_e32 v134, 0, v135, vcc_lo
.LBB4_559:                              ;   in Loop: Header=BB4_144 Depth=2
	s_or_b32 exec_lo, exec_lo, s25
.LBB4_560:                              ;   in Loop: Header=BB4_144 Depth=2
	s_delay_alu instid0(SALU_CYCLE_1) | instskip(SKIP_3) | instid1(VALU_DEP_1)
	s_or_b32 exec_lo, exec_lo, s24
	v_lshrrev_b32_e32 v144, 16, v16
	s_mov_b32 s11, 0
	s_mov_b32 s25, exec_lo
                                        ; implicit-def: $sgpr24
	v_and_b32_e32 v145, 0xff, v144
	s_delay_alu instid0(VALU_DEP_1)
	v_cmpx_lt_i16_e64 0x7f, v145
	s_xor_b32 s25, exec_lo, s25
	s_cbranch_execnz .LBB4_862
; %bb.561:                              ;   in Loop: Header=BB4_144 Depth=2
	s_or_saveexec_b32 s25, s25
	v_mov_b32_e32 v135, s24
	s_xor_b32 exec_lo, exec_lo, s25
	s_cbranch_execnz .LBB4_865
.LBB4_562:                              ;   in Loop: Header=BB4_144 Depth=2
	s_or_b32 exec_lo, exec_lo, s25
	s_and_saveexec_b32 s24, s11
	s_cbranch_execz .LBB4_564
.LBB4_563:                              ;   in Loop: Header=BB4_144 Depth=2
	v_bfe_u32 v135, v16, 16, 2
	v_lshlrev_b32_e32 v147, 8, v16
	s_delay_alu instid0(VALU_DEP_2) | instskip(NEXT) | instid1(VALU_DEP_1)
	v_clz_i32_u32_e32 v145, v135
	v_min_u32_e32 v145, 32, v145
	s_delay_alu instid0(VALU_DEP_1) | instskip(SKIP_1) | instid1(VALU_DEP_2)
	v_subrev_nc_u32_e32 v146, 29, v145
	v_sub_nc_u32_e32 v145, 30, v145
	v_lshlrev_b32_e32 v144, v146, v144
	v_bfe_u32 v146, v16, 18, 5
	s_delay_alu instid0(VALU_DEP_1) | instskip(NEXT) | instid1(VALU_DEP_3)
	v_cmp_eq_u32_e32 vcc_lo, 0, v146
	v_dual_cndmask_b32 v145, v146, v145 :: v_dual_and_b32 v144, 3, v144
	s_delay_alu instid0(VALU_DEP_1) | instskip(NEXT) | instid1(VALU_DEP_2)
	v_dual_cndmask_b32 v135, v135, v144 :: v_dual_and_b32 v144, 0x80000000, v147
	v_lshl_add_u32 v145, v145, 23, 0x37800000
	s_delay_alu instid0(VALU_DEP_2) | instskip(NEXT) | instid1(VALU_DEP_1)
	v_lshlrev_b32_e32 v135, 21, v135
	v_or3_b32 v135, v144, v145, v135
.LBB4_564:                              ;   in Loop: Header=BB4_144 Depth=2
	s_or_b32 exec_lo, exec_lo, s24
	v_lshrrev_b32_e32 v144, 16, v12
	s_mov_b32 s11, 0
	s_mov_b32 s25, exec_lo
                                        ; implicit-def: $sgpr24
	s_delay_alu instid0(VALU_DEP_1) | instskip(NEXT) | instid1(VALU_DEP_1)
	v_and_b32_e32 v146, 0xff, v144
	v_cmpx_lt_i16_e64 0x7f, v146
	s_xor_b32 s25, exec_lo, s25
	s_cbranch_execnz .LBB4_866
; %bb.565:                              ;   in Loop: Header=BB4_144 Depth=2
	s_or_saveexec_b32 s25, s25
	v_mov_b32_e32 v145, s24
	s_xor_b32 exec_lo, exec_lo, s25
	s_cbranch_execnz .LBB4_869
.LBB4_566:                              ;   in Loop: Header=BB4_144 Depth=2
	s_or_b32 exec_lo, exec_lo, s25
	s_and_saveexec_b32 s24, s11
	s_cbranch_execz .LBB4_568
.LBB4_567:                              ;   in Loop: Header=BB4_144 Depth=2
	v_bfe_u32 v145, v12, 16, 2
	v_lshlrev_b32_e32 v148, 8, v12
	s_delay_alu instid0(VALU_DEP_2) | instskip(NEXT) | instid1(VALU_DEP_1)
	v_clz_i32_u32_e32 v146, v145
	v_min_u32_e32 v146, 32, v146
	s_delay_alu instid0(VALU_DEP_1) | instskip(SKIP_1) | instid1(VALU_DEP_2)
	v_subrev_nc_u32_e32 v147, 29, v146
	v_sub_nc_u32_e32 v146, 30, v146
	v_lshlrev_b32_e32 v144, v147, v144
	v_bfe_u32 v147, v12, 18, 5
	s_delay_alu instid0(VALU_DEP_2) | instskip(NEXT) | instid1(VALU_DEP_2)
	v_and_b32_e32 v144, 3, v144
	v_cmp_eq_u32_e32 vcc_lo, 0, v147
	v_cndmask_b32_e32 v146, v147, v146, vcc_lo
	s_delay_alu instid0(VALU_DEP_3) | instskip(SKIP_1) | instid1(VALU_DEP_3)
	v_cndmask_b32_e32 v144, v145, v144, vcc_lo
	v_and_b32_e32 v145, 0x80000000, v148
	v_lshl_add_u32 v146, v146, 23, 0x37800000
	s_delay_alu instid0(VALU_DEP_3) | instskip(NEXT) | instid1(VALU_DEP_1)
	v_lshlrev_b32_e32 v144, 21, v144
	v_or3_b32 v145, v145, v146, v144
.LBB4_568:                              ;   in Loop: Header=BB4_144 Depth=2
	s_or_b32 exec_lo, exec_lo, s24
	s_delay_alu instid0(VALU_DEP_1) | instskip(NEXT) | instid1(VALU_DEP_1)
	v_mul_f32_e32 v144, v135, v145
	v_and_b32_e32 v135, 0x7f800000, v144
	s_delay_alu instid0(VALU_DEP_1)
	v_cmp_ne_u32_e32 vcc_lo, 0x7f800000, v135
	v_mov_b32_e32 v135, 0x80
	s_and_saveexec_b32 s24, vcc_lo
	s_cbranch_execz .LBB4_576
; %bb.569:                              ;   in Loop: Header=BB4_144 Depth=2
	v_mov_b32_e32 v135, 0
	s_mov_b32 s25, exec_lo
	v_cmpx_ne_u32_e32 0, v144
	s_cbranch_execz .LBB4_575
; %bb.570:                              ;   in Loop: Header=BB4_144 Depth=2
	v_bfe_u32 v135, v144, 23, 8
	s_delay_alu instid0(VALU_DEP_1) | instskip(SKIP_1) | instid1(VALU_DEP_2)
	v_sub_nc_u32_e32 v146, 0x70, v135
	v_cmp_gt_u32_e32 vcc_lo, 0x71, v135
	v_dual_cndmask_b32 v146, 0, v146 :: v_dual_and_b32 v145, 0x7fffff, v144
	s_delay_alu instid0(VALU_DEP_1) | instskip(SKIP_2) | instid1(VALU_DEP_4)
	v_or_b32_e32 v147, 0x800000, v145
	v_cmp_eq_u32_e32 vcc_lo, 0, v135
	v_add_nc_u32_e32 v135, 0xffffff91, v135
	v_cndmask_b32_e64 v146, v146, 0x6f, vcc_lo
	s_delay_alu instid0(VALU_DEP_2) | instskip(SKIP_1) | instid1(VALU_DEP_3)
	v_cndmask_b32_e64 v135, v135, 0xffffff92, vcc_lo
	v_cndmask_b32_e32 v145, v147, v145, vcc_lo
	v_lshl_add_u32 v147, 0x200000, v146, -1
	v_lshlrev_b32_e64 v150, v146, 0x100000
	s_delay_alu instid0(VALU_DEP_3) | instskip(SKIP_1) | instid1(VALU_DEP_4)
	v_lshrrev_b32_e32 v148, v146, v145
	v_add_nc_u32_e32 v146, v146, v135
	v_and_b32_e32 v145, v147, v145
	s_delay_alu instid0(VALU_DEP_3) | instskip(NEXT) | instid1(VALU_DEP_2)
	v_bfe_u32 v149, v148, 21, 1
	v_cmp_eq_u32_e64 s11, v145, v150
	s_delay_alu instid0(VALU_DEP_2) | instskip(NEXT) | instid1(VALU_DEP_1)
	v_add_nc_u32_e32 v147, -1, v149
	v_cndmask_b32_e64 v145, 0, v147, s11
	v_lshrrev_b32_e32 v147, 23, v148
	s_mov_b32 s11, exec_lo
	s_delay_alu instid0(VALU_DEP_2) | instskip(NEXT) | instid1(VALU_DEP_2)
	v_add_nc_u32_e32 v145, v145, v148
	v_xor_b32_e32 v147, 1, v147
	s_delay_alu instid0(VALU_DEP_2) | instskip(NEXT) | instid1(VALU_DEP_1)
	v_and_b32_e32 v135, 0x1fffff, v145
	v_add_nc_u32_e32 v145, v135, v148
                                        ; implicit-def: $vgpr135
	s_delay_alu instid0(VALU_DEP_3)
	v_cmpx_ne_u32_e64 v146, v147
	s_xor_b32 s11, exec_lo, s11
; %bb.571:                              ;   in Loop: Header=BB4_144 Depth=2
	s_delay_alu instid0(VALU_DEP_2) | instskip(SKIP_2) | instid1(VALU_DEP_2)
	v_cmp_lt_u32_e32 vcc_lo, 0xffffff, v145
	v_sub_nc_u32_e32 v135, v146, v147
	v_cndmask_b32_e64 v146, 0, 1, vcc_lo
	v_add_co_ci_u32_e32 v135, vcc_lo, 0, v135, vcc_lo
	s_delay_alu instid0(VALU_DEP_2)
	v_lshrrev_b32_e32 v145, v146, v145
; %bb.572:                              ;   in Loop: Header=BB4_144 Depth=2
	s_and_not1_saveexec_b32 s11, s11
; %bb.573:                              ;   in Loop: Header=BB4_144 Depth=2
	s_delay_alu instid0(VALU_DEP_1)
	v_bfe_u32 v135, v145, 23, 1
; %bb.574:                              ;   in Loop: Header=BB4_144 Depth=2
	s_or_b32 exec_lo, exec_lo, s11
	v_lshrrev_b32_e32 v145, 21, v145
	s_delay_alu instid0(VALU_DEP_2) | instskip(SKIP_2) | instid1(VALU_DEP_2)
	v_cmp_gt_i32_e32 vcc_lo, 32, v135
	v_lshrrev_b32_e32 v144, 24, v144
	v_min_i32_e32 v146, 31, v135
	v_dual_cndmask_b32 v145, 3, v145 :: v_dual_and_b32 v144, 0x80, v144
	s_delay_alu instid0(VALU_DEP_1) | instskip(SKIP_1) | instid1(VALU_DEP_2)
	v_or_b32_e32 v135, v135, v145
	v_and_b32_e32 v147, 3, v145
	v_cmp_ne_u32_e32 vcc_lo, 0, v135
	v_lshlrev_b32_e32 v146, 2, v146
	s_delay_alu instid0(VALU_DEP_1) | instskip(NEXT) | instid1(VALU_DEP_1)
	v_or3_b32 v144, v146, v144, v147
	v_cndmask_b32_e32 v135, 0, v144, vcc_lo
.LBB4_575:                              ;   in Loop: Header=BB4_144 Depth=2
	s_or_b32 exec_lo, exec_lo, s25
.LBB4_576:                              ;   in Loop: Header=BB4_144 Depth=2
	s_delay_alu instid0(SALU_CYCLE_1) | instskip(SKIP_3) | instid1(VALU_DEP_1)
	s_or_b32 exec_lo, exec_lo, s24
	v_lshrrev_b32_e32 v145, 24, v16
	s_mov_b32 s11, 0
	s_mov_b32 s25, exec_lo
                                        ; implicit-def: $sgpr24
	v_cmpx_lt_i16_e64 0x7f, v145
	s_xor_b32 s25, exec_lo, s25
	s_cbranch_execnz .LBB4_870
; %bb.577:                              ;   in Loop: Header=BB4_144 Depth=2
	s_or_saveexec_b32 s25, s25
	v_mov_b32_e32 v144, s24
	s_xor_b32 exec_lo, exec_lo, s25
	s_cbranch_execnz .LBB4_873
.LBB4_578:                              ;   in Loop: Header=BB4_144 Depth=2
	s_or_b32 exec_lo, exec_lo, s25
	s_and_saveexec_b32 s24, s11
	s_cbranch_execz .LBB4_580
.LBB4_579:                              ;   in Loop: Header=BB4_144 Depth=2
	v_bfe_u32 v144, v16, 24, 2
	s_delay_alu instid0(VALU_DEP_1) | instskip(NEXT) | instid1(VALU_DEP_1)
	v_clz_i32_u32_e32 v146, v144
	v_min_u32_e32 v146, 32, v146
	s_delay_alu instid0(VALU_DEP_1) | instskip(SKIP_1) | instid1(VALU_DEP_2)
	v_subrev_nc_u32_e32 v147, 29, v146
	v_sub_nc_u32_e32 v146, 30, v146
	v_lshlrev_b32_e32 v145, v147, v145
	v_bfe_u32 v147, v16, 26, 5
	v_and_b32_e32 v16, 0x80000000, v16
	s_delay_alu instid0(VALU_DEP_2) | instskip(NEXT) | instid1(VALU_DEP_4)
	v_cmp_eq_u32_e32 vcc_lo, 0, v147
	v_dual_cndmask_b32 v146, v147, v146 :: v_dual_and_b32 v145, 3, v145
	s_delay_alu instid0(VALU_DEP_1) | instskip(NEXT) | instid1(VALU_DEP_2)
	v_cndmask_b32_e32 v144, v144, v145, vcc_lo
	v_lshl_add_u32 v145, v146, 23, 0x37800000
	s_delay_alu instid0(VALU_DEP_2) | instskip(NEXT) | instid1(VALU_DEP_1)
	v_lshlrev_b32_e32 v144, 21, v144
	v_or3_b32 v144, v16, v145, v144
.LBB4_580:                              ;   in Loop: Header=BB4_144 Depth=2
	s_or_b32 exec_lo, exec_lo, s24
	v_lshrrev_b32_e32 v16, 24, v12
	s_mov_b32 s11, 0
	s_mov_b32 s25, exec_lo
                                        ; implicit-def: $sgpr24
	s_delay_alu instid0(VALU_DEP_1)
	v_cmpx_lt_i16_e32 0x7f, v16
	s_xor_b32 s25, exec_lo, s25
	s_cbranch_execnz .LBB4_874
; %bb.581:                              ;   in Loop: Header=BB4_144 Depth=2
	s_or_saveexec_b32 s25, s25
	v_mov_b32_e32 v145, s24
	s_xor_b32 exec_lo, exec_lo, s25
	s_cbranch_execnz .LBB4_877
.LBB4_582:                              ;   in Loop: Header=BB4_144 Depth=2
	s_or_b32 exec_lo, exec_lo, s25
	s_and_saveexec_b32 s24, s11
	s_cbranch_execz .LBB4_584
.LBB4_583:                              ;   in Loop: Header=BB4_144 Depth=2
	v_bfe_u32 v145, v12, 24, 2
	s_delay_alu instid0(VALU_DEP_1) | instskip(NEXT) | instid1(VALU_DEP_1)
	v_clz_i32_u32_e32 v146, v145
	v_min_u32_e32 v146, 32, v146
	s_delay_alu instid0(VALU_DEP_1) | instskip(SKIP_1) | instid1(VALU_DEP_2)
	v_subrev_nc_u32_e32 v147, 29, v146
	v_sub_nc_u32_e32 v146, 30, v146
	v_lshlrev_b32_e32 v16, v147, v16
	v_bfe_u32 v147, v12, 26, 5
	v_and_b32_e32 v12, 0x80000000, v12
	s_delay_alu instid0(VALU_DEP_3) | instskip(NEXT) | instid1(VALU_DEP_3)
	v_and_b32_e32 v16, 3, v16
	v_cmp_eq_u32_e32 vcc_lo, 0, v147
	v_cndmask_b32_e32 v146, v147, v146, vcc_lo
	s_delay_alu instid0(VALU_DEP_3) | instskip(NEXT) | instid1(VALU_DEP_2)
	v_cndmask_b32_e32 v16, v145, v16, vcc_lo
	v_lshl_add_u32 v145, v146, 23, 0x37800000
	s_delay_alu instid0(VALU_DEP_2) | instskip(NEXT) | instid1(VALU_DEP_1)
	v_lshlrev_b32_e32 v16, 21, v16
	v_or3_b32 v145, v12, v145, v16
.LBB4_584:                              ;   in Loop: Header=BB4_144 Depth=2
	s_or_b32 exec_lo, exec_lo, s24
	s_delay_alu instid0(VALU_DEP_1) | instskip(NEXT) | instid1(VALU_DEP_1)
	v_mul_f32_e32 v16, v144, v145
	v_and_b32_e32 v12, 0x7f800000, v16
	s_delay_alu instid0(VALU_DEP_1)
	v_cmp_ne_u32_e32 vcc_lo, 0x7f800000, v12
	v_mov_b32_e32 v12, 0x80
	s_and_saveexec_b32 s24, vcc_lo
	s_cbranch_execz .LBB4_592
; %bb.585:                              ;   in Loop: Header=BB4_144 Depth=2
	v_mov_b32_e32 v12, 0
	s_mov_b32 s25, exec_lo
	v_cmpx_ne_u32_e32 0, v16
	s_cbranch_execz .LBB4_591
; %bb.586:                              ;   in Loop: Header=BB4_144 Depth=2
	v_bfe_u32 v12, v16, 23, 8
	s_delay_alu instid0(VALU_DEP_1) | instskip(SKIP_1) | instid1(VALU_DEP_2)
	v_sub_nc_u32_e32 v145, 0x70, v12
	v_cmp_gt_u32_e32 vcc_lo, 0x71, v12
	v_dual_cndmask_b32 v145, 0, v145 :: v_dual_and_b32 v144, 0x7fffff, v16
	s_delay_alu instid0(VALU_DEP_1) | instskip(SKIP_2) | instid1(VALU_DEP_4)
	v_or_b32_e32 v146, 0x800000, v144
	v_cmp_eq_u32_e32 vcc_lo, 0, v12
	v_add_nc_u32_e32 v12, 0xffffff91, v12
	v_cndmask_b32_e64 v145, v145, 0x6f, vcc_lo
	s_delay_alu instid0(VALU_DEP_4) | instskip(NEXT) | instid1(VALU_DEP_3)
	v_cndmask_b32_e32 v144, v146, v144, vcc_lo
	v_cndmask_b32_e64 v12, v12, 0xffffff92, vcc_lo
	s_delay_alu instid0(VALU_DEP_3) | instskip(NEXT) | instid1(VALU_DEP_3)
	v_lshl_add_u32 v146, 0x200000, v145, -1
	v_lshrrev_b32_e32 v147, v145, v144
	v_lshlrev_b32_e64 v149, v145, 0x100000
	s_delay_alu instid0(VALU_DEP_4) | instskip(NEXT) | instid1(VALU_DEP_4)
	v_add_nc_u32_e32 v145, v145, v12
	v_and_b32_e32 v144, v146, v144
	s_delay_alu instid0(VALU_DEP_4) | instskip(NEXT) | instid1(VALU_DEP_2)
	v_bfe_u32 v148, v147, 21, 1
	v_cmp_eq_u32_e64 s11, v144, v149
	s_delay_alu instid0(VALU_DEP_2) | instskip(NEXT) | instid1(VALU_DEP_1)
	v_add_nc_u32_e32 v146, -1, v148
	v_cndmask_b32_e64 v144, 0, v146, s11
	v_lshrrev_b32_e32 v146, 23, v147
	s_mov_b32 s11, exec_lo
	s_delay_alu instid0(VALU_DEP_2) | instskip(NEXT) | instid1(VALU_DEP_2)
	v_add_nc_u32_e32 v144, v144, v147
	v_xor_b32_e32 v146, 1, v146
	s_delay_alu instid0(VALU_DEP_2) | instskip(NEXT) | instid1(VALU_DEP_1)
	v_and_b32_e32 v12, 0x1fffff, v144
	v_add_nc_u32_e32 v144, v12, v147
                                        ; implicit-def: $vgpr12
	s_delay_alu instid0(VALU_DEP_3)
	v_cmpx_ne_u32_e64 v145, v146
	s_xor_b32 s11, exec_lo, s11
; %bb.587:                              ;   in Loop: Header=BB4_144 Depth=2
	s_delay_alu instid0(VALU_DEP_2) | instskip(SKIP_2) | instid1(VALU_DEP_2)
	v_cmp_lt_u32_e32 vcc_lo, 0xffffff, v144
	v_sub_nc_u32_e32 v12, v145, v146
	v_cndmask_b32_e64 v145, 0, 1, vcc_lo
	v_add_co_ci_u32_e32 v12, vcc_lo, 0, v12, vcc_lo
	s_delay_alu instid0(VALU_DEP_2)
	v_lshrrev_b32_e32 v144, v145, v144
; %bb.588:                              ;   in Loop: Header=BB4_144 Depth=2
	s_and_not1_saveexec_b32 s11, s11
; %bb.589:                              ;   in Loop: Header=BB4_144 Depth=2
	s_delay_alu instid0(VALU_DEP_1)
	v_bfe_u32 v12, v144, 23, 1
; %bb.590:                              ;   in Loop: Header=BB4_144 Depth=2
	s_or_b32 exec_lo, exec_lo, s11
	v_lshrrev_b32_e32 v144, 21, v144
	s_delay_alu instid0(VALU_DEP_2) | instskip(SKIP_2) | instid1(VALU_DEP_4)
	v_cmp_gt_i32_e32 vcc_lo, 32, v12
	v_lshrrev_b32_e32 v16, 24, v16
	v_min_i32_e32 v145, 31, v12
	v_cndmask_b32_e32 v144, 3, v144, vcc_lo
	s_delay_alu instid0(VALU_DEP_3) | instskip(NEXT) | instid1(VALU_DEP_3)
	v_and_b32_e32 v16, 0x80, v16
	v_lshlrev_b32_e32 v145, 2, v145
	s_delay_alu instid0(VALU_DEP_3) | instskip(SKIP_1) | instid1(VALU_DEP_2)
	v_and_b32_e32 v146, 3, v144
	v_or_b32_e32 v12, v12, v144
	v_or3_b32 v16, v145, v16, v146
	s_delay_alu instid0(VALU_DEP_2) | instskip(NEXT) | instid1(VALU_DEP_2)
	v_cmp_ne_u32_e32 vcc_lo, 0, v12
	v_cndmask_b32_e32 v12, 0, v16, vcc_lo
.LBB4_591:                              ;   in Loop: Header=BB4_144 Depth=2
	s_or_b32 exec_lo, exec_lo, s25
.LBB4_592:                              ;   in Loop: Header=BB4_144 Depth=2
	s_delay_alu instid0(SALU_CYCLE_1) | instskip(SKIP_3) | instid1(VALU_DEP_1)
	s_or_b32 exec_lo, exec_lo, s24
	v_and_b32_e32 v144, 0xff, v17
	s_mov_b32 s11, 0
	s_mov_b32 s25, exec_lo
                                        ; implicit-def: $sgpr24
	v_cmpx_lt_i16_e64 0x7f, v144
	s_xor_b32 s25, exec_lo, s25
	s_cbranch_execnz .LBB4_878
; %bb.593:                              ;   in Loop: Header=BB4_144 Depth=2
	s_or_saveexec_b32 s25, s25
	v_mov_b32_e32 v16, s24
	s_xor_b32 exec_lo, exec_lo, s25
	s_cbranch_execnz .LBB4_881
.LBB4_594:                              ;   in Loop: Header=BB4_144 Depth=2
	s_or_b32 exec_lo, exec_lo, s25
	s_and_saveexec_b32 s24, s11
	s_cbranch_execz .LBB4_596
.LBB4_595:                              ;   in Loop: Header=BB4_144 Depth=2
	v_and_b32_e32 v16, 3, v17
	v_bfe_u32 v146, v17, 2, 5
	v_lshlrev_b32_e32 v147, 24, v17
	s_delay_alu instid0(VALU_DEP_3) | instskip(NEXT) | instid1(VALU_DEP_3)
	v_clz_i32_u32_e32 v144, v16
	v_cmp_eq_u32_e32 vcc_lo, 0, v146
	s_delay_alu instid0(VALU_DEP_2) | instskip(NEXT) | instid1(VALU_DEP_1)
	v_min_u32_e32 v144, 32, v144
	v_subrev_nc_u32_e32 v145, 29, v144
	v_sub_nc_u32_e32 v144, 30, v144
	s_delay_alu instid0(VALU_DEP_1) | instskip(NEXT) | instid1(VALU_DEP_1)
	v_dual_cndmask_b32 v144, v146, v144 :: v_dual_lshlrev_b32 v145, v145, v17
	v_and_b32_e32 v145, 3, v145
	s_delay_alu instid0(VALU_DEP_2) | instskip(NEXT) | instid1(VALU_DEP_2)
	v_lshl_add_u32 v144, v144, 23, 0x37800000
	v_dual_cndmask_b32 v16, v16, v145 :: v_dual_and_b32 v145, 0x80000000, v147
	s_delay_alu instid0(VALU_DEP_1) | instskip(NEXT) | instid1(VALU_DEP_1)
	v_lshlrev_b32_e32 v16, 21, v16
	v_or3_b32 v16, v145, v144, v16
.LBB4_596:                              ;   in Loop: Header=BB4_144 Depth=2
	s_or_b32 exec_lo, exec_lo, s24
	v_and_b32_e32 v145, 0xff, v13
	s_mov_b32 s11, 0
	s_mov_b32 s25, exec_lo
                                        ; implicit-def: $sgpr24
	s_delay_alu instid0(VALU_DEP_1)
	v_cmpx_lt_i16_e64 0x7f, v145
	s_xor_b32 s25, exec_lo, s25
	s_cbranch_execnz .LBB4_882
; %bb.597:                              ;   in Loop: Header=BB4_144 Depth=2
	s_or_saveexec_b32 s25, s25
	v_mov_b32_e32 v144, s24
	s_xor_b32 exec_lo, exec_lo, s25
	s_cbranch_execnz .LBB4_885
.LBB4_598:                              ;   in Loop: Header=BB4_144 Depth=2
	s_or_b32 exec_lo, exec_lo, s25
	s_and_saveexec_b32 s24, s11
	s_cbranch_execz .LBB4_600
.LBB4_599:                              ;   in Loop: Header=BB4_144 Depth=2
	v_and_b32_e32 v144, 3, v13
	v_bfe_u32 v147, v13, 2, 5
	v_lshlrev_b32_e32 v148, 24, v13
	s_delay_alu instid0(VALU_DEP_3) | instskip(NEXT) | instid1(VALU_DEP_3)
	v_clz_i32_u32_e32 v145, v144
	v_cmp_eq_u32_e32 vcc_lo, 0, v147
	s_delay_alu instid0(VALU_DEP_2) | instskip(NEXT) | instid1(VALU_DEP_1)
	v_min_u32_e32 v145, 32, v145
	v_subrev_nc_u32_e32 v146, 29, v145
	v_sub_nc_u32_e32 v145, 30, v145
	s_delay_alu instid0(VALU_DEP_2) | instskip(NEXT) | instid1(VALU_DEP_1)
	v_lshlrev_b32_e32 v146, v146, v13
	v_dual_cndmask_b32 v145, v147, v145 :: v_dual_and_b32 v146, 3, v146
	s_delay_alu instid0(VALU_DEP_1) | instskip(NEXT) | instid1(VALU_DEP_2)
	v_lshl_add_u32 v145, v145, 23, 0x37800000
	v_cndmask_b32_e32 v144, v144, v146, vcc_lo
	v_and_b32_e32 v146, 0x80000000, v148
	s_delay_alu instid0(VALU_DEP_2) | instskip(NEXT) | instid1(VALU_DEP_1)
	v_lshlrev_b32_e32 v144, 21, v144
	v_or3_b32 v144, v146, v145, v144
.LBB4_600:                              ;   in Loop: Header=BB4_144 Depth=2
	s_or_b32 exec_lo, exec_lo, s24
	s_delay_alu instid0(VALU_DEP_1) | instskip(NEXT) | instid1(VALU_DEP_1)
	v_mul_f32_e32 v144, v16, v144
	v_and_b32_e32 v16, 0x7f800000, v144
	s_delay_alu instid0(VALU_DEP_1)
	v_cmp_ne_u32_e32 vcc_lo, 0x7f800000, v16
	v_mov_b32_e32 v16, 0x80
	s_and_saveexec_b32 s24, vcc_lo
	s_cbranch_execz .LBB4_608
; %bb.601:                              ;   in Loop: Header=BB4_144 Depth=2
	v_mov_b32_e32 v16, 0
	s_mov_b32 s25, exec_lo
	v_cmpx_ne_u32_e32 0, v144
	s_cbranch_execz .LBB4_607
; %bb.602:                              ;   in Loop: Header=BB4_144 Depth=2
	v_bfe_u32 v16, v144, 23, 8
	s_delay_alu instid0(VALU_DEP_1) | instskip(SKIP_1) | instid1(VALU_DEP_2)
	v_sub_nc_u32_e32 v146, 0x70, v16
	v_cmp_gt_u32_e32 vcc_lo, 0x71, v16
	v_dual_cndmask_b32 v146, 0, v146 :: v_dual_and_b32 v145, 0x7fffff, v144
	s_delay_alu instid0(VALU_DEP_1) | instskip(SKIP_2) | instid1(VALU_DEP_4)
	v_or_b32_e32 v147, 0x800000, v145
	v_cmp_eq_u32_e32 vcc_lo, 0, v16
	v_add_nc_u32_e32 v16, 0xffffff91, v16
	v_cndmask_b32_e64 v146, v146, 0x6f, vcc_lo
	s_delay_alu instid0(VALU_DEP_4) | instskip(NEXT) | instid1(VALU_DEP_3)
	v_cndmask_b32_e32 v145, v147, v145, vcc_lo
	v_cndmask_b32_e64 v16, v16, 0xffffff92, vcc_lo
	s_delay_alu instid0(VALU_DEP_3) | instskip(NEXT) | instid1(VALU_DEP_3)
	v_lshl_add_u32 v147, 0x200000, v146, -1
	v_lshrrev_b32_e32 v148, v146, v145
	v_lshlrev_b32_e64 v150, v146, 0x100000
	s_delay_alu instid0(VALU_DEP_4) | instskip(NEXT) | instid1(VALU_DEP_4)
	v_add_nc_u32_e32 v146, v146, v16
	v_and_b32_e32 v145, v147, v145
	s_delay_alu instid0(VALU_DEP_4) | instskip(NEXT) | instid1(VALU_DEP_2)
	v_bfe_u32 v149, v148, 21, 1
	v_cmp_eq_u32_e64 s11, v145, v150
	s_delay_alu instid0(VALU_DEP_2) | instskip(NEXT) | instid1(VALU_DEP_1)
	v_add_nc_u32_e32 v147, -1, v149
	v_cndmask_b32_e64 v145, 0, v147, s11
	v_lshrrev_b32_e32 v147, 23, v148
	s_mov_b32 s11, exec_lo
	s_delay_alu instid0(VALU_DEP_2) | instskip(NEXT) | instid1(VALU_DEP_2)
	v_add_nc_u32_e32 v145, v145, v148
	v_xor_b32_e32 v147, 1, v147
	s_delay_alu instid0(VALU_DEP_2) | instskip(NEXT) | instid1(VALU_DEP_1)
	v_and_b32_e32 v16, 0x1fffff, v145
	v_add_nc_u32_e32 v145, v16, v148
                                        ; implicit-def: $vgpr16
	s_delay_alu instid0(VALU_DEP_3)
	v_cmpx_ne_u32_e64 v146, v147
	s_xor_b32 s11, exec_lo, s11
; %bb.603:                              ;   in Loop: Header=BB4_144 Depth=2
	s_delay_alu instid0(VALU_DEP_2) | instskip(SKIP_2) | instid1(VALU_DEP_2)
	v_cmp_lt_u32_e32 vcc_lo, 0xffffff, v145
	v_sub_nc_u32_e32 v16, v146, v147
	v_cndmask_b32_e64 v146, 0, 1, vcc_lo
	v_add_co_ci_u32_e32 v16, vcc_lo, 0, v16, vcc_lo
	s_delay_alu instid0(VALU_DEP_2)
	v_lshrrev_b32_e32 v145, v146, v145
; %bb.604:                              ;   in Loop: Header=BB4_144 Depth=2
	s_and_not1_saveexec_b32 s11, s11
; %bb.605:                              ;   in Loop: Header=BB4_144 Depth=2
	s_delay_alu instid0(VALU_DEP_1)
	v_bfe_u32 v16, v145, 23, 1
; %bb.606:                              ;   in Loop: Header=BB4_144 Depth=2
	s_or_b32 exec_lo, exec_lo, s11
	v_lshrrev_b32_e32 v145, 21, v145
	s_delay_alu instid0(VALU_DEP_2) | instskip(SKIP_2) | instid1(VALU_DEP_2)
	v_cmp_gt_i32_e32 vcc_lo, 32, v16
	v_lshrrev_b32_e32 v144, 24, v144
	v_min_i32_e32 v146, 31, v16
	v_dual_cndmask_b32 v145, 3, v145 :: v_dual_and_b32 v144, 0x80, v144
	s_delay_alu instid0(VALU_DEP_2) | instskip(NEXT) | instid1(VALU_DEP_2)
	v_lshlrev_b32_e32 v146, 2, v146
	v_or_b32_e32 v16, v16, v145
	s_delay_alu instid0(VALU_DEP_1) | instskip(SKIP_1) | instid1(VALU_DEP_1)
	v_cmp_ne_u32_e32 vcc_lo, 0, v16
	v_and_b32_e32 v147, 3, v145
	v_or3_b32 v144, v146, v144, v147
	s_delay_alu instid0(VALU_DEP_1)
	v_cndmask_b32_e32 v16, 0, v144, vcc_lo
.LBB4_607:                              ;   in Loop: Header=BB4_144 Depth=2
	s_or_b32 exec_lo, exec_lo, s25
.LBB4_608:                              ;   in Loop: Header=BB4_144 Depth=2
	s_delay_alu instid0(SALU_CYCLE_1) | instskip(SKIP_3) | instid1(VALU_DEP_1)
	s_or_b32 exec_lo, exec_lo, s24
	v_lshrrev_b16 v145, 8, v17
	s_mov_b32 s11, 0
	s_mov_b32 s25, exec_lo
                                        ; implicit-def: $sgpr24
	v_cmpx_lt_i16_e64 0x7f, v145
	s_xor_b32 s25, exec_lo, s25
	s_cbranch_execnz .LBB4_886
; %bb.609:                              ;   in Loop: Header=BB4_144 Depth=2
	s_or_saveexec_b32 s25, s25
	v_mov_b32_e32 v144, s24
	s_xor_b32 exec_lo, exec_lo, s25
	s_cbranch_execnz .LBB4_889
.LBB4_610:                              ;   in Loop: Header=BB4_144 Depth=2
	s_or_b32 exec_lo, exec_lo, s25
	s_and_saveexec_b32 s24, s11
	s_cbranch_execz .LBB4_612
.LBB4_611:                              ;   in Loop: Header=BB4_144 Depth=2
	v_and_b32_e32 v144, 0xffff, v145
	s_delay_alu instid0(VALU_DEP_1) | instskip(NEXT) | instid1(VALU_DEP_1)
	v_and_b32_e32 v146, 3, v144
	v_clz_i32_u32_e32 v147, v146
	s_delay_alu instid0(VALU_DEP_1) | instskip(NEXT) | instid1(VALU_DEP_1)
	v_min_u32_e32 v147, 32, v147
	v_subrev_nc_u32_e32 v148, 29, v147
	v_sub_nc_u32_e32 v147, 30, v147
	s_delay_alu instid0(VALU_DEP_2) | instskip(SKIP_1) | instid1(VALU_DEP_2)
	v_lshlrev_b32_e32 v148, v148, v144
	v_bfe_u32 v144, v144, 2, 5
	v_and_b32_e32 v148, 3, v148
	s_delay_alu instid0(VALU_DEP_2) | instskip(SKIP_1) | instid1(VALU_DEP_1)
	v_cmp_eq_u32_e32 vcc_lo, 0, v144
	v_dual_cndmask_b32 v144, v144, v147 :: v_dual_lshlrev_b32 v145, 24, v145
	v_dual_cndmask_b32 v146, v146, v148 :: v_dual_and_b32 v145, 0x80000000, v145
	s_delay_alu instid0(VALU_DEP_2) | instskip(NEXT) | instid1(VALU_DEP_2)
	v_lshl_add_u32 v144, v144, 23, 0x37800000
	v_lshlrev_b32_e32 v146, 21, v146
	s_delay_alu instid0(VALU_DEP_1)
	v_or3_b32 v144, v145, v144, v146
.LBB4_612:                              ;   in Loop: Header=BB4_144 Depth=2
	s_or_b32 exec_lo, exec_lo, s24
	v_lshrrev_b16 v145, 8, v13
	s_mov_b32 s11, 0
	s_mov_b32 s25, exec_lo
                                        ; implicit-def: $sgpr24
	s_delay_alu instid0(VALU_DEP_1)
	v_cmpx_lt_i16_e64 0x7f, v145
	s_xor_b32 s25, exec_lo, s25
	s_cbranch_execnz .LBB4_890
; %bb.613:                              ;   in Loop: Header=BB4_144 Depth=2
	s_or_saveexec_b32 s25, s25
	v_mov_b32_e32 v146, s24
	s_xor_b32 exec_lo, exec_lo, s25
	s_cbranch_execnz .LBB4_893
.LBB4_614:                              ;   in Loop: Header=BB4_144 Depth=2
	s_or_b32 exec_lo, exec_lo, s25
	s_and_saveexec_b32 s24, s11
	s_cbranch_execz .LBB4_616
.LBB4_615:                              ;   in Loop: Header=BB4_144 Depth=2
	v_and_b32_e32 v146, 0xffff, v145
	v_lshlrev_b32_e32 v145, 24, v145
	s_delay_alu instid0(VALU_DEP_2) | instskip(NEXT) | instid1(VALU_DEP_2)
	v_and_b32_e32 v147, 3, v146
	v_and_b32_e32 v145, 0x80000000, v145
	s_delay_alu instid0(VALU_DEP_2) | instskip(NEXT) | instid1(VALU_DEP_1)
	v_clz_i32_u32_e32 v148, v147
	v_min_u32_e32 v148, 32, v148
	s_delay_alu instid0(VALU_DEP_1) | instskip(SKIP_1) | instid1(VALU_DEP_2)
	v_subrev_nc_u32_e32 v149, 29, v148
	v_sub_nc_u32_e32 v148, 30, v148
	v_lshlrev_b32_e32 v149, v149, v146
	v_bfe_u32 v146, v146, 2, 5
	s_delay_alu instid0(VALU_DEP_2) | instskip(NEXT) | instid1(VALU_DEP_2)
	v_and_b32_e32 v149, 3, v149
	v_cmp_eq_u32_e32 vcc_lo, 0, v146
	s_delay_alu instid0(VALU_DEP_2) | instskip(NEXT) | instid1(VALU_DEP_1)
	v_dual_cndmask_b32 v146, v146, v148 :: v_dual_cndmask_b32 v147, v147, v149
	v_lshl_add_u32 v146, v146, 23, 0x37800000
	s_delay_alu instid0(VALU_DEP_2) | instskip(NEXT) | instid1(VALU_DEP_1)
	v_lshlrev_b32_e32 v147, 21, v147
	v_or3_b32 v146, v145, v146, v147
.LBB4_616:                              ;   in Loop: Header=BB4_144 Depth=2
	s_or_b32 exec_lo, exec_lo, s24
	s_delay_alu instid0(VALU_DEP_1) | instskip(NEXT) | instid1(VALU_DEP_1)
	v_mul_f32_e32 v145, v144, v146
	v_and_b32_e32 v144, 0x7f800000, v145
	s_delay_alu instid0(VALU_DEP_1)
	v_cmp_ne_u32_e32 vcc_lo, 0x7f800000, v144
	v_mov_b32_e32 v144, 0x8000
	s_and_saveexec_b32 s24, vcc_lo
	s_cbranch_execz .LBB4_624
; %bb.617:                              ;   in Loop: Header=BB4_144 Depth=2
	v_mov_b32_e32 v144, 0
	s_mov_b32 s25, exec_lo
	v_cmpx_ne_u32_e32 0, v145
	s_cbranch_execz .LBB4_623
; %bb.618:                              ;   in Loop: Header=BB4_144 Depth=2
	v_bfe_u32 v144, v145, 23, 8
	s_delay_alu instid0(VALU_DEP_1) | instskip(SKIP_1) | instid1(VALU_DEP_2)
	v_sub_nc_u32_e32 v147, 0x70, v144
	v_cmp_gt_u32_e32 vcc_lo, 0x71, v144
	v_dual_cndmask_b32 v147, 0, v147 :: v_dual_and_b32 v146, 0x7fffff, v145
	s_delay_alu instid0(VALU_DEP_1) | instskip(SKIP_2) | instid1(VALU_DEP_4)
	v_or_b32_e32 v148, 0x800000, v146
	v_cmp_eq_u32_e32 vcc_lo, 0, v144
	v_add_nc_u32_e32 v144, 0xffffff91, v144
	v_cndmask_b32_e64 v147, v147, 0x6f, vcc_lo
	s_delay_alu instid0(VALU_DEP_2) | instskip(SKIP_1) | instid1(VALU_DEP_3)
	v_cndmask_b32_e64 v144, v144, 0xffffff92, vcc_lo
	v_cndmask_b32_e32 v146, v148, v146, vcc_lo
	v_lshl_add_u32 v148, 0x200000, v147, -1
	v_lshlrev_b32_e64 v151, v147, 0x100000
	s_delay_alu instid0(VALU_DEP_3) | instskip(SKIP_1) | instid1(VALU_DEP_4)
	v_lshrrev_b32_e32 v149, v147, v146
	v_add_nc_u32_e32 v147, v147, v144
	v_and_b32_e32 v146, v148, v146
	s_delay_alu instid0(VALU_DEP_3) | instskip(NEXT) | instid1(VALU_DEP_2)
	v_bfe_u32 v150, v149, 21, 1
	v_cmp_eq_u32_e64 s11, v146, v151
	s_delay_alu instid0(VALU_DEP_2) | instskip(NEXT) | instid1(VALU_DEP_1)
	v_add_nc_u32_e32 v148, -1, v150
	v_cndmask_b32_e64 v146, 0, v148, s11
	v_lshrrev_b32_e32 v148, 23, v149
	s_mov_b32 s11, exec_lo
	s_delay_alu instid0(VALU_DEP_2) | instskip(NEXT) | instid1(VALU_DEP_2)
	v_add_nc_u32_e32 v146, v146, v149
	v_xor_b32_e32 v148, 1, v148
	s_delay_alu instid0(VALU_DEP_2) | instskip(NEXT) | instid1(VALU_DEP_1)
	v_and_b32_e32 v144, 0x1fffff, v146
	v_add_nc_u32_e32 v146, v144, v149
                                        ; implicit-def: $vgpr144
	s_delay_alu instid0(VALU_DEP_3)
	v_cmpx_ne_u32_e64 v147, v148
	s_xor_b32 s11, exec_lo, s11
; %bb.619:                              ;   in Loop: Header=BB4_144 Depth=2
	s_delay_alu instid0(VALU_DEP_2) | instskip(SKIP_2) | instid1(VALU_DEP_2)
	v_cmp_lt_u32_e32 vcc_lo, 0xffffff, v146
	v_sub_nc_u32_e32 v144, v147, v148
	v_cndmask_b32_e64 v147, 0, 1, vcc_lo
	v_add_co_ci_u32_e32 v144, vcc_lo, 0, v144, vcc_lo
	s_delay_alu instid0(VALU_DEP_2)
	v_lshrrev_b32_e32 v146, v147, v146
; %bb.620:                              ;   in Loop: Header=BB4_144 Depth=2
	s_and_not1_saveexec_b32 s11, s11
; %bb.621:                              ;   in Loop: Header=BB4_144 Depth=2
	s_delay_alu instid0(VALU_DEP_1)
	v_bfe_u32 v144, v146, 23, 1
; %bb.622:                              ;   in Loop: Header=BB4_144 Depth=2
	s_or_b32 exec_lo, exec_lo, s11
	v_lshrrev_b32_e32 v146, 21, v146
	s_delay_alu instid0(VALU_DEP_2) | instskip(SKIP_2) | instid1(VALU_DEP_2)
	v_cmp_gt_i32_e32 vcc_lo, 32, v144
	v_min_i32_e32 v147, 31, v144
	v_lshrrev_b32_e32 v145, 24, v145
	v_dual_cndmask_b32 v146, 3, v146 :: v_dual_lshlrev_b32 v147, 2, v147
	s_delay_alu instid0(VALU_DEP_2) | instskip(NEXT) | instid1(VALU_DEP_2)
	v_and_b32_e32 v145, 0x80, v145
	v_or_b32_e32 v144, v144, v146
	v_and_b32_e32 v148, 3, v146
	s_delay_alu instid0(VALU_DEP_2) | instskip(SKIP_1) | instid1(VALU_DEP_1)
	v_cmp_ne_u32_e32 vcc_lo, 0, v144
	v_and_b32_e32 v147, 0xfc, v147
	v_or3_b32 v145, v145, v147, v148
	s_delay_alu instid0(VALU_DEP_1) | instskip(NEXT) | instid1(VALU_DEP_1)
	v_lshlrev_b32_e32 v145, 8, v145
	v_cndmask_b32_e32 v144, 0, v145, vcc_lo
.LBB4_623:                              ;   in Loop: Header=BB4_144 Depth=2
	s_or_b32 exec_lo, exec_lo, s25
.LBB4_624:                              ;   in Loop: Header=BB4_144 Depth=2
	s_delay_alu instid0(SALU_CYCLE_1) | instskip(SKIP_3) | instid1(VALU_DEP_1)
	s_or_b32 exec_lo, exec_lo, s24
	v_lshrrev_b32_e32 v146, 16, v17
	s_mov_b32 s11, 0
	s_mov_b32 s25, exec_lo
                                        ; implicit-def: $sgpr24
	v_and_b32_e32 v147, 0xff, v146
	s_delay_alu instid0(VALU_DEP_1)
	v_cmpx_lt_i16_e64 0x7f, v147
	s_xor_b32 s25, exec_lo, s25
	s_cbranch_execnz .LBB4_894
; %bb.625:                              ;   in Loop: Header=BB4_144 Depth=2
	s_or_saveexec_b32 s25, s25
	v_mov_b32_e32 v145, s24
	s_xor_b32 exec_lo, exec_lo, s25
	s_cbranch_execnz .LBB4_897
.LBB4_626:                              ;   in Loop: Header=BB4_144 Depth=2
	s_or_b32 exec_lo, exec_lo, s25
	s_and_saveexec_b32 s24, s11
	s_cbranch_execz .LBB4_628
.LBB4_627:                              ;   in Loop: Header=BB4_144 Depth=2
	v_bfe_u32 v145, v17, 16, 2
	v_lshlrev_b32_e32 v149, 8, v17
	s_delay_alu instid0(VALU_DEP_2) | instskip(NEXT) | instid1(VALU_DEP_1)
	v_clz_i32_u32_e32 v147, v145
	v_min_u32_e32 v147, 32, v147
	s_delay_alu instid0(VALU_DEP_1) | instskip(SKIP_1) | instid1(VALU_DEP_2)
	v_subrev_nc_u32_e32 v148, 29, v147
	v_sub_nc_u32_e32 v147, 30, v147
	v_lshlrev_b32_e32 v146, v148, v146
	v_bfe_u32 v148, v17, 18, 5
	s_delay_alu instid0(VALU_DEP_1) | instskip(NEXT) | instid1(VALU_DEP_3)
	v_cmp_eq_u32_e32 vcc_lo, 0, v148
	v_dual_cndmask_b32 v147, v148, v147 :: v_dual_and_b32 v146, 3, v146
	s_delay_alu instid0(VALU_DEP_1) | instskip(NEXT) | instid1(VALU_DEP_2)
	v_dual_cndmask_b32 v145, v145, v146 :: v_dual_and_b32 v146, 0x80000000, v149
	v_lshl_add_u32 v147, v147, 23, 0x37800000
	s_delay_alu instid0(VALU_DEP_2) | instskip(NEXT) | instid1(VALU_DEP_1)
	v_lshlrev_b32_e32 v145, 21, v145
	v_or3_b32 v145, v146, v147, v145
.LBB4_628:                              ;   in Loop: Header=BB4_144 Depth=2
	s_or_b32 exec_lo, exec_lo, s24
	v_lshrrev_b32_e32 v146, 16, v13
	s_mov_b32 s11, 0
	s_mov_b32 s25, exec_lo
                                        ; implicit-def: $sgpr24
	s_delay_alu instid0(VALU_DEP_1) | instskip(NEXT) | instid1(VALU_DEP_1)
	v_and_b32_e32 v148, 0xff, v146
	v_cmpx_lt_i16_e64 0x7f, v148
	s_xor_b32 s25, exec_lo, s25
	s_cbranch_execnz .LBB4_898
; %bb.629:                              ;   in Loop: Header=BB4_144 Depth=2
	s_or_saveexec_b32 s25, s25
	v_mov_b32_e32 v147, s24
	s_xor_b32 exec_lo, exec_lo, s25
	s_cbranch_execnz .LBB4_901
.LBB4_630:                              ;   in Loop: Header=BB4_144 Depth=2
	s_or_b32 exec_lo, exec_lo, s25
	s_and_saveexec_b32 s24, s11
	s_cbranch_execz .LBB4_632
.LBB4_631:                              ;   in Loop: Header=BB4_144 Depth=2
	v_bfe_u32 v147, v13, 16, 2
	v_lshlrev_b32_e32 v150, 8, v13
	s_delay_alu instid0(VALU_DEP_2) | instskip(NEXT) | instid1(VALU_DEP_1)
	v_clz_i32_u32_e32 v148, v147
	v_min_u32_e32 v148, 32, v148
	s_delay_alu instid0(VALU_DEP_1) | instskip(SKIP_1) | instid1(VALU_DEP_2)
	v_subrev_nc_u32_e32 v149, 29, v148
	v_sub_nc_u32_e32 v148, 30, v148
	v_lshlrev_b32_e32 v146, v149, v146
	v_bfe_u32 v149, v13, 18, 5
	s_delay_alu instid0(VALU_DEP_2) | instskip(NEXT) | instid1(VALU_DEP_2)
	v_and_b32_e32 v146, 3, v146
	v_cmp_eq_u32_e32 vcc_lo, 0, v149
	v_cndmask_b32_e32 v148, v149, v148, vcc_lo
	s_delay_alu instid0(VALU_DEP_3) | instskip(SKIP_1) | instid1(VALU_DEP_3)
	v_cndmask_b32_e32 v146, v147, v146, vcc_lo
	v_and_b32_e32 v147, 0x80000000, v150
	v_lshl_add_u32 v148, v148, 23, 0x37800000
	s_delay_alu instid0(VALU_DEP_3) | instskip(NEXT) | instid1(VALU_DEP_1)
	v_lshlrev_b32_e32 v146, 21, v146
	v_or3_b32 v147, v147, v148, v146
.LBB4_632:                              ;   in Loop: Header=BB4_144 Depth=2
	s_or_b32 exec_lo, exec_lo, s24
	s_delay_alu instid0(VALU_DEP_1) | instskip(NEXT) | instid1(VALU_DEP_1)
	v_mul_f32_e32 v146, v145, v147
	v_and_b32_e32 v145, 0x7f800000, v146
	s_delay_alu instid0(VALU_DEP_1)
	v_cmp_ne_u32_e32 vcc_lo, 0x7f800000, v145
	v_mov_b32_e32 v145, 0x80
	s_and_saveexec_b32 s24, vcc_lo
	s_cbranch_execz .LBB4_640
; %bb.633:                              ;   in Loop: Header=BB4_144 Depth=2
	v_mov_b32_e32 v145, 0
	s_mov_b32 s25, exec_lo
	v_cmpx_ne_u32_e32 0, v146
	s_cbranch_execz .LBB4_639
; %bb.634:                              ;   in Loop: Header=BB4_144 Depth=2
	v_bfe_u32 v145, v146, 23, 8
	s_delay_alu instid0(VALU_DEP_1) | instskip(SKIP_1) | instid1(VALU_DEP_2)
	v_sub_nc_u32_e32 v148, 0x70, v145
	v_cmp_gt_u32_e32 vcc_lo, 0x71, v145
	v_dual_cndmask_b32 v148, 0, v148 :: v_dual_and_b32 v147, 0x7fffff, v146
	s_delay_alu instid0(VALU_DEP_1) | instskip(SKIP_2) | instid1(VALU_DEP_4)
	v_or_b32_e32 v149, 0x800000, v147
	v_cmp_eq_u32_e32 vcc_lo, 0, v145
	v_add_nc_u32_e32 v145, 0xffffff91, v145
	v_cndmask_b32_e64 v148, v148, 0x6f, vcc_lo
	s_delay_alu instid0(VALU_DEP_2) | instskip(SKIP_1) | instid1(VALU_DEP_3)
	v_cndmask_b32_e64 v145, v145, 0xffffff92, vcc_lo
	v_cndmask_b32_e32 v147, v149, v147, vcc_lo
	v_lshl_add_u32 v149, 0x200000, v148, -1
	v_lshlrev_b32_e64 v160, v148, 0x100000
	s_delay_alu instid0(VALU_DEP_3) | instskip(SKIP_1) | instid1(VALU_DEP_4)
	v_lshrrev_b32_e32 v150, v148, v147
	v_add_nc_u32_e32 v148, v148, v145
	v_and_b32_e32 v147, v149, v147
	s_delay_alu instid0(VALU_DEP_3) | instskip(NEXT) | instid1(VALU_DEP_2)
	v_bfe_u32 v151, v150, 21, 1
	v_cmp_eq_u32_e64 s11, v147, v160
	s_delay_alu instid0(VALU_DEP_2) | instskip(NEXT) | instid1(VALU_DEP_1)
	v_add_nc_u32_e32 v149, -1, v151
	v_cndmask_b32_e64 v147, 0, v149, s11
	v_lshrrev_b32_e32 v149, 23, v150
	s_mov_b32 s11, exec_lo
	s_delay_alu instid0(VALU_DEP_2) | instskip(NEXT) | instid1(VALU_DEP_2)
	v_add_nc_u32_e32 v147, v147, v150
	v_xor_b32_e32 v149, 1, v149
	s_delay_alu instid0(VALU_DEP_2) | instskip(NEXT) | instid1(VALU_DEP_1)
	v_and_b32_e32 v145, 0x1fffff, v147
	v_add_nc_u32_e32 v147, v145, v150
                                        ; implicit-def: $vgpr145
	s_delay_alu instid0(VALU_DEP_3)
	v_cmpx_ne_u32_e64 v148, v149
	s_xor_b32 s11, exec_lo, s11
; %bb.635:                              ;   in Loop: Header=BB4_144 Depth=2
	s_delay_alu instid0(VALU_DEP_2) | instskip(SKIP_2) | instid1(VALU_DEP_2)
	v_cmp_lt_u32_e32 vcc_lo, 0xffffff, v147
	v_sub_nc_u32_e32 v145, v148, v149
	v_cndmask_b32_e64 v148, 0, 1, vcc_lo
	v_add_co_ci_u32_e32 v145, vcc_lo, 0, v145, vcc_lo
	s_delay_alu instid0(VALU_DEP_2)
	v_lshrrev_b32_e32 v147, v148, v147
; %bb.636:                              ;   in Loop: Header=BB4_144 Depth=2
	s_and_not1_saveexec_b32 s11, s11
; %bb.637:                              ;   in Loop: Header=BB4_144 Depth=2
	s_delay_alu instid0(VALU_DEP_1)
	v_bfe_u32 v145, v147, 23, 1
; %bb.638:                              ;   in Loop: Header=BB4_144 Depth=2
	s_or_b32 exec_lo, exec_lo, s11
	v_lshrrev_b32_e32 v147, 21, v147
	s_delay_alu instid0(VALU_DEP_2) | instskip(SKIP_2) | instid1(VALU_DEP_2)
	v_cmp_gt_i32_e32 vcc_lo, 32, v145
	v_min_i32_e32 v148, 31, v145
	v_lshrrev_b32_e32 v146, 24, v146
	v_dual_cndmask_b32 v147, 3, v147 :: v_dual_lshlrev_b32 v148, 2, v148
	s_delay_alu instid0(VALU_DEP_2) | instskip(NEXT) | instid1(VALU_DEP_2)
	v_and_b32_e32 v146, 0x80, v146
	v_or_b32_e32 v145, v145, v147
	v_and_b32_e32 v149, 3, v147
	s_delay_alu instid0(VALU_DEP_2) | instskip(SKIP_1) | instid1(VALU_DEP_1)
	v_cmp_ne_u32_e32 vcc_lo, 0, v145
	v_and_b32_e32 v148, 0xfc, v148
	v_or3_b32 v146, v148, v146, v149
	s_delay_alu instid0(VALU_DEP_1)
	v_cndmask_b32_e32 v145, 0, v146, vcc_lo
.LBB4_639:                              ;   in Loop: Header=BB4_144 Depth=2
	s_or_b32 exec_lo, exec_lo, s25
.LBB4_640:                              ;   in Loop: Header=BB4_144 Depth=2
	s_delay_alu instid0(SALU_CYCLE_1) | instskip(SKIP_3) | instid1(VALU_DEP_1)
	s_or_b32 exec_lo, exec_lo, s24
	v_lshrrev_b32_e32 v147, 24, v17
	s_mov_b32 s11, 0
	s_mov_b32 s25, exec_lo
                                        ; implicit-def: $sgpr24
	v_cmpx_lt_i16_e64 0x7f, v147
	s_xor_b32 s25, exec_lo, s25
	s_cbranch_execnz .LBB4_902
; %bb.641:                              ;   in Loop: Header=BB4_144 Depth=2
	s_or_saveexec_b32 s25, s25
	v_mov_b32_e32 v146, s24
	s_xor_b32 exec_lo, exec_lo, s25
	s_cbranch_execnz .LBB4_905
.LBB4_642:                              ;   in Loop: Header=BB4_144 Depth=2
	s_or_b32 exec_lo, exec_lo, s25
	s_and_saveexec_b32 s24, s11
	s_cbranch_execz .LBB4_644
.LBB4_643:                              ;   in Loop: Header=BB4_144 Depth=2
	v_bfe_u32 v146, v17, 24, 2
	s_delay_alu instid0(VALU_DEP_1) | instskip(NEXT) | instid1(VALU_DEP_1)
	v_clz_i32_u32_e32 v148, v146
	v_min_u32_e32 v148, 32, v148
	s_delay_alu instid0(VALU_DEP_1) | instskip(SKIP_1) | instid1(VALU_DEP_2)
	v_subrev_nc_u32_e32 v149, 29, v148
	v_sub_nc_u32_e32 v148, 30, v148
	v_lshlrev_b32_e32 v147, v149, v147
	v_bfe_u32 v149, v17, 26, 5
	v_and_b32_e32 v17, 0x80000000, v17
	s_delay_alu instid0(VALU_DEP_2) | instskip(NEXT) | instid1(VALU_DEP_4)
	v_cmp_eq_u32_e32 vcc_lo, 0, v149
	v_dual_cndmask_b32 v148, v149, v148 :: v_dual_and_b32 v147, 3, v147
	s_delay_alu instid0(VALU_DEP_1) | instskip(NEXT) | instid1(VALU_DEP_2)
	v_cndmask_b32_e32 v146, v146, v147, vcc_lo
	v_lshl_add_u32 v147, v148, 23, 0x37800000
	s_delay_alu instid0(VALU_DEP_2) | instskip(NEXT) | instid1(VALU_DEP_1)
	v_lshlrev_b32_e32 v146, 21, v146
	v_or3_b32 v146, v17, v147, v146
.LBB4_644:                              ;   in Loop: Header=BB4_144 Depth=2
	s_or_b32 exec_lo, exec_lo, s24
	v_lshrrev_b32_e32 v17, 24, v13
	s_mov_b32 s11, 0
	s_mov_b32 s25, exec_lo
                                        ; implicit-def: $sgpr24
	s_delay_alu instid0(VALU_DEP_1)
	v_cmpx_lt_i16_e32 0x7f, v17
	s_xor_b32 s25, exec_lo, s25
	s_cbranch_execnz .LBB4_906
; %bb.645:                              ;   in Loop: Header=BB4_144 Depth=2
	s_or_saveexec_b32 s25, s25
	v_mov_b32_e32 v147, s24
	s_xor_b32 exec_lo, exec_lo, s25
	s_cbranch_execnz .LBB4_909
.LBB4_646:                              ;   in Loop: Header=BB4_144 Depth=2
	s_or_b32 exec_lo, exec_lo, s25
	s_and_saveexec_b32 s24, s11
	s_cbranch_execz .LBB4_648
.LBB4_647:                              ;   in Loop: Header=BB4_144 Depth=2
	v_bfe_u32 v147, v13, 24, 2
	s_delay_alu instid0(VALU_DEP_1) | instskip(NEXT) | instid1(VALU_DEP_1)
	v_clz_i32_u32_e32 v148, v147
	v_min_u32_e32 v148, 32, v148
	s_delay_alu instid0(VALU_DEP_1) | instskip(SKIP_1) | instid1(VALU_DEP_2)
	v_subrev_nc_u32_e32 v149, 29, v148
	v_sub_nc_u32_e32 v148, 30, v148
	v_lshlrev_b32_e32 v17, v149, v17
	v_bfe_u32 v149, v13, 26, 5
	v_and_b32_e32 v13, 0x80000000, v13
	s_delay_alu instid0(VALU_DEP_2) | instskip(NEXT) | instid1(VALU_DEP_4)
	v_cmp_eq_u32_e32 vcc_lo, 0, v149
	v_dual_cndmask_b32 v148, v149, v148 :: v_dual_and_b32 v17, 3, v17
	s_delay_alu instid0(VALU_DEP_1) | instskip(NEXT) | instid1(VALU_DEP_2)
	v_cndmask_b32_e32 v17, v147, v17, vcc_lo
	v_lshl_add_u32 v147, v148, 23, 0x37800000
	s_delay_alu instid0(VALU_DEP_2) | instskip(NEXT) | instid1(VALU_DEP_1)
	v_lshlrev_b32_e32 v17, 21, v17
	v_or3_b32 v147, v13, v147, v17
.LBB4_648:                              ;   in Loop: Header=BB4_144 Depth=2
	s_or_b32 exec_lo, exec_lo, s24
	s_delay_alu instid0(VALU_DEP_1) | instskip(NEXT) | instid1(VALU_DEP_1)
	v_mul_f32_e32 v13, v146, v147
	v_and_b32_e32 v17, 0x7f800000, v13
	s_delay_alu instid0(VALU_DEP_1)
	v_cmp_ne_u32_e32 vcc_lo, 0x7f800000, v17
	v_mov_b32_e32 v17, 0x8000
	s_and_saveexec_b32 s24, vcc_lo
	s_cbranch_execz .LBB4_143
; %bb.649:                              ;   in Loop: Header=BB4_144 Depth=2
	v_mov_b32_e32 v17, 0
	s_mov_b32 s25, exec_lo
	v_cmpx_ne_u32_e32 0, v13
	s_cbranch_execz .LBB4_142
; %bb.650:                              ;   in Loop: Header=BB4_144 Depth=2
	v_bfe_u32 v17, v13, 23, 8
	s_delay_alu instid0(VALU_DEP_1) | instskip(SKIP_1) | instid1(VALU_DEP_2)
	v_sub_nc_u32_e32 v147, 0x70, v17
	v_cmp_gt_u32_e32 vcc_lo, 0x71, v17
	v_dual_cndmask_b32 v147, 0, v147 :: v_dual_and_b32 v146, 0x7fffff, v13
	s_delay_alu instid0(VALU_DEP_1) | instskip(SKIP_2) | instid1(VALU_DEP_4)
	v_or_b32_e32 v148, 0x800000, v146
	v_cmp_eq_u32_e32 vcc_lo, 0, v17
	v_add_nc_u32_e32 v17, 0xffffff91, v17
	v_cndmask_b32_e64 v147, v147, 0x6f, vcc_lo
	s_delay_alu instid0(VALU_DEP_4) | instskip(NEXT) | instid1(VALU_DEP_3)
	v_cndmask_b32_e32 v146, v148, v146, vcc_lo
	v_cndmask_b32_e64 v17, v17, 0xffffff92, vcc_lo
	s_delay_alu instid0(VALU_DEP_3) | instskip(NEXT) | instid1(VALU_DEP_3)
	v_lshl_add_u32 v148, 0x200000, v147, -1
	v_lshrrev_b32_e32 v149, v147, v146
	v_lshlrev_b32_e64 v151, v147, 0x100000
	s_delay_alu instid0(VALU_DEP_4) | instskip(NEXT) | instid1(VALU_DEP_4)
	v_add_nc_u32_e32 v147, v147, v17
	v_and_b32_e32 v146, v148, v146
	s_delay_alu instid0(VALU_DEP_4) | instskip(NEXT) | instid1(VALU_DEP_2)
	v_bfe_u32 v150, v149, 21, 1
	v_cmp_eq_u32_e64 s11, v146, v151
	s_delay_alu instid0(VALU_DEP_2) | instskip(NEXT) | instid1(VALU_DEP_1)
	v_add_nc_u32_e32 v148, -1, v150
	v_cndmask_b32_e64 v146, 0, v148, s11
	v_lshrrev_b32_e32 v148, 23, v149
	s_mov_b32 s11, exec_lo
	s_delay_alu instid0(VALU_DEP_2) | instskip(NEXT) | instid1(VALU_DEP_2)
	v_add_nc_u32_e32 v146, v146, v149
	v_xor_b32_e32 v148, 1, v148
	s_delay_alu instid0(VALU_DEP_2) | instskip(NEXT) | instid1(VALU_DEP_1)
	v_and_b32_e32 v17, 0x1fffff, v146
	v_add_nc_u32_e32 v146, v17, v149
                                        ; implicit-def: $vgpr17
	s_delay_alu instid0(VALU_DEP_3)
	v_cmpx_ne_u32_e64 v147, v148
	s_xor_b32 s11, exec_lo, s11
; %bb.651:                              ;   in Loop: Header=BB4_144 Depth=2
	s_delay_alu instid0(VALU_DEP_2) | instskip(SKIP_2) | instid1(VALU_DEP_2)
	v_cmp_lt_u32_e32 vcc_lo, 0xffffff, v146
	v_sub_nc_u32_e32 v17, v147, v148
	v_cndmask_b32_e64 v147, 0, 1, vcc_lo
	v_add_co_ci_u32_e32 v17, vcc_lo, 0, v17, vcc_lo
	s_delay_alu instid0(VALU_DEP_2)
	v_lshrrev_b32_e32 v146, v147, v146
; %bb.652:                              ;   in Loop: Header=BB4_144 Depth=2
	s_and_not1_saveexec_b32 s11, s11
	s_cbranch_execz .LBB4_141
; %bb.653:                              ;   in Loop: Header=BB4_144 Depth=2
	s_delay_alu instid0(VALU_DEP_1)
	v_bfe_u32 v17, v146, 23, 1
	s_branch .LBB4_141
.LBB4_654:                              ;   in Loop: Header=BB4_144 Depth=2
	s_mov_b32 s11, -1
	s_mov_b32 s26, exec_lo
                                        ; implicit-def: $sgpr24
	v_cmpx_eq_u16_e32 0x80, v114
; %bb.655:                              ;   in Loop: Header=BB4_144 Depth=2
	s_mov_b32 s24, 0x7f800001
	s_xor_b32 s11, exec_lo, -1
; %bb.656:                              ;   in Loop: Header=BB4_144 Depth=2
	s_or_b32 exec_lo, exec_lo, s26
	s_delay_alu instid0(SALU_CYCLE_1)
	s_and_b32 s11, s11, exec_lo
                                        ; implicit-def: $vgpr114
	s_or_saveexec_b32 s25, s25
	v_mov_b32_e32 v113, s24
	s_xor_b32 exec_lo, exec_lo, s25
	s_cbranch_execz .LBB4_146
.LBB4_657:                              ;   in Loop: Header=BB4_144 Depth=2
	v_cmp_ne_u16_e32 vcc_lo, 0, v114
	v_mov_b32_e32 v113, 0
	s_and_not1_b32 s11, s11, exec_lo
	s_and_b32 s24, vcc_lo, exec_lo
	s_delay_alu instid0(SALU_CYCLE_1)
	s_or_b32 s11, s11, s24
	s_or_b32 exec_lo, exec_lo, s25
	s_and_saveexec_b32 s24, s11
	s_cbranch_execnz .LBB4_147
	s_branch .LBB4_148
.LBB4_658:                              ;   in Loop: Header=BB4_144 Depth=2
	s_mov_b32 s11, -1
	s_mov_b32 s26, exec_lo
                                        ; implicit-def: $sgpr24
	v_cmpx_eq_u16_e32 0x80, v115
; %bb.659:                              ;   in Loop: Header=BB4_144 Depth=2
	s_mov_b32 s24, 0x7f800001
	s_xor_b32 s11, exec_lo, -1
; %bb.660:                              ;   in Loop: Header=BB4_144 Depth=2
	s_or_b32 exec_lo, exec_lo, s26
	s_delay_alu instid0(SALU_CYCLE_1)
	s_and_b32 s11, s11, exec_lo
                                        ; implicit-def: $vgpr115
	s_or_saveexec_b32 s25, s25
	v_mov_b32_e32 v114, s24
	s_xor_b32 exec_lo, exec_lo, s25
	s_cbranch_execz .LBB4_150
.LBB4_661:                              ;   in Loop: Header=BB4_144 Depth=2
	v_cmp_ne_u16_e32 vcc_lo, 0, v115
	v_mov_b32_e32 v114, 0
	s_and_not1_b32 s11, s11, exec_lo
	s_and_b32 s24, vcc_lo, exec_lo
	s_delay_alu instid0(SALU_CYCLE_1)
	s_or_b32 s11, s11, s24
	s_or_b32 exec_lo, exec_lo, s25
	s_and_saveexec_b32 s24, s11
	s_cbranch_execnz .LBB4_151
	s_branch .LBB4_152
.LBB4_662:                              ;   in Loop: Header=BB4_144 Depth=2
	s_mov_b32 s11, -1
	s_mov_b32 s26, exec_lo
                                        ; implicit-def: $sgpr24
	v_cmpx_eq_u16_e32 0x80, v115
; %bb.663:                              ;   in Loop: Header=BB4_144 Depth=2
	s_mov_b32 s24, 0x7f800001
	s_xor_b32 s11, exec_lo, -1
; %bb.664:                              ;   in Loop: Header=BB4_144 Depth=2
	s_or_b32 exec_lo, exec_lo, s26
	s_delay_alu instid0(SALU_CYCLE_1)
	s_and_b32 s11, s11, exec_lo
	s_or_saveexec_b32 s25, s25
	v_mov_b32_e32 v114, s24
	s_xor_b32 exec_lo, exec_lo, s25
	s_cbranch_execz .LBB4_162
.LBB4_665:                              ;   in Loop: Header=BB4_144 Depth=2
	v_cmp_ne_u16_e32 vcc_lo, 0, v115
	v_mov_b32_e32 v114, 0
	s_and_not1_b32 s11, s11, exec_lo
	s_and_b32 s24, vcc_lo, exec_lo
	s_delay_alu instid0(SALU_CYCLE_1)
	s_or_b32 s11, s11, s24
	s_or_b32 exec_lo, exec_lo, s25
	s_and_saveexec_b32 s24, s11
	s_cbranch_execnz .LBB4_163
	s_branch .LBB4_164
.LBB4_666:                              ;   in Loop: Header=BB4_144 Depth=2
	s_mov_b32 s11, -1
	s_mov_b32 s26, exec_lo
                                        ; implicit-def: $sgpr24
	v_cmpx_eq_u16_e32 0x80, v115
; %bb.667:                              ;   in Loop: Header=BB4_144 Depth=2
	s_mov_b32 s24, 0x7f800001
	s_xor_b32 s11, exec_lo, -1
; %bb.668:                              ;   in Loop: Header=BB4_144 Depth=2
	s_or_b32 exec_lo, exec_lo, s26
	s_delay_alu instid0(SALU_CYCLE_1)
	s_and_b32 s11, s11, exec_lo
	s_or_saveexec_b32 s25, s25
	v_mov_b32_e32 v116, s24
	s_xor_b32 exec_lo, exec_lo, s25
	s_cbranch_execz .LBB4_166
.LBB4_669:                              ;   in Loop: Header=BB4_144 Depth=2
	v_cmp_ne_u16_e32 vcc_lo, 0, v115
	v_mov_b32_e32 v116, 0
	s_and_not1_b32 s11, s11, exec_lo
	s_and_b32 s24, vcc_lo, exec_lo
	s_delay_alu instid0(SALU_CYCLE_1)
	s_or_b32 s11, s11, s24
	s_or_b32 exec_lo, exec_lo, s25
	s_and_saveexec_b32 s24, s11
	s_cbranch_execnz .LBB4_167
	s_branch .LBB4_168
.LBB4_670:                              ;   in Loop: Header=BB4_144 Depth=2
	s_mov_b32 s11, -1
	s_mov_b32 s26, exec_lo
                                        ; implicit-def: $sgpr24
	v_cmpx_eq_u16_e32 0x80, v117
; %bb.671:                              ;   in Loop: Header=BB4_144 Depth=2
	s_mov_b32 s24, 0x7f800001
	s_xor_b32 s11, exec_lo, -1
; %bb.672:                              ;   in Loop: Header=BB4_144 Depth=2
	s_or_b32 exec_lo, exec_lo, s26
	s_delay_alu instid0(SALU_CYCLE_1)
	s_and_b32 s11, s11, exec_lo
                                        ; implicit-def: $vgpr117
	s_or_saveexec_b32 s25, s25
	v_mov_b32_e32 v115, s24
	s_xor_b32 exec_lo, exec_lo, s25
	s_cbranch_execz .LBB4_178
.LBB4_673:                              ;   in Loop: Header=BB4_144 Depth=2
	v_cmp_ne_u16_e32 vcc_lo, 0, v117
	v_mov_b32_e32 v115, 0
	s_and_not1_b32 s11, s11, exec_lo
	s_and_b32 s24, vcc_lo, exec_lo
	s_delay_alu instid0(SALU_CYCLE_1)
	s_or_b32 s11, s11, s24
	s_or_b32 exec_lo, exec_lo, s25
	s_and_saveexec_b32 s24, s11
	s_cbranch_execnz .LBB4_179
	s_branch .LBB4_180
.LBB4_674:                              ;   in Loop: Header=BB4_144 Depth=2
	s_mov_b32 s11, -1
	s_mov_b32 s26, exec_lo
                                        ; implicit-def: $sgpr24
	v_cmpx_eq_u16_e32 0x80, v118
; %bb.675:                              ;   in Loop: Header=BB4_144 Depth=2
	s_mov_b32 s24, 0x7f800001
	s_xor_b32 s11, exec_lo, -1
; %bb.676:                              ;   in Loop: Header=BB4_144 Depth=2
	s_or_b32 exec_lo, exec_lo, s26
	s_delay_alu instid0(SALU_CYCLE_1)
	s_and_b32 s11, s11, exec_lo
                                        ; implicit-def: $vgpr118
	s_or_saveexec_b32 s25, s25
	v_mov_b32_e32 v117, s24
	s_xor_b32 exec_lo, exec_lo, s25
	s_cbranch_execz .LBB4_182
.LBB4_677:                              ;   in Loop: Header=BB4_144 Depth=2
	v_cmp_ne_u16_e32 vcc_lo, 0, v118
	v_mov_b32_e32 v117, 0
	s_and_not1_b32 s11, s11, exec_lo
	s_and_b32 s24, vcc_lo, exec_lo
	s_delay_alu instid0(SALU_CYCLE_1)
	s_or_b32 s11, s11, s24
	s_or_b32 exec_lo, exec_lo, s25
	s_and_saveexec_b32 s24, s11
	s_cbranch_execnz .LBB4_183
	s_branch .LBB4_184
.LBB4_678:                              ;   in Loop: Header=BB4_144 Depth=2
	s_mov_b32 s11, -1
	s_mov_b32 s26, exec_lo
                                        ; implicit-def: $sgpr24
	v_cmpx_eq_u16_e32 0x80, v117
; %bb.679:                              ;   in Loop: Header=BB4_144 Depth=2
	s_mov_b32 s24, 0x7f800001
	s_xor_b32 s11, exec_lo, -1
; %bb.680:                              ;   in Loop: Header=BB4_144 Depth=2
	s_or_b32 exec_lo, exec_lo, s26
	s_delay_alu instid0(SALU_CYCLE_1)
	s_and_b32 s11, s11, exec_lo
	s_or_saveexec_b32 s25, s25
	v_mov_b32_e32 v116, s24
	s_xor_b32 exec_lo, exec_lo, s25
	s_cbranch_execz .LBB4_194
.LBB4_681:                              ;   in Loop: Header=BB4_144 Depth=2
	v_cmp_ne_u16_e32 vcc_lo, 0, v117
	v_mov_b32_e32 v116, 0
	s_and_not1_b32 s11, s11, exec_lo
	s_and_b32 s24, vcc_lo, exec_lo
	s_delay_alu instid0(SALU_CYCLE_1)
	s_or_b32 s11, s11, s24
	s_or_b32 exec_lo, exec_lo, s25
	s_and_saveexec_b32 s24, s11
	s_cbranch_execnz .LBB4_195
	s_branch .LBB4_196
.LBB4_682:                              ;   in Loop: Header=BB4_144 Depth=2
	s_mov_b32 s11, -1
	s_mov_b32 s26, exec_lo
                                        ; implicit-def: $sgpr24
	v_cmpx_eq_u16_e32 0x80, v22
; %bb.683:                              ;   in Loop: Header=BB4_144 Depth=2
	s_mov_b32 s24, 0x7f800001
	s_xor_b32 s11, exec_lo, -1
; %bb.684:                              ;   in Loop: Header=BB4_144 Depth=2
	s_or_b32 exec_lo, exec_lo, s26
	s_delay_alu instid0(SALU_CYCLE_1)
	s_and_b32 s11, s11, exec_lo
	s_or_saveexec_b32 s25, s25
	v_mov_b32_e32 v117, s24
	s_xor_b32 exec_lo, exec_lo, s25
	s_cbranch_execz .LBB4_198
.LBB4_685:                              ;   in Loop: Header=BB4_144 Depth=2
	v_cmp_ne_u16_e32 vcc_lo, 0, v22
	v_mov_b32_e32 v117, 0
	s_and_not1_b32 s11, s11, exec_lo
	s_and_b32 s24, vcc_lo, exec_lo
	s_delay_alu instid0(SALU_CYCLE_1)
	s_or_b32 s11, s11, s24
	s_or_b32 exec_lo, exec_lo, s25
	s_and_saveexec_b32 s24, s11
	s_cbranch_execnz .LBB4_199
	s_branch .LBB4_200
.LBB4_686:                              ;   in Loop: Header=BB4_144 Depth=2
	s_mov_b32 s11, -1
	s_mov_b32 s26, exec_lo
                                        ; implicit-def: $sgpr24
	v_cmpx_eq_u16_e32 0x80, v116
; %bb.687:                              ;   in Loop: Header=BB4_144 Depth=2
	s_mov_b32 s24, 0x7f800001
	s_xor_b32 s11, exec_lo, -1
; %bb.688:                              ;   in Loop: Header=BB4_144 Depth=2
	s_or_b32 exec_lo, exec_lo, s26
	s_delay_alu instid0(SALU_CYCLE_1)
	s_and_b32 s11, s11, exec_lo
                                        ; implicit-def: $vgpr116
	s_or_saveexec_b32 s25, s25
	v_mov_b32_e32 v22, s24
	s_xor_b32 exec_lo, exec_lo, s25
	s_cbranch_execz .LBB4_210
.LBB4_689:                              ;   in Loop: Header=BB4_144 Depth=2
	v_cmp_ne_u16_e32 vcc_lo, 0, v116
	v_mov_b32_e32 v22, 0
	s_and_not1_b32 s11, s11, exec_lo
	s_and_b32 s24, vcc_lo, exec_lo
	s_delay_alu instid0(SALU_CYCLE_1)
	s_or_b32 s11, s11, s24
	s_or_b32 exec_lo, exec_lo, s25
	s_and_saveexec_b32 s24, s11
	s_cbranch_execnz .LBB4_211
	s_branch .LBB4_212
.LBB4_690:                              ;   in Loop: Header=BB4_144 Depth=2
	s_mov_b32 s11, -1
	s_mov_b32 s26, exec_lo
                                        ; implicit-def: $sgpr24
	v_cmpx_eq_u16_e32 0x80, v117
; %bb.691:                              ;   in Loop: Header=BB4_144 Depth=2
	s_mov_b32 s24, 0x7f800001
	s_xor_b32 s11, exec_lo, -1
; %bb.692:                              ;   in Loop: Header=BB4_144 Depth=2
	s_or_b32 exec_lo, exec_lo, s26
	s_delay_alu instid0(SALU_CYCLE_1)
	s_and_b32 s11, s11, exec_lo
                                        ; implicit-def: $vgpr117
	s_or_saveexec_b32 s25, s25
	v_mov_b32_e32 v116, s24
	s_xor_b32 exec_lo, exec_lo, s25
	s_cbranch_execz .LBB4_214
.LBB4_693:                              ;   in Loop: Header=BB4_144 Depth=2
	v_cmp_ne_u16_e32 vcc_lo, 0, v117
	v_mov_b32_e32 v116, 0
	s_and_not1_b32 s11, s11, exec_lo
	s_and_b32 s24, vcc_lo, exec_lo
	s_delay_alu instid0(SALU_CYCLE_1)
	s_or_b32 s11, s11, s24
	s_or_b32 exec_lo, exec_lo, s25
	s_and_saveexec_b32 s24, s11
	s_cbranch_execnz .LBB4_215
	s_branch .LBB4_216
.LBB4_694:                              ;   in Loop: Header=BB4_144 Depth=2
	s_mov_b32 s11, -1
	s_mov_b32 s26, exec_lo
                                        ; implicit-def: $sgpr24
	v_cmpx_eq_u16_e32 0x80, v117
; %bb.695:                              ;   in Loop: Header=BB4_144 Depth=2
	s_mov_b32 s24, 0x7f800001
	s_xor_b32 s11, exec_lo, -1
; %bb.696:                              ;   in Loop: Header=BB4_144 Depth=2
	s_or_b32 exec_lo, exec_lo, s26
	s_delay_alu instid0(SALU_CYCLE_1)
	s_and_b32 s11, s11, exec_lo
	s_or_saveexec_b32 s25, s25
	v_mov_b32_e32 v116, s24
	s_xor_b32 exec_lo, exec_lo, s25
	s_cbranch_execz .LBB4_226
.LBB4_697:                              ;   in Loop: Header=BB4_144 Depth=2
	v_cmp_ne_u16_e32 vcc_lo, 0, v117
	v_mov_b32_e32 v116, 0
	s_and_not1_b32 s11, s11, exec_lo
	s_and_b32 s24, vcc_lo, exec_lo
	s_delay_alu instid0(SALU_CYCLE_1)
	s_or_b32 s11, s11, s24
	s_or_b32 exec_lo, exec_lo, s25
	s_and_saveexec_b32 s24, s11
	s_cbranch_execnz .LBB4_227
	s_branch .LBB4_228
.LBB4_698:                              ;   in Loop: Header=BB4_144 Depth=2
	s_mov_b32 s11, -1
	s_mov_b32 s26, exec_lo
                                        ; implicit-def: $sgpr24
	v_cmpx_eq_u16_e32 0x80, v117
; %bb.699:                              ;   in Loop: Header=BB4_144 Depth=2
	s_mov_b32 s24, 0x7f800001
	s_xor_b32 s11, exec_lo, -1
; %bb.700:                              ;   in Loop: Header=BB4_144 Depth=2
	s_or_b32 exec_lo, exec_lo, s26
	s_delay_alu instid0(SALU_CYCLE_1)
	s_and_b32 s11, s11, exec_lo
	s_or_saveexec_b32 s25, s25
	v_mov_b32_e32 v118, s24
	s_xor_b32 exec_lo, exec_lo, s25
	s_cbranch_execz .LBB4_230
.LBB4_701:                              ;   in Loop: Header=BB4_144 Depth=2
	v_cmp_ne_u16_e32 vcc_lo, 0, v117
	v_mov_b32_e32 v118, 0
	s_and_not1_b32 s11, s11, exec_lo
	s_and_b32 s24, vcc_lo, exec_lo
	s_delay_alu instid0(SALU_CYCLE_1)
	s_or_b32 s11, s11, s24
	s_or_b32 exec_lo, exec_lo, s25
	s_and_saveexec_b32 s24, s11
	s_cbranch_execnz .LBB4_231
	s_branch .LBB4_232
.LBB4_702:                              ;   in Loop: Header=BB4_144 Depth=2
	s_mov_b32 s11, -1
	s_mov_b32 s26, exec_lo
                                        ; implicit-def: $sgpr24
	v_cmpx_eq_u16_e32 0x80, v119
; %bb.703:                              ;   in Loop: Header=BB4_144 Depth=2
	s_mov_b32 s24, 0x7f800001
	s_xor_b32 s11, exec_lo, -1
; %bb.704:                              ;   in Loop: Header=BB4_144 Depth=2
	s_or_b32 exec_lo, exec_lo, s26
	s_delay_alu instid0(SALU_CYCLE_1)
	s_and_b32 s11, s11, exec_lo
                                        ; implicit-def: $vgpr119
	s_or_saveexec_b32 s25, s25
	v_mov_b32_e32 v117, s24
	s_xor_b32 exec_lo, exec_lo, s25
	s_cbranch_execz .LBB4_242
.LBB4_705:                              ;   in Loop: Header=BB4_144 Depth=2
	v_cmp_ne_u16_e32 vcc_lo, 0, v119
	v_mov_b32_e32 v117, 0
	s_and_not1_b32 s11, s11, exec_lo
	s_and_b32 s24, vcc_lo, exec_lo
	s_delay_alu instid0(SALU_CYCLE_1)
	s_or_b32 s11, s11, s24
	s_or_b32 exec_lo, exec_lo, s25
	s_and_saveexec_b32 s24, s11
	s_cbranch_execnz .LBB4_243
	s_branch .LBB4_244
.LBB4_706:                              ;   in Loop: Header=BB4_144 Depth=2
	s_mov_b32 s11, -1
	s_mov_b32 s26, exec_lo
                                        ; implicit-def: $sgpr24
	v_cmpx_eq_u16_e64 0x80, v128
; %bb.707:                              ;   in Loop: Header=BB4_144 Depth=2
	s_mov_b32 s24, 0x7f800001
	s_xor_b32 s11, exec_lo, -1
; %bb.708:                              ;   in Loop: Header=BB4_144 Depth=2
	s_or_b32 exec_lo, exec_lo, s26
	s_delay_alu instid0(SALU_CYCLE_1)
	s_and_b32 s11, s11, exec_lo
                                        ; implicit-def: $vgpr128
	s_or_saveexec_b32 s25, s25
	v_mov_b32_e32 v119, s24
	s_xor_b32 exec_lo, exec_lo, s25
	s_cbranch_execz .LBB4_246
.LBB4_709:                              ;   in Loop: Header=BB4_144 Depth=2
	v_cmp_ne_u16_e64 vcc_lo, 0, v128
	v_mov_b32_e32 v119, 0
	s_and_not1_b32 s11, s11, exec_lo
	s_delay_alu instid0(VALU_DEP_2) | instskip(NEXT) | instid1(SALU_CYCLE_1)
	s_and_b32 s24, vcc_lo, exec_lo
	s_or_b32 s11, s11, s24
	s_or_b32 exec_lo, exec_lo, s25
	s_and_saveexec_b32 s24, s11
	s_cbranch_execnz .LBB4_247
	s_branch .LBB4_248
.LBB4_710:                              ;   in Loop: Header=BB4_144 Depth=2
	s_mov_b32 s11, -1
	s_mov_b32 s26, exec_lo
                                        ; implicit-def: $sgpr24
	v_cmpx_eq_u16_e32 0x80, v119
; %bb.711:                              ;   in Loop: Header=BB4_144 Depth=2
	s_mov_b32 s24, 0x7f800001
	s_xor_b32 s11, exec_lo, -1
; %bb.712:                              ;   in Loop: Header=BB4_144 Depth=2
	s_or_b32 exec_lo, exec_lo, s26
	s_delay_alu instid0(SALU_CYCLE_1)
	s_and_b32 s11, s11, exec_lo
	s_or_saveexec_b32 s25, s25
	v_mov_b32_e32 v118, s24
	s_xor_b32 exec_lo, exec_lo, s25
	s_cbranch_execz .LBB4_258
.LBB4_713:                              ;   in Loop: Header=BB4_144 Depth=2
	v_cmp_ne_u16_e32 vcc_lo, 0, v119
	v_mov_b32_e32 v118, 0
	s_and_not1_b32 s11, s11, exec_lo
	s_and_b32 s24, vcc_lo, exec_lo
	s_delay_alu instid0(SALU_CYCLE_1)
	s_or_b32 s11, s11, s24
	s_or_b32 exec_lo, exec_lo, s25
	s_and_saveexec_b32 s24, s11
	s_cbranch_execnz .LBB4_259
	s_branch .LBB4_260
.LBB4_714:                              ;   in Loop: Header=BB4_144 Depth=2
	s_mov_b32 s11, -1
	s_mov_b32 s26, exec_lo
                                        ; implicit-def: $sgpr24
	v_cmpx_eq_u16_e32 0x80, v23
; %bb.715:                              ;   in Loop: Header=BB4_144 Depth=2
	s_mov_b32 s24, 0x7f800001
	s_xor_b32 s11, exec_lo, -1
; %bb.716:                              ;   in Loop: Header=BB4_144 Depth=2
	s_or_b32 exec_lo, exec_lo, s26
	s_delay_alu instid0(SALU_CYCLE_1)
	s_and_b32 s11, s11, exec_lo
	s_or_saveexec_b32 s25, s25
	v_mov_b32_e32 v119, s24
	s_xor_b32 exec_lo, exec_lo, s25
	s_cbranch_execz .LBB4_262
.LBB4_717:                              ;   in Loop: Header=BB4_144 Depth=2
	v_cmp_ne_u16_e32 vcc_lo, 0, v23
	v_mov_b32_e32 v119, 0
	s_and_not1_b32 s11, s11, exec_lo
	s_and_b32 s24, vcc_lo, exec_lo
	s_delay_alu instid0(SALU_CYCLE_1)
	s_or_b32 s11, s11, s24
	s_or_b32 exec_lo, exec_lo, s25
	s_and_saveexec_b32 s24, s11
	s_cbranch_execnz .LBB4_263
	s_branch .LBB4_264
.LBB4_718:                              ;   in Loop: Header=BB4_144 Depth=2
	s_mov_b32 s11, -1
	s_mov_b32 s26, exec_lo
                                        ; implicit-def: $sgpr24
	v_cmpx_eq_u16_e32 0x80, v118
; %bb.719:                              ;   in Loop: Header=BB4_144 Depth=2
	s_mov_b32 s24, 0x7f800001
	s_xor_b32 s11, exec_lo, -1
; %bb.720:                              ;   in Loop: Header=BB4_144 Depth=2
	s_or_b32 exec_lo, exec_lo, s26
	s_delay_alu instid0(SALU_CYCLE_1)
	s_and_b32 s11, s11, exec_lo
                                        ; implicit-def: $vgpr118
	s_or_saveexec_b32 s25, s25
	v_mov_b32_e32 v23, s24
	s_xor_b32 exec_lo, exec_lo, s25
	s_cbranch_execz .LBB4_274
.LBB4_721:                              ;   in Loop: Header=BB4_144 Depth=2
	v_cmp_ne_u16_e32 vcc_lo, 0, v118
	v_mov_b32_e32 v23, 0
	s_and_not1_b32 s11, s11, exec_lo
	s_and_b32 s24, vcc_lo, exec_lo
	s_delay_alu instid0(SALU_CYCLE_1)
	s_or_b32 s11, s11, s24
	s_or_b32 exec_lo, exec_lo, s25
	s_and_saveexec_b32 s24, s11
	s_cbranch_execnz .LBB4_275
	s_branch .LBB4_276
.LBB4_722:                              ;   in Loop: Header=BB4_144 Depth=2
	s_mov_b32 s11, -1
	s_mov_b32 s26, exec_lo
                                        ; implicit-def: $sgpr24
	v_cmpx_eq_u16_e32 0x80, v119
; %bb.723:                              ;   in Loop: Header=BB4_144 Depth=2
	s_mov_b32 s24, 0x7f800001
	s_xor_b32 s11, exec_lo, -1
; %bb.724:                              ;   in Loop: Header=BB4_144 Depth=2
	s_or_b32 exec_lo, exec_lo, s26
	s_delay_alu instid0(SALU_CYCLE_1)
	s_and_b32 s11, s11, exec_lo
                                        ; implicit-def: $vgpr119
	s_or_saveexec_b32 s25, s25
	v_mov_b32_e32 v118, s24
	s_xor_b32 exec_lo, exec_lo, s25
	s_cbranch_execz .LBB4_278
.LBB4_725:                              ;   in Loop: Header=BB4_144 Depth=2
	v_cmp_ne_u16_e32 vcc_lo, 0, v119
	v_mov_b32_e32 v118, 0
	s_and_not1_b32 s11, s11, exec_lo
	s_and_b32 s24, vcc_lo, exec_lo
	s_delay_alu instid0(SALU_CYCLE_1)
	s_or_b32 s11, s11, s24
	s_or_b32 exec_lo, exec_lo, s25
	s_and_saveexec_b32 s24, s11
	s_cbranch_execnz .LBB4_279
	s_branch .LBB4_280
.LBB4_726:                              ;   in Loop: Header=BB4_144 Depth=2
	s_mov_b32 s11, -1
	s_mov_b32 s26, exec_lo
                                        ; implicit-def: $sgpr24
	v_cmpx_eq_u16_e32 0x80, v119
; %bb.727:                              ;   in Loop: Header=BB4_144 Depth=2
	s_mov_b32 s24, 0x7f800001
	s_xor_b32 s11, exec_lo, -1
; %bb.728:                              ;   in Loop: Header=BB4_144 Depth=2
	s_or_b32 exec_lo, exec_lo, s26
	s_delay_alu instid0(SALU_CYCLE_1)
	s_and_b32 s11, s11, exec_lo
	s_or_saveexec_b32 s25, s25
	v_mov_b32_e32 v118, s24
	s_xor_b32 exec_lo, exec_lo, s25
	s_cbranch_execz .LBB4_290
.LBB4_729:                              ;   in Loop: Header=BB4_144 Depth=2
	v_cmp_ne_u16_e32 vcc_lo, 0, v119
	v_mov_b32_e32 v118, 0
	s_and_not1_b32 s11, s11, exec_lo
	s_and_b32 s24, vcc_lo, exec_lo
	s_delay_alu instid0(SALU_CYCLE_1)
	s_or_b32 s11, s11, s24
	s_or_b32 exec_lo, exec_lo, s25
	s_and_saveexec_b32 s24, s11
	s_cbranch_execnz .LBB4_291
	s_branch .LBB4_292
.LBB4_730:                              ;   in Loop: Header=BB4_144 Depth=2
	s_mov_b32 s11, -1
	s_mov_b32 s26, exec_lo
                                        ; implicit-def: $sgpr24
	v_cmpx_eq_u16_e32 0x80, v119
; %bb.731:                              ;   in Loop: Header=BB4_144 Depth=2
	s_mov_b32 s24, 0x7f800001
	s_xor_b32 s11, exec_lo, -1
; %bb.732:                              ;   in Loop: Header=BB4_144 Depth=2
	s_or_b32 exec_lo, exec_lo, s26
	s_delay_alu instid0(SALU_CYCLE_1)
	s_and_b32 s11, s11, exec_lo
	s_or_saveexec_b32 s25, s25
	v_mov_b32_e32 v128, s24
	s_xor_b32 exec_lo, exec_lo, s25
	s_cbranch_execz .LBB4_294
.LBB4_733:                              ;   in Loop: Header=BB4_144 Depth=2
	v_cmp_ne_u16_e32 vcc_lo, 0, v119
	v_mov_b32_e32 v128, 0
	s_and_not1_b32 s11, s11, exec_lo
	s_and_b32 s24, vcc_lo, exec_lo
	s_delay_alu instid0(SALU_CYCLE_1)
	s_or_b32 s11, s11, s24
	s_or_b32 exec_lo, exec_lo, s25
	s_and_saveexec_b32 s24, s11
	s_cbranch_execnz .LBB4_295
	s_branch .LBB4_296
.LBB4_734:                              ;   in Loop: Header=BB4_144 Depth=2
	s_mov_b32 s11, -1
	s_mov_b32 s26, exec_lo
                                        ; implicit-def: $sgpr24
	v_cmpx_eq_u16_e64 0x80, v129
; %bb.735:                              ;   in Loop: Header=BB4_144 Depth=2
	s_mov_b32 s24, 0x7f800001
	s_xor_b32 s11, exec_lo, -1
; %bb.736:                              ;   in Loop: Header=BB4_144 Depth=2
	s_or_b32 exec_lo, exec_lo, s26
	s_delay_alu instid0(SALU_CYCLE_1)
	s_and_b32 s11, s11, exec_lo
                                        ; implicit-def: $vgpr129
	s_or_saveexec_b32 s25, s25
	v_mov_b32_e32 v119, s24
	s_xor_b32 exec_lo, exec_lo, s25
	s_cbranch_execz .LBB4_306
.LBB4_737:                              ;   in Loop: Header=BB4_144 Depth=2
	v_cmp_ne_u16_e64 vcc_lo, 0, v129
	v_mov_b32_e32 v119, 0
	s_and_not1_b32 s11, s11, exec_lo
	s_delay_alu instid0(VALU_DEP_2) | instskip(NEXT) | instid1(SALU_CYCLE_1)
	s_and_b32 s24, vcc_lo, exec_lo
	s_or_b32 s11, s11, s24
	s_or_b32 exec_lo, exec_lo, s25
	s_and_saveexec_b32 s24, s11
	s_cbranch_execnz .LBB4_307
	s_branch .LBB4_308
.LBB4_738:                              ;   in Loop: Header=BB4_144 Depth=2
	s_mov_b32 s11, -1
	s_mov_b32 s26, exec_lo
                                        ; implicit-def: $sgpr24
	v_cmpx_eq_u16_e64 0x80, v130
; %bb.739:                              ;   in Loop: Header=BB4_144 Depth=2
	s_mov_b32 s24, 0x7f800001
	s_xor_b32 s11, exec_lo, -1
; %bb.740:                              ;   in Loop: Header=BB4_144 Depth=2
	s_or_b32 exec_lo, exec_lo, s26
	s_delay_alu instid0(SALU_CYCLE_1)
	s_and_b32 s11, s11, exec_lo
                                        ; implicit-def: $vgpr130
	s_or_saveexec_b32 s25, s25
	v_mov_b32_e32 v129, s24
	s_xor_b32 exec_lo, exec_lo, s25
	s_cbranch_execz .LBB4_310
.LBB4_741:                              ;   in Loop: Header=BB4_144 Depth=2
	v_cmp_ne_u16_e64 vcc_lo, 0, v130
	v_mov_b32_e32 v129, 0
	s_and_not1_b32 s11, s11, exec_lo
	s_delay_alu instid0(VALU_DEP_2) | instskip(NEXT) | instid1(SALU_CYCLE_1)
	s_and_b32 s24, vcc_lo, exec_lo
	s_or_b32 s11, s11, s24
	s_or_b32 exec_lo, exec_lo, s25
	s_and_saveexec_b32 s24, s11
	s_cbranch_execnz .LBB4_311
	s_branch .LBB4_312
.LBB4_742:                              ;   in Loop: Header=BB4_144 Depth=2
	s_mov_b32 s11, -1
	s_mov_b32 s26, exec_lo
                                        ; implicit-def: $sgpr24
	v_cmpx_eq_u16_e64 0x80, v129
; %bb.743:                              ;   in Loop: Header=BB4_144 Depth=2
	s_mov_b32 s24, 0x7f800001
	s_xor_b32 s11, exec_lo, -1
; %bb.744:                              ;   in Loop: Header=BB4_144 Depth=2
	s_or_b32 exec_lo, exec_lo, s26
	s_delay_alu instid0(SALU_CYCLE_1)
	s_and_b32 s11, s11, exec_lo
	s_or_saveexec_b32 s25, s25
	v_mov_b32_e32 v128, s24
	s_xor_b32 exec_lo, exec_lo, s25
	s_cbranch_execz .LBB4_322
.LBB4_745:                              ;   in Loop: Header=BB4_144 Depth=2
	v_cmp_ne_u16_e64 vcc_lo, 0, v129
	v_mov_b32_e32 v128, 0
	s_and_not1_b32 s11, s11, exec_lo
	s_delay_alu instid0(VALU_DEP_2) | instskip(NEXT) | instid1(SALU_CYCLE_1)
	s_and_b32 s24, vcc_lo, exec_lo
	s_or_b32 s11, s11, s24
	s_or_b32 exec_lo, exec_lo, s25
	s_and_saveexec_b32 s24, s11
	s_cbranch_execnz .LBB4_323
	s_branch .LBB4_324
.LBB4_746:                              ;   in Loop: Header=BB4_144 Depth=2
	s_mov_b32 s11, -1
	s_mov_b32 s26, exec_lo
                                        ; implicit-def: $sgpr24
	v_cmpx_eq_u16_e32 0x80, v24
; %bb.747:                              ;   in Loop: Header=BB4_144 Depth=2
	s_mov_b32 s24, 0x7f800001
	s_xor_b32 s11, exec_lo, -1
; %bb.748:                              ;   in Loop: Header=BB4_144 Depth=2
	s_or_b32 exec_lo, exec_lo, s26
	s_delay_alu instid0(SALU_CYCLE_1)
	s_and_b32 s11, s11, exec_lo
	s_or_saveexec_b32 s25, s25
	v_mov_b32_e32 v129, s24
	s_xor_b32 exec_lo, exec_lo, s25
	s_cbranch_execz .LBB4_326
.LBB4_749:                              ;   in Loop: Header=BB4_144 Depth=2
	v_cmp_ne_u16_e32 vcc_lo, 0, v24
	v_mov_b32_e32 v129, 0
	s_and_not1_b32 s11, s11, exec_lo
	s_and_b32 s24, vcc_lo, exec_lo
	s_delay_alu instid0(SALU_CYCLE_1)
	s_or_b32 s11, s11, s24
	s_or_b32 exec_lo, exec_lo, s25
	s_and_saveexec_b32 s24, s11
	s_cbranch_execnz .LBB4_327
	s_branch .LBB4_328
.LBB4_750:                              ;   in Loop: Header=BB4_144 Depth=2
	s_mov_b32 s11, -1
	s_mov_b32 s26, exec_lo
                                        ; implicit-def: $sgpr24
	v_cmpx_eq_u16_e64 0x80, v128
; %bb.751:                              ;   in Loop: Header=BB4_144 Depth=2
	s_mov_b32 s24, 0x7f800001
	s_xor_b32 s11, exec_lo, -1
; %bb.752:                              ;   in Loop: Header=BB4_144 Depth=2
	s_or_b32 exec_lo, exec_lo, s26
	s_delay_alu instid0(SALU_CYCLE_1)
	s_and_b32 s11, s11, exec_lo
                                        ; implicit-def: $vgpr128
	s_or_saveexec_b32 s25, s25
	v_mov_b32_e32 v24, s24
	s_xor_b32 exec_lo, exec_lo, s25
	s_cbranch_execz .LBB4_338
.LBB4_753:                              ;   in Loop: Header=BB4_144 Depth=2
	v_cmp_ne_u16_e64 vcc_lo, 0, v128
	v_mov_b32_e32 v24, 0
	s_and_not1_b32 s11, s11, exec_lo
	s_delay_alu instid0(VALU_DEP_2) | instskip(NEXT) | instid1(SALU_CYCLE_1)
	s_and_b32 s24, vcc_lo, exec_lo
	s_or_b32 s11, s11, s24
	s_or_b32 exec_lo, exec_lo, s25
	s_and_saveexec_b32 s24, s11
	s_cbranch_execnz .LBB4_339
	s_branch .LBB4_340
.LBB4_754:                              ;   in Loop: Header=BB4_144 Depth=2
	s_mov_b32 s11, -1
	s_mov_b32 s26, exec_lo
                                        ; implicit-def: $sgpr24
	v_cmpx_eq_u16_e64 0x80, v129
; %bb.755:                              ;   in Loop: Header=BB4_144 Depth=2
	s_mov_b32 s24, 0x7f800001
	s_xor_b32 s11, exec_lo, -1
; %bb.756:                              ;   in Loop: Header=BB4_144 Depth=2
	s_or_b32 exec_lo, exec_lo, s26
	s_delay_alu instid0(SALU_CYCLE_1)
	s_and_b32 s11, s11, exec_lo
                                        ; implicit-def: $vgpr129
	s_or_saveexec_b32 s25, s25
	v_mov_b32_e32 v128, s24
	s_xor_b32 exec_lo, exec_lo, s25
	s_cbranch_execz .LBB4_342
.LBB4_757:                              ;   in Loop: Header=BB4_144 Depth=2
	v_cmp_ne_u16_e64 vcc_lo, 0, v129
	v_mov_b32_e32 v128, 0
	s_and_not1_b32 s11, s11, exec_lo
	s_delay_alu instid0(VALU_DEP_2) | instskip(NEXT) | instid1(SALU_CYCLE_1)
	s_and_b32 s24, vcc_lo, exec_lo
	s_or_b32 s11, s11, s24
	s_or_b32 exec_lo, exec_lo, s25
	s_and_saveexec_b32 s24, s11
	s_cbranch_execnz .LBB4_343
	s_branch .LBB4_344
.LBB4_758:                              ;   in Loop: Header=BB4_144 Depth=2
	s_mov_b32 s11, -1
	s_mov_b32 s26, exec_lo
                                        ; implicit-def: $sgpr24
	v_cmpx_eq_u16_e64 0x80, v129
; %bb.759:                              ;   in Loop: Header=BB4_144 Depth=2
	s_mov_b32 s24, 0x7f800001
	s_xor_b32 s11, exec_lo, -1
; %bb.760:                              ;   in Loop: Header=BB4_144 Depth=2
	s_or_b32 exec_lo, exec_lo, s26
	s_delay_alu instid0(SALU_CYCLE_1)
	s_and_b32 s11, s11, exec_lo
	s_or_saveexec_b32 s25, s25
	v_mov_b32_e32 v128, s24
	s_xor_b32 exec_lo, exec_lo, s25
	s_cbranch_execz .LBB4_354
.LBB4_761:                              ;   in Loop: Header=BB4_144 Depth=2
	v_cmp_ne_u16_e64 vcc_lo, 0, v129
	v_mov_b32_e32 v128, 0
	s_and_not1_b32 s11, s11, exec_lo
	s_delay_alu instid0(VALU_DEP_2) | instskip(NEXT) | instid1(SALU_CYCLE_1)
	s_and_b32 s24, vcc_lo, exec_lo
	s_or_b32 s11, s11, s24
	s_or_b32 exec_lo, exec_lo, s25
	s_and_saveexec_b32 s24, s11
	s_cbranch_execnz .LBB4_355
	s_branch .LBB4_356
.LBB4_762:                              ;   in Loop: Header=BB4_144 Depth=2
	s_mov_b32 s11, -1
	s_mov_b32 s26, exec_lo
                                        ; implicit-def: $sgpr24
	v_cmpx_eq_u16_e64 0x80, v129
; %bb.763:                              ;   in Loop: Header=BB4_144 Depth=2
	s_mov_b32 s24, 0x7f800001
	s_xor_b32 s11, exec_lo, -1
; %bb.764:                              ;   in Loop: Header=BB4_144 Depth=2
	s_or_b32 exec_lo, exec_lo, s26
	s_delay_alu instid0(SALU_CYCLE_1)
	s_and_b32 s11, s11, exec_lo
	s_or_saveexec_b32 s25, s25
	v_mov_b32_e32 v130, s24
	s_xor_b32 exec_lo, exec_lo, s25
	s_cbranch_execz .LBB4_358
.LBB4_765:                              ;   in Loop: Header=BB4_144 Depth=2
	v_cmp_ne_u16_e64 vcc_lo, 0, v129
	v_mov_b32_e32 v130, 0
	s_and_not1_b32 s11, s11, exec_lo
	s_delay_alu instid0(VALU_DEP_2) | instskip(NEXT) | instid1(SALU_CYCLE_1)
	s_and_b32 s24, vcc_lo, exec_lo
	s_or_b32 s11, s11, s24
	s_or_b32 exec_lo, exec_lo, s25
	s_and_saveexec_b32 s24, s11
	s_cbranch_execnz .LBB4_359
	s_branch .LBB4_360
.LBB4_766:                              ;   in Loop: Header=BB4_144 Depth=2
	s_mov_b32 s11, -1
	s_mov_b32 s26, exec_lo
                                        ; implicit-def: $sgpr24
	v_cmpx_eq_u16_e64 0x80, v131
; %bb.767:                              ;   in Loop: Header=BB4_144 Depth=2
	s_mov_b32 s24, 0x7f800001
	s_xor_b32 s11, exec_lo, -1
; %bb.768:                              ;   in Loop: Header=BB4_144 Depth=2
	s_or_b32 exec_lo, exec_lo, s26
	s_delay_alu instid0(SALU_CYCLE_1)
	s_and_b32 s11, s11, exec_lo
                                        ; implicit-def: $vgpr131
	s_or_saveexec_b32 s25, s25
	v_mov_b32_e32 v129, s24
	s_xor_b32 exec_lo, exec_lo, s25
	s_cbranch_execz .LBB4_370
.LBB4_769:                              ;   in Loop: Header=BB4_144 Depth=2
	v_cmp_ne_u16_e64 vcc_lo, 0, v131
	v_mov_b32_e32 v129, 0
	s_and_not1_b32 s11, s11, exec_lo
	s_delay_alu instid0(VALU_DEP_2) | instskip(NEXT) | instid1(SALU_CYCLE_1)
	s_and_b32 s24, vcc_lo, exec_lo
	s_or_b32 s11, s11, s24
	s_or_b32 exec_lo, exec_lo, s25
	s_and_saveexec_b32 s24, s11
	s_cbranch_execnz .LBB4_371
	s_branch .LBB4_372
.LBB4_770:                              ;   in Loop: Header=BB4_144 Depth=2
	s_mov_b32 s11, -1
	s_mov_b32 s26, exec_lo
                                        ; implicit-def: $sgpr24
	v_cmpx_eq_u16_e64 0x80, v132
; %bb.771:                              ;   in Loop: Header=BB4_144 Depth=2
	s_mov_b32 s24, 0x7f800001
	s_xor_b32 s11, exec_lo, -1
; %bb.772:                              ;   in Loop: Header=BB4_144 Depth=2
	s_or_b32 exec_lo, exec_lo, s26
	s_delay_alu instid0(SALU_CYCLE_1)
	s_and_b32 s11, s11, exec_lo
                                        ; implicit-def: $vgpr132
	s_or_saveexec_b32 s25, s25
	v_mov_b32_e32 v131, s24
	s_xor_b32 exec_lo, exec_lo, s25
	s_cbranch_execz .LBB4_374
.LBB4_773:                              ;   in Loop: Header=BB4_144 Depth=2
	v_cmp_ne_u16_e64 vcc_lo, 0, v132
	v_mov_b32_e32 v131, 0
	s_and_not1_b32 s11, s11, exec_lo
	s_delay_alu instid0(VALU_DEP_2) | instskip(NEXT) | instid1(SALU_CYCLE_1)
	s_and_b32 s24, vcc_lo, exec_lo
	s_or_b32 s11, s11, s24
	s_or_b32 exec_lo, exec_lo, s25
	s_and_saveexec_b32 s24, s11
	s_cbranch_execnz .LBB4_375
	s_branch .LBB4_376
.LBB4_774:                              ;   in Loop: Header=BB4_144 Depth=2
	s_mov_b32 s11, -1
	s_mov_b32 s26, exec_lo
                                        ; implicit-def: $sgpr24
	v_cmpx_eq_u16_e64 0x80, v131
; %bb.775:                              ;   in Loop: Header=BB4_144 Depth=2
	s_mov_b32 s24, 0x7f800001
	s_xor_b32 s11, exec_lo, -1
; %bb.776:                              ;   in Loop: Header=BB4_144 Depth=2
	s_or_b32 exec_lo, exec_lo, s26
	s_delay_alu instid0(SALU_CYCLE_1)
	s_and_b32 s11, s11, exec_lo
	s_or_saveexec_b32 s25, s25
	v_mov_b32_e32 v130, s24
	s_xor_b32 exec_lo, exec_lo, s25
	s_cbranch_execz .LBB4_386
.LBB4_777:                              ;   in Loop: Header=BB4_144 Depth=2
	v_cmp_ne_u16_e64 vcc_lo, 0, v131
	v_mov_b32_e32 v130, 0
	s_and_not1_b32 s11, s11, exec_lo
	s_delay_alu instid0(VALU_DEP_2) | instskip(NEXT) | instid1(SALU_CYCLE_1)
	s_and_b32 s24, vcc_lo, exec_lo
	s_or_b32 s11, s11, s24
	s_or_b32 exec_lo, exec_lo, s25
	s_and_saveexec_b32 s24, s11
	s_cbranch_execnz .LBB4_387
	s_branch .LBB4_388
.LBB4_778:                              ;   in Loop: Header=BB4_144 Depth=2
	s_mov_b32 s11, -1
	s_mov_b32 s26, exec_lo
                                        ; implicit-def: $sgpr24
	v_cmpx_eq_u16_e32 0x80, v25
; %bb.779:                              ;   in Loop: Header=BB4_144 Depth=2
	s_mov_b32 s24, 0x7f800001
	s_xor_b32 s11, exec_lo, -1
; %bb.780:                              ;   in Loop: Header=BB4_144 Depth=2
	s_or_b32 exec_lo, exec_lo, s26
	s_delay_alu instid0(SALU_CYCLE_1)
	s_and_b32 s11, s11, exec_lo
	s_or_saveexec_b32 s25, s25
	v_mov_b32_e32 v131, s24
	s_xor_b32 exec_lo, exec_lo, s25
	s_cbranch_execz .LBB4_390
.LBB4_781:                              ;   in Loop: Header=BB4_144 Depth=2
	v_cmp_ne_u16_e32 vcc_lo, 0, v25
	v_mov_b32_e32 v131, 0
	s_and_not1_b32 s11, s11, exec_lo
	s_and_b32 s24, vcc_lo, exec_lo
	s_delay_alu instid0(SALU_CYCLE_1)
	s_or_b32 s11, s11, s24
	s_or_b32 exec_lo, exec_lo, s25
	s_and_saveexec_b32 s24, s11
	s_cbranch_execnz .LBB4_391
	s_branch .LBB4_392
.LBB4_782:                              ;   in Loop: Header=BB4_144 Depth=2
	s_mov_b32 s11, -1
	s_mov_b32 s26, exec_lo
                                        ; implicit-def: $sgpr24
	v_cmpx_eq_u16_e64 0x80, v130
; %bb.783:                              ;   in Loop: Header=BB4_144 Depth=2
	s_mov_b32 s24, 0x7f800001
	s_xor_b32 s11, exec_lo, -1
; %bb.784:                              ;   in Loop: Header=BB4_144 Depth=2
	s_or_b32 exec_lo, exec_lo, s26
	s_delay_alu instid0(SALU_CYCLE_1)
	s_and_b32 s11, s11, exec_lo
                                        ; implicit-def: $vgpr130
	s_or_saveexec_b32 s25, s25
	v_mov_b32_e32 v25, s24
	s_xor_b32 exec_lo, exec_lo, s25
	s_cbranch_execz .LBB4_402
.LBB4_785:                              ;   in Loop: Header=BB4_144 Depth=2
	v_cmp_ne_u16_e64 vcc_lo, 0, v130
	v_mov_b32_e32 v25, 0
	s_and_not1_b32 s11, s11, exec_lo
	s_delay_alu instid0(VALU_DEP_2) | instskip(NEXT) | instid1(SALU_CYCLE_1)
	s_and_b32 s24, vcc_lo, exec_lo
	s_or_b32 s11, s11, s24
	s_or_b32 exec_lo, exec_lo, s25
	s_and_saveexec_b32 s24, s11
	s_cbranch_execnz .LBB4_403
	s_branch .LBB4_404
.LBB4_786:                              ;   in Loop: Header=BB4_144 Depth=2
	s_mov_b32 s11, -1
	s_mov_b32 s26, exec_lo
                                        ; implicit-def: $sgpr24
	v_cmpx_eq_u16_e64 0x80, v131
; %bb.787:                              ;   in Loop: Header=BB4_144 Depth=2
	s_mov_b32 s24, 0x7f800001
	s_xor_b32 s11, exec_lo, -1
; %bb.788:                              ;   in Loop: Header=BB4_144 Depth=2
	s_or_b32 exec_lo, exec_lo, s26
	s_delay_alu instid0(SALU_CYCLE_1)
	s_and_b32 s11, s11, exec_lo
                                        ; implicit-def: $vgpr131
	s_or_saveexec_b32 s25, s25
	v_mov_b32_e32 v130, s24
	s_xor_b32 exec_lo, exec_lo, s25
	s_cbranch_execz .LBB4_406
.LBB4_789:                              ;   in Loop: Header=BB4_144 Depth=2
	v_cmp_ne_u16_e64 vcc_lo, 0, v131
	v_mov_b32_e32 v130, 0
	s_and_not1_b32 s11, s11, exec_lo
	s_delay_alu instid0(VALU_DEP_2) | instskip(NEXT) | instid1(SALU_CYCLE_1)
	s_and_b32 s24, vcc_lo, exec_lo
	s_or_b32 s11, s11, s24
	s_or_b32 exec_lo, exec_lo, s25
	s_and_saveexec_b32 s24, s11
	s_cbranch_execnz .LBB4_407
	s_branch .LBB4_408
.LBB4_790:                              ;   in Loop: Header=BB4_144 Depth=2
	s_mov_b32 s11, -1
	s_mov_b32 s26, exec_lo
                                        ; implicit-def: $sgpr24
	v_cmpx_eq_u16_e64 0x80, v131
; %bb.791:                              ;   in Loop: Header=BB4_144 Depth=2
	s_mov_b32 s24, 0x7f800001
	s_xor_b32 s11, exec_lo, -1
; %bb.792:                              ;   in Loop: Header=BB4_144 Depth=2
	s_or_b32 exec_lo, exec_lo, s26
	s_delay_alu instid0(SALU_CYCLE_1)
	s_and_b32 s11, s11, exec_lo
	s_or_saveexec_b32 s25, s25
	v_mov_b32_e32 v130, s24
	s_xor_b32 exec_lo, exec_lo, s25
	s_cbranch_execz .LBB4_418
.LBB4_793:                              ;   in Loop: Header=BB4_144 Depth=2
	v_cmp_ne_u16_e64 vcc_lo, 0, v131
	v_mov_b32_e32 v130, 0
	s_and_not1_b32 s11, s11, exec_lo
	s_delay_alu instid0(VALU_DEP_2) | instskip(NEXT) | instid1(SALU_CYCLE_1)
	s_and_b32 s24, vcc_lo, exec_lo
	s_or_b32 s11, s11, s24
	s_or_b32 exec_lo, exec_lo, s25
	s_and_saveexec_b32 s24, s11
	s_cbranch_execnz .LBB4_419
	s_branch .LBB4_420
.LBB4_794:                              ;   in Loop: Header=BB4_144 Depth=2
	s_mov_b32 s11, -1
	s_mov_b32 s26, exec_lo
                                        ; implicit-def: $sgpr24
	v_cmpx_eq_u16_e64 0x80, v131
; %bb.795:                              ;   in Loop: Header=BB4_144 Depth=2
	s_mov_b32 s24, 0x7f800001
	s_xor_b32 s11, exec_lo, -1
; %bb.796:                              ;   in Loop: Header=BB4_144 Depth=2
	s_or_b32 exec_lo, exec_lo, s26
	s_delay_alu instid0(SALU_CYCLE_1)
	s_and_b32 s11, s11, exec_lo
	s_or_saveexec_b32 s25, s25
	v_mov_b32_e32 v132, s24
	s_xor_b32 exec_lo, exec_lo, s25
	s_cbranch_execz .LBB4_422
.LBB4_797:                              ;   in Loop: Header=BB4_144 Depth=2
	v_cmp_ne_u16_e64 vcc_lo, 0, v131
	v_mov_b32_e32 v132, 0
	s_and_not1_b32 s11, s11, exec_lo
	s_delay_alu instid0(VALU_DEP_2) | instskip(NEXT) | instid1(SALU_CYCLE_1)
	s_and_b32 s24, vcc_lo, exec_lo
	s_or_b32 s11, s11, s24
	s_or_b32 exec_lo, exec_lo, s25
	s_and_saveexec_b32 s24, s11
	s_cbranch_execnz .LBB4_423
	s_branch .LBB4_424
.LBB4_798:                              ;   in Loop: Header=BB4_144 Depth=2
	s_mov_b32 s11, -1
	s_mov_b32 s26, exec_lo
                                        ; implicit-def: $sgpr24
	v_cmpx_eq_u16_e64 0x80, v133
; %bb.799:                              ;   in Loop: Header=BB4_144 Depth=2
	s_mov_b32 s24, 0x7f800001
	s_xor_b32 s11, exec_lo, -1
; %bb.800:                              ;   in Loop: Header=BB4_144 Depth=2
	s_or_b32 exec_lo, exec_lo, s26
	s_delay_alu instid0(SALU_CYCLE_1)
	s_and_b32 s11, s11, exec_lo
                                        ; implicit-def: $vgpr133
	s_or_saveexec_b32 s25, s25
	v_mov_b32_e32 v131, s24
	s_xor_b32 exec_lo, exec_lo, s25
	s_cbranch_execz .LBB4_434
.LBB4_801:                              ;   in Loop: Header=BB4_144 Depth=2
	v_cmp_ne_u16_e64 vcc_lo, 0, v133
	v_mov_b32_e32 v131, 0
	s_and_not1_b32 s11, s11, exec_lo
	s_delay_alu instid0(VALU_DEP_2) | instskip(NEXT) | instid1(SALU_CYCLE_1)
	s_and_b32 s24, vcc_lo, exec_lo
	s_or_b32 s11, s11, s24
	s_or_b32 exec_lo, exec_lo, s25
	s_and_saveexec_b32 s24, s11
	s_cbranch_execnz .LBB4_435
	s_branch .LBB4_436
.LBB4_802:                              ;   in Loop: Header=BB4_144 Depth=2
	s_mov_b32 s11, -1
	s_mov_b32 s26, exec_lo
                                        ; implicit-def: $sgpr24
	v_cmpx_eq_u16_e64 0x80, v134
; %bb.803:                              ;   in Loop: Header=BB4_144 Depth=2
	s_mov_b32 s24, 0x7f800001
	s_xor_b32 s11, exec_lo, -1
; %bb.804:                              ;   in Loop: Header=BB4_144 Depth=2
	s_or_b32 exec_lo, exec_lo, s26
	s_delay_alu instid0(SALU_CYCLE_1)
	s_and_b32 s11, s11, exec_lo
                                        ; implicit-def: $vgpr134
	s_or_saveexec_b32 s25, s25
	v_mov_b32_e32 v133, s24
	s_xor_b32 exec_lo, exec_lo, s25
	s_cbranch_execz .LBB4_438
.LBB4_805:                              ;   in Loop: Header=BB4_144 Depth=2
	v_cmp_ne_u16_e64 vcc_lo, 0, v134
	v_mov_b32_e32 v133, 0
	s_and_not1_b32 s11, s11, exec_lo
	s_delay_alu instid0(VALU_DEP_2) | instskip(NEXT) | instid1(SALU_CYCLE_1)
	s_and_b32 s24, vcc_lo, exec_lo
	s_or_b32 s11, s11, s24
	s_or_b32 exec_lo, exec_lo, s25
	s_and_saveexec_b32 s24, s11
	s_cbranch_execnz .LBB4_439
	s_branch .LBB4_440
.LBB4_806:                              ;   in Loop: Header=BB4_144 Depth=2
	s_mov_b32 s11, -1
	s_mov_b32 s26, exec_lo
                                        ; implicit-def: $sgpr24
	v_cmpx_eq_u16_e64 0x80, v133
; %bb.807:                              ;   in Loop: Header=BB4_144 Depth=2
	s_mov_b32 s24, 0x7f800001
	s_xor_b32 s11, exec_lo, -1
; %bb.808:                              ;   in Loop: Header=BB4_144 Depth=2
	s_or_b32 exec_lo, exec_lo, s26
	s_delay_alu instid0(SALU_CYCLE_1)
	s_and_b32 s11, s11, exec_lo
	s_or_saveexec_b32 s25, s25
	v_mov_b32_e32 v132, s24
	s_xor_b32 exec_lo, exec_lo, s25
	s_cbranch_execz .LBB4_450
.LBB4_809:                              ;   in Loop: Header=BB4_144 Depth=2
	v_cmp_ne_u16_e64 vcc_lo, 0, v133
	v_mov_b32_e32 v132, 0
	s_and_not1_b32 s11, s11, exec_lo
	s_delay_alu instid0(VALU_DEP_2) | instskip(NEXT) | instid1(SALU_CYCLE_1)
	s_and_b32 s24, vcc_lo, exec_lo
	s_or_b32 s11, s11, s24
	s_or_b32 exec_lo, exec_lo, s25
	s_and_saveexec_b32 s24, s11
	s_cbranch_execnz .LBB4_451
	s_branch .LBB4_452
.LBB4_810:                              ;   in Loop: Header=BB4_144 Depth=2
	s_mov_b32 s11, -1
	s_mov_b32 s26, exec_lo
                                        ; implicit-def: $sgpr24
	v_cmpx_eq_u16_e32 0x80, v14
; %bb.811:                              ;   in Loop: Header=BB4_144 Depth=2
	s_mov_b32 s24, 0x7f800001
	s_xor_b32 s11, exec_lo, -1
; %bb.812:                              ;   in Loop: Header=BB4_144 Depth=2
	s_or_b32 exec_lo, exec_lo, s26
	s_delay_alu instid0(SALU_CYCLE_1)
	s_and_b32 s11, s11, exec_lo
	s_or_saveexec_b32 s25, s25
	v_mov_b32_e32 v133, s24
	s_xor_b32 exec_lo, exec_lo, s25
	s_cbranch_execz .LBB4_454
.LBB4_813:                              ;   in Loop: Header=BB4_144 Depth=2
	v_cmp_ne_u16_e32 vcc_lo, 0, v14
	v_mov_b32_e32 v133, 0
	s_and_not1_b32 s11, s11, exec_lo
	s_and_b32 s24, vcc_lo, exec_lo
	s_delay_alu instid0(SALU_CYCLE_1)
	s_or_b32 s11, s11, s24
	s_or_b32 exec_lo, exec_lo, s25
	s_and_saveexec_b32 s24, s11
	s_cbranch_execnz .LBB4_455
	s_branch .LBB4_456
.LBB4_814:                              ;   in Loop: Header=BB4_144 Depth=2
	s_mov_b32 s11, -1
	s_mov_b32 s26, exec_lo
                                        ; implicit-def: $sgpr24
	v_cmpx_eq_u16_e64 0x80, v132
; %bb.815:                              ;   in Loop: Header=BB4_144 Depth=2
	s_mov_b32 s24, 0x7f800001
	s_xor_b32 s11, exec_lo, -1
; %bb.816:                              ;   in Loop: Header=BB4_144 Depth=2
	s_or_b32 exec_lo, exec_lo, s26
	s_delay_alu instid0(SALU_CYCLE_1)
	s_and_b32 s11, s11, exec_lo
                                        ; implicit-def: $vgpr132
	s_or_saveexec_b32 s25, s25
	v_mov_b32_e32 v14, s24
	s_xor_b32 exec_lo, exec_lo, s25
	s_cbranch_execz .LBB4_466
.LBB4_817:                              ;   in Loop: Header=BB4_144 Depth=2
	v_cmp_ne_u16_e64 vcc_lo, 0, v132
	v_mov_b32_e32 v14, 0
	s_and_not1_b32 s11, s11, exec_lo
	s_delay_alu instid0(VALU_DEP_2) | instskip(NEXT) | instid1(SALU_CYCLE_1)
	s_and_b32 s24, vcc_lo, exec_lo
	s_or_b32 s11, s11, s24
	s_or_b32 exec_lo, exec_lo, s25
	s_and_saveexec_b32 s24, s11
	s_cbranch_execnz .LBB4_467
	s_branch .LBB4_468
.LBB4_818:                              ;   in Loop: Header=BB4_144 Depth=2
	s_mov_b32 s11, -1
	s_mov_b32 s26, exec_lo
                                        ; implicit-def: $sgpr24
	v_cmpx_eq_u16_e64 0x80, v133
; %bb.819:                              ;   in Loop: Header=BB4_144 Depth=2
	s_mov_b32 s24, 0x7f800001
	s_xor_b32 s11, exec_lo, -1
; %bb.820:                              ;   in Loop: Header=BB4_144 Depth=2
	s_or_b32 exec_lo, exec_lo, s26
	s_delay_alu instid0(SALU_CYCLE_1)
	s_and_b32 s11, s11, exec_lo
                                        ; implicit-def: $vgpr133
	s_or_saveexec_b32 s25, s25
	v_mov_b32_e32 v132, s24
	s_xor_b32 exec_lo, exec_lo, s25
	s_cbranch_execz .LBB4_470
.LBB4_821:                              ;   in Loop: Header=BB4_144 Depth=2
	v_cmp_ne_u16_e64 vcc_lo, 0, v133
	v_mov_b32_e32 v132, 0
	s_and_not1_b32 s11, s11, exec_lo
	s_delay_alu instid0(VALU_DEP_2) | instskip(NEXT) | instid1(SALU_CYCLE_1)
	s_and_b32 s24, vcc_lo, exec_lo
	s_or_b32 s11, s11, s24
	s_or_b32 exec_lo, exec_lo, s25
	s_and_saveexec_b32 s24, s11
	s_cbranch_execnz .LBB4_471
	s_branch .LBB4_472
.LBB4_822:                              ;   in Loop: Header=BB4_144 Depth=2
	s_mov_b32 s11, -1
	s_mov_b32 s26, exec_lo
                                        ; implicit-def: $sgpr24
	v_cmpx_eq_u16_e64 0x80, v133
; %bb.823:                              ;   in Loop: Header=BB4_144 Depth=2
	s_mov_b32 s24, 0x7f800001
	s_xor_b32 s11, exec_lo, -1
; %bb.824:                              ;   in Loop: Header=BB4_144 Depth=2
	s_or_b32 exec_lo, exec_lo, s26
	s_delay_alu instid0(SALU_CYCLE_1)
	s_and_b32 s11, s11, exec_lo
	s_or_saveexec_b32 s25, s25
	v_mov_b32_e32 v132, s24
	s_xor_b32 exec_lo, exec_lo, s25
	s_cbranch_execz .LBB4_482
.LBB4_825:                              ;   in Loop: Header=BB4_144 Depth=2
	v_cmp_ne_u16_e64 vcc_lo, 0, v133
	v_mov_b32_e32 v132, 0
	s_and_not1_b32 s11, s11, exec_lo
	s_delay_alu instid0(VALU_DEP_2) | instskip(NEXT) | instid1(SALU_CYCLE_1)
	s_and_b32 s24, vcc_lo, exec_lo
	s_or_b32 s11, s11, s24
	s_or_b32 exec_lo, exec_lo, s25
	s_and_saveexec_b32 s24, s11
	s_cbranch_execnz .LBB4_483
	s_branch .LBB4_484
.LBB4_826:                              ;   in Loop: Header=BB4_144 Depth=2
	s_mov_b32 s11, -1
	s_mov_b32 s26, exec_lo
                                        ; implicit-def: $sgpr24
	v_cmpx_eq_u16_e64 0x80, v133
; %bb.827:                              ;   in Loop: Header=BB4_144 Depth=2
	s_mov_b32 s24, 0x7f800001
	s_xor_b32 s11, exec_lo, -1
; %bb.828:                              ;   in Loop: Header=BB4_144 Depth=2
	s_or_b32 exec_lo, exec_lo, s26
	s_delay_alu instid0(SALU_CYCLE_1)
	s_and_b32 s11, s11, exec_lo
	s_or_saveexec_b32 s25, s25
	v_mov_b32_e32 v134, s24
	s_xor_b32 exec_lo, exec_lo, s25
	s_cbranch_execz .LBB4_486
.LBB4_829:                              ;   in Loop: Header=BB4_144 Depth=2
	v_cmp_ne_u16_e64 vcc_lo, 0, v133
	v_mov_b32_e32 v134, 0
	s_and_not1_b32 s11, s11, exec_lo
	s_delay_alu instid0(VALU_DEP_2) | instskip(NEXT) | instid1(SALU_CYCLE_1)
	s_and_b32 s24, vcc_lo, exec_lo
	s_or_b32 s11, s11, s24
	s_or_b32 exec_lo, exec_lo, s25
	s_and_saveexec_b32 s24, s11
	s_cbranch_execnz .LBB4_487
	s_branch .LBB4_488
.LBB4_830:                              ;   in Loop: Header=BB4_144 Depth=2
	s_mov_b32 s11, -1
	s_mov_b32 s26, exec_lo
                                        ; implicit-def: $sgpr24
	v_cmpx_eq_u16_e64 0x80, v135
; %bb.831:                              ;   in Loop: Header=BB4_144 Depth=2
	s_mov_b32 s24, 0x7f800001
	s_xor_b32 s11, exec_lo, -1
; %bb.832:                              ;   in Loop: Header=BB4_144 Depth=2
	s_or_b32 exec_lo, exec_lo, s26
	s_delay_alu instid0(SALU_CYCLE_1)
	s_and_b32 s11, s11, exec_lo
                                        ; implicit-def: $vgpr135
	s_or_saveexec_b32 s25, s25
	v_mov_b32_e32 v133, s24
	s_xor_b32 exec_lo, exec_lo, s25
	s_cbranch_execz .LBB4_498
.LBB4_833:                              ;   in Loop: Header=BB4_144 Depth=2
	v_cmp_ne_u16_e64 vcc_lo, 0, v135
	v_mov_b32_e32 v133, 0
	s_and_not1_b32 s11, s11, exec_lo
	s_delay_alu instid0(VALU_DEP_2) | instskip(NEXT) | instid1(SALU_CYCLE_1)
	s_and_b32 s24, vcc_lo, exec_lo
	s_or_b32 s11, s11, s24
	s_or_b32 exec_lo, exec_lo, s25
	s_and_saveexec_b32 s24, s11
	s_cbranch_execnz .LBB4_499
	s_branch .LBB4_500
.LBB4_834:                              ;   in Loop: Header=BB4_144 Depth=2
	s_mov_b32 s11, -1
	s_mov_b32 s26, exec_lo
                                        ; implicit-def: $sgpr24
	v_cmpx_eq_u16_e64 0x80, v144
; %bb.835:                              ;   in Loop: Header=BB4_144 Depth=2
	s_mov_b32 s24, 0x7f800001
	s_xor_b32 s11, exec_lo, -1
; %bb.836:                              ;   in Loop: Header=BB4_144 Depth=2
	s_or_b32 exec_lo, exec_lo, s26
	s_delay_alu instid0(SALU_CYCLE_1)
	s_and_b32 s11, s11, exec_lo
                                        ; implicit-def: $vgpr144
	s_or_saveexec_b32 s25, s25
	v_mov_b32_e32 v135, s24
	s_xor_b32 exec_lo, exec_lo, s25
	s_cbranch_execz .LBB4_502
.LBB4_837:                              ;   in Loop: Header=BB4_144 Depth=2
	v_cmp_ne_u16_e64 vcc_lo, 0, v144
	v_mov_b32_e32 v135, 0
	s_and_not1_b32 s11, s11, exec_lo
	s_delay_alu instid0(VALU_DEP_2) | instskip(NEXT) | instid1(SALU_CYCLE_1)
	s_and_b32 s24, vcc_lo, exec_lo
	s_or_b32 s11, s11, s24
	s_or_b32 exec_lo, exec_lo, s25
	s_and_saveexec_b32 s24, s11
	s_cbranch_execnz .LBB4_503
	s_branch .LBB4_504
.LBB4_838:                              ;   in Loop: Header=BB4_144 Depth=2
	s_mov_b32 s11, -1
	s_mov_b32 s26, exec_lo
                                        ; implicit-def: $sgpr24
	v_cmpx_eq_u16_e64 0x80, v135
; %bb.839:                              ;   in Loop: Header=BB4_144 Depth=2
	s_mov_b32 s24, 0x7f800001
	s_xor_b32 s11, exec_lo, -1
; %bb.840:                              ;   in Loop: Header=BB4_144 Depth=2
	s_or_b32 exec_lo, exec_lo, s26
	s_delay_alu instid0(SALU_CYCLE_1)
	s_and_b32 s11, s11, exec_lo
	s_or_saveexec_b32 s25, s25
	v_mov_b32_e32 v134, s24
	s_xor_b32 exec_lo, exec_lo, s25
	s_cbranch_execz .LBB4_514
.LBB4_841:                              ;   in Loop: Header=BB4_144 Depth=2
	v_cmp_ne_u16_e64 vcc_lo, 0, v135
	v_mov_b32_e32 v134, 0
	s_and_not1_b32 s11, s11, exec_lo
	s_delay_alu instid0(VALU_DEP_2) | instskip(NEXT) | instid1(SALU_CYCLE_1)
	s_and_b32 s24, vcc_lo, exec_lo
	s_or_b32 s11, s11, s24
	s_or_b32 exec_lo, exec_lo, s25
	s_and_saveexec_b32 s24, s11
	s_cbranch_execnz .LBB4_515
	s_branch .LBB4_516
.LBB4_842:                              ;   in Loop: Header=BB4_144 Depth=2
	s_mov_b32 s11, -1
	s_mov_b32 s26, exec_lo
                                        ; implicit-def: $sgpr24
	v_cmpx_eq_u16_e32 0x80, v15
; %bb.843:                              ;   in Loop: Header=BB4_144 Depth=2
	s_mov_b32 s24, 0x7f800001
	s_xor_b32 s11, exec_lo, -1
; %bb.844:                              ;   in Loop: Header=BB4_144 Depth=2
	s_or_b32 exec_lo, exec_lo, s26
	s_delay_alu instid0(SALU_CYCLE_1)
	s_and_b32 s11, s11, exec_lo
	s_or_saveexec_b32 s25, s25
	v_mov_b32_e32 v135, s24
	s_xor_b32 exec_lo, exec_lo, s25
	s_cbranch_execz .LBB4_518
.LBB4_845:                              ;   in Loop: Header=BB4_144 Depth=2
	v_cmp_ne_u16_e32 vcc_lo, 0, v15
	v_mov_b32_e32 v135, 0
	s_and_not1_b32 s11, s11, exec_lo
	s_and_b32 s24, vcc_lo, exec_lo
	s_delay_alu instid0(SALU_CYCLE_1)
	s_or_b32 s11, s11, s24
	s_or_b32 exec_lo, exec_lo, s25
	s_and_saveexec_b32 s24, s11
	s_cbranch_execnz .LBB4_519
	s_branch .LBB4_520
.LBB4_846:                              ;   in Loop: Header=BB4_144 Depth=2
	s_mov_b32 s11, -1
	s_mov_b32 s26, exec_lo
                                        ; implicit-def: $sgpr24
	v_cmpx_eq_u16_e64 0x80, v134
; %bb.847:                              ;   in Loop: Header=BB4_144 Depth=2
	s_mov_b32 s24, 0x7f800001
	s_xor_b32 s11, exec_lo, -1
; %bb.848:                              ;   in Loop: Header=BB4_144 Depth=2
	s_or_b32 exec_lo, exec_lo, s26
	s_delay_alu instid0(SALU_CYCLE_1)
	s_and_b32 s11, s11, exec_lo
                                        ; implicit-def: $vgpr134
	s_or_saveexec_b32 s25, s25
	v_mov_b32_e32 v15, s24
	s_xor_b32 exec_lo, exec_lo, s25
	s_cbranch_execz .LBB4_530
.LBB4_849:                              ;   in Loop: Header=BB4_144 Depth=2
	v_cmp_ne_u16_e64 vcc_lo, 0, v134
	v_mov_b32_e32 v15, 0
	s_and_not1_b32 s11, s11, exec_lo
	s_delay_alu instid0(VALU_DEP_2) | instskip(NEXT) | instid1(SALU_CYCLE_1)
	s_and_b32 s24, vcc_lo, exec_lo
	s_or_b32 s11, s11, s24
	s_or_b32 exec_lo, exec_lo, s25
	s_and_saveexec_b32 s24, s11
	s_cbranch_execnz .LBB4_531
	s_branch .LBB4_532
.LBB4_850:                              ;   in Loop: Header=BB4_144 Depth=2
	s_mov_b32 s11, -1
	s_mov_b32 s26, exec_lo
                                        ; implicit-def: $sgpr24
	v_cmpx_eq_u16_e64 0x80, v135
; %bb.851:                              ;   in Loop: Header=BB4_144 Depth=2
	s_mov_b32 s24, 0x7f800001
	s_xor_b32 s11, exec_lo, -1
; %bb.852:                              ;   in Loop: Header=BB4_144 Depth=2
	s_or_b32 exec_lo, exec_lo, s26
	s_delay_alu instid0(SALU_CYCLE_1)
	s_and_b32 s11, s11, exec_lo
                                        ; implicit-def: $vgpr135
	s_or_saveexec_b32 s25, s25
	v_mov_b32_e32 v134, s24
	s_xor_b32 exec_lo, exec_lo, s25
	s_cbranch_execz .LBB4_534
.LBB4_853:                              ;   in Loop: Header=BB4_144 Depth=2
	v_cmp_ne_u16_e64 vcc_lo, 0, v135
	v_mov_b32_e32 v134, 0
	s_and_not1_b32 s11, s11, exec_lo
	s_delay_alu instid0(VALU_DEP_2) | instskip(NEXT) | instid1(SALU_CYCLE_1)
	s_and_b32 s24, vcc_lo, exec_lo
	s_or_b32 s11, s11, s24
	s_or_b32 exec_lo, exec_lo, s25
	s_and_saveexec_b32 s24, s11
	s_cbranch_execnz .LBB4_535
	s_branch .LBB4_536
.LBB4_854:                              ;   in Loop: Header=BB4_144 Depth=2
	s_mov_b32 s11, -1
	s_mov_b32 s26, exec_lo
                                        ; implicit-def: $sgpr24
	v_cmpx_eq_u16_e64 0x80, v135
; %bb.855:                              ;   in Loop: Header=BB4_144 Depth=2
	s_mov_b32 s24, 0x7f800001
	s_xor_b32 s11, exec_lo, -1
; %bb.856:                              ;   in Loop: Header=BB4_144 Depth=2
	s_or_b32 exec_lo, exec_lo, s26
	s_delay_alu instid0(SALU_CYCLE_1)
	s_and_b32 s11, s11, exec_lo
	s_or_saveexec_b32 s25, s25
	v_mov_b32_e32 v134, s24
	s_xor_b32 exec_lo, exec_lo, s25
	s_cbranch_execz .LBB4_546
.LBB4_857:                              ;   in Loop: Header=BB4_144 Depth=2
	v_cmp_ne_u16_e64 vcc_lo, 0, v135
	v_mov_b32_e32 v134, 0
	s_and_not1_b32 s11, s11, exec_lo
	s_delay_alu instid0(VALU_DEP_2) | instskip(NEXT) | instid1(SALU_CYCLE_1)
	s_and_b32 s24, vcc_lo, exec_lo
	s_or_b32 s11, s11, s24
	s_or_b32 exec_lo, exec_lo, s25
	s_and_saveexec_b32 s24, s11
	s_cbranch_execnz .LBB4_547
	s_branch .LBB4_548
.LBB4_858:                              ;   in Loop: Header=BB4_144 Depth=2
	s_mov_b32 s11, -1
	s_mov_b32 s26, exec_lo
                                        ; implicit-def: $sgpr24
	v_cmpx_eq_u16_e64 0x80, v135
; %bb.859:                              ;   in Loop: Header=BB4_144 Depth=2
	s_mov_b32 s24, 0x7f800001
	s_xor_b32 s11, exec_lo, -1
; %bb.860:                              ;   in Loop: Header=BB4_144 Depth=2
	s_or_b32 exec_lo, exec_lo, s26
	s_delay_alu instid0(SALU_CYCLE_1)
	s_and_b32 s11, s11, exec_lo
	s_or_saveexec_b32 s25, s25
	v_mov_b32_e32 v144, s24
	s_xor_b32 exec_lo, exec_lo, s25
	s_cbranch_execz .LBB4_550
.LBB4_861:                              ;   in Loop: Header=BB4_144 Depth=2
	v_cmp_ne_u16_e64 vcc_lo, 0, v135
	v_mov_b32_e32 v144, 0
	s_and_not1_b32 s11, s11, exec_lo
	s_delay_alu instid0(VALU_DEP_2) | instskip(NEXT) | instid1(SALU_CYCLE_1)
	s_and_b32 s24, vcc_lo, exec_lo
	s_or_b32 s11, s11, s24
	s_or_b32 exec_lo, exec_lo, s25
	s_and_saveexec_b32 s24, s11
	s_cbranch_execnz .LBB4_551
	s_branch .LBB4_552
.LBB4_862:                              ;   in Loop: Header=BB4_144 Depth=2
	s_mov_b32 s11, -1
	s_mov_b32 s26, exec_lo
                                        ; implicit-def: $sgpr24
	v_cmpx_eq_u16_e64 0x80, v145
; %bb.863:                              ;   in Loop: Header=BB4_144 Depth=2
	s_mov_b32 s24, 0x7f800001
	s_xor_b32 s11, exec_lo, -1
; %bb.864:                              ;   in Loop: Header=BB4_144 Depth=2
	s_or_b32 exec_lo, exec_lo, s26
	s_delay_alu instid0(SALU_CYCLE_1)
	s_and_b32 s11, s11, exec_lo
                                        ; implicit-def: $vgpr145
	s_or_saveexec_b32 s25, s25
	v_mov_b32_e32 v135, s24
	s_xor_b32 exec_lo, exec_lo, s25
	s_cbranch_execz .LBB4_562
.LBB4_865:                              ;   in Loop: Header=BB4_144 Depth=2
	v_cmp_ne_u16_e64 vcc_lo, 0, v145
	v_mov_b32_e32 v135, 0
	s_and_not1_b32 s11, s11, exec_lo
	s_delay_alu instid0(VALU_DEP_2) | instskip(NEXT) | instid1(SALU_CYCLE_1)
	s_and_b32 s24, vcc_lo, exec_lo
	s_or_b32 s11, s11, s24
	s_or_b32 exec_lo, exec_lo, s25
	s_and_saveexec_b32 s24, s11
	s_cbranch_execnz .LBB4_563
	s_branch .LBB4_564
.LBB4_866:                              ;   in Loop: Header=BB4_144 Depth=2
	s_mov_b32 s11, -1
	s_mov_b32 s26, exec_lo
                                        ; implicit-def: $sgpr24
	v_cmpx_eq_u16_e64 0x80, v146
; %bb.867:                              ;   in Loop: Header=BB4_144 Depth=2
	s_mov_b32 s24, 0x7f800001
	s_xor_b32 s11, exec_lo, -1
; %bb.868:                              ;   in Loop: Header=BB4_144 Depth=2
	s_or_b32 exec_lo, exec_lo, s26
	s_delay_alu instid0(SALU_CYCLE_1)
	s_and_b32 s11, s11, exec_lo
                                        ; implicit-def: $vgpr146
	s_or_saveexec_b32 s25, s25
	v_mov_b32_e32 v145, s24
	s_xor_b32 exec_lo, exec_lo, s25
	s_cbranch_execz .LBB4_566
.LBB4_869:                              ;   in Loop: Header=BB4_144 Depth=2
	v_cmp_ne_u16_e64 vcc_lo, 0, v146
	v_mov_b32_e32 v145, 0
	s_and_not1_b32 s11, s11, exec_lo
	s_delay_alu instid0(VALU_DEP_2) | instskip(NEXT) | instid1(SALU_CYCLE_1)
	s_and_b32 s24, vcc_lo, exec_lo
	s_or_b32 s11, s11, s24
	s_or_b32 exec_lo, exec_lo, s25
	s_and_saveexec_b32 s24, s11
	s_cbranch_execnz .LBB4_567
	s_branch .LBB4_568
.LBB4_870:                              ;   in Loop: Header=BB4_144 Depth=2
	s_mov_b32 s11, -1
	s_mov_b32 s26, exec_lo
                                        ; implicit-def: $sgpr24
	v_cmpx_eq_u16_e64 0x80, v145
; %bb.871:                              ;   in Loop: Header=BB4_144 Depth=2
	s_mov_b32 s24, 0x7f800001
	s_xor_b32 s11, exec_lo, -1
; %bb.872:                              ;   in Loop: Header=BB4_144 Depth=2
	s_or_b32 exec_lo, exec_lo, s26
	s_delay_alu instid0(SALU_CYCLE_1)
	s_and_b32 s11, s11, exec_lo
	s_or_saveexec_b32 s25, s25
	v_mov_b32_e32 v144, s24
	s_xor_b32 exec_lo, exec_lo, s25
	s_cbranch_execz .LBB4_578
.LBB4_873:                              ;   in Loop: Header=BB4_144 Depth=2
	v_cmp_ne_u16_e64 vcc_lo, 0, v145
	v_mov_b32_e32 v144, 0
	s_and_not1_b32 s11, s11, exec_lo
	s_delay_alu instid0(VALU_DEP_2) | instskip(NEXT) | instid1(SALU_CYCLE_1)
	s_and_b32 s24, vcc_lo, exec_lo
	s_or_b32 s11, s11, s24
	s_or_b32 exec_lo, exec_lo, s25
	s_and_saveexec_b32 s24, s11
	s_cbranch_execnz .LBB4_579
	s_branch .LBB4_580
.LBB4_874:                              ;   in Loop: Header=BB4_144 Depth=2
	s_mov_b32 s11, -1
	s_mov_b32 s26, exec_lo
                                        ; implicit-def: $sgpr24
	v_cmpx_eq_u16_e32 0x80, v16
; %bb.875:                              ;   in Loop: Header=BB4_144 Depth=2
	s_mov_b32 s24, 0x7f800001
	s_xor_b32 s11, exec_lo, -1
; %bb.876:                              ;   in Loop: Header=BB4_144 Depth=2
	s_or_b32 exec_lo, exec_lo, s26
	s_delay_alu instid0(SALU_CYCLE_1)
	s_and_b32 s11, s11, exec_lo
	s_or_saveexec_b32 s25, s25
	v_mov_b32_e32 v145, s24
	s_xor_b32 exec_lo, exec_lo, s25
	s_cbranch_execz .LBB4_582
.LBB4_877:                              ;   in Loop: Header=BB4_144 Depth=2
	v_cmp_ne_u16_e32 vcc_lo, 0, v16
	v_mov_b32_e32 v145, 0
	s_and_not1_b32 s11, s11, exec_lo
	s_and_b32 s24, vcc_lo, exec_lo
	s_delay_alu instid0(SALU_CYCLE_1)
	s_or_b32 s11, s11, s24
	s_or_b32 exec_lo, exec_lo, s25
	s_and_saveexec_b32 s24, s11
	s_cbranch_execnz .LBB4_583
	s_branch .LBB4_584
.LBB4_878:                              ;   in Loop: Header=BB4_144 Depth=2
	s_mov_b32 s11, -1
	s_mov_b32 s26, exec_lo
                                        ; implicit-def: $sgpr24
	v_cmpx_eq_u16_e64 0x80, v144
; %bb.879:                              ;   in Loop: Header=BB4_144 Depth=2
	s_mov_b32 s24, 0x7f800001
	s_xor_b32 s11, exec_lo, -1
; %bb.880:                              ;   in Loop: Header=BB4_144 Depth=2
	s_or_b32 exec_lo, exec_lo, s26
	s_delay_alu instid0(SALU_CYCLE_1)
	s_and_b32 s11, s11, exec_lo
                                        ; implicit-def: $vgpr144
	s_or_saveexec_b32 s25, s25
	v_mov_b32_e32 v16, s24
	s_xor_b32 exec_lo, exec_lo, s25
	s_cbranch_execz .LBB4_594
.LBB4_881:                              ;   in Loop: Header=BB4_144 Depth=2
	v_cmp_ne_u16_e64 vcc_lo, 0, v144
	v_mov_b32_e32 v16, 0
	s_and_not1_b32 s11, s11, exec_lo
	s_delay_alu instid0(VALU_DEP_2) | instskip(NEXT) | instid1(SALU_CYCLE_1)
	s_and_b32 s24, vcc_lo, exec_lo
	s_or_b32 s11, s11, s24
	s_or_b32 exec_lo, exec_lo, s25
	s_and_saveexec_b32 s24, s11
	s_cbranch_execnz .LBB4_595
	s_branch .LBB4_596
.LBB4_882:                              ;   in Loop: Header=BB4_144 Depth=2
	s_mov_b32 s11, -1
	s_mov_b32 s26, exec_lo
                                        ; implicit-def: $sgpr24
	v_cmpx_eq_u16_e64 0x80, v145
; %bb.883:                              ;   in Loop: Header=BB4_144 Depth=2
	s_mov_b32 s24, 0x7f800001
	s_xor_b32 s11, exec_lo, -1
; %bb.884:                              ;   in Loop: Header=BB4_144 Depth=2
	s_or_b32 exec_lo, exec_lo, s26
	s_delay_alu instid0(SALU_CYCLE_1)
	s_and_b32 s11, s11, exec_lo
                                        ; implicit-def: $vgpr145
	s_or_saveexec_b32 s25, s25
	v_mov_b32_e32 v144, s24
	s_xor_b32 exec_lo, exec_lo, s25
	s_cbranch_execz .LBB4_598
.LBB4_885:                              ;   in Loop: Header=BB4_144 Depth=2
	v_cmp_ne_u16_e64 vcc_lo, 0, v145
	v_mov_b32_e32 v144, 0
	s_and_not1_b32 s11, s11, exec_lo
	s_delay_alu instid0(VALU_DEP_2) | instskip(NEXT) | instid1(SALU_CYCLE_1)
	s_and_b32 s24, vcc_lo, exec_lo
	s_or_b32 s11, s11, s24
	s_or_b32 exec_lo, exec_lo, s25
	s_and_saveexec_b32 s24, s11
	s_cbranch_execnz .LBB4_599
	s_branch .LBB4_600
.LBB4_886:                              ;   in Loop: Header=BB4_144 Depth=2
	s_mov_b32 s11, -1
	s_mov_b32 s26, exec_lo
                                        ; implicit-def: $sgpr24
	v_cmpx_eq_u16_e64 0x80, v145
; %bb.887:                              ;   in Loop: Header=BB4_144 Depth=2
	s_mov_b32 s24, 0x7f800001
	s_xor_b32 s11, exec_lo, -1
; %bb.888:                              ;   in Loop: Header=BB4_144 Depth=2
	s_or_b32 exec_lo, exec_lo, s26
	s_delay_alu instid0(SALU_CYCLE_1)
	s_and_b32 s11, s11, exec_lo
	s_or_saveexec_b32 s25, s25
	v_mov_b32_e32 v144, s24
	s_xor_b32 exec_lo, exec_lo, s25
	s_cbranch_execz .LBB4_610
.LBB4_889:                              ;   in Loop: Header=BB4_144 Depth=2
	v_cmp_ne_u16_e64 vcc_lo, 0, v145
	v_mov_b32_e32 v144, 0
	s_and_not1_b32 s11, s11, exec_lo
	s_delay_alu instid0(VALU_DEP_2) | instskip(NEXT) | instid1(SALU_CYCLE_1)
	s_and_b32 s24, vcc_lo, exec_lo
	s_or_b32 s11, s11, s24
	s_or_b32 exec_lo, exec_lo, s25
	s_and_saveexec_b32 s24, s11
	s_cbranch_execnz .LBB4_611
	s_branch .LBB4_612
.LBB4_890:                              ;   in Loop: Header=BB4_144 Depth=2
	s_mov_b32 s11, -1
	s_mov_b32 s26, exec_lo
                                        ; implicit-def: $sgpr24
	v_cmpx_eq_u16_e64 0x80, v145
; %bb.891:                              ;   in Loop: Header=BB4_144 Depth=2
	s_mov_b32 s24, 0x7f800001
	s_xor_b32 s11, exec_lo, -1
; %bb.892:                              ;   in Loop: Header=BB4_144 Depth=2
	s_or_b32 exec_lo, exec_lo, s26
	s_delay_alu instid0(SALU_CYCLE_1)
	s_and_b32 s11, s11, exec_lo
	s_or_saveexec_b32 s25, s25
	v_mov_b32_e32 v146, s24
	s_xor_b32 exec_lo, exec_lo, s25
	s_cbranch_execz .LBB4_614
.LBB4_893:                              ;   in Loop: Header=BB4_144 Depth=2
	v_cmp_ne_u16_e64 vcc_lo, 0, v145
	v_mov_b32_e32 v146, 0
	s_and_not1_b32 s11, s11, exec_lo
	s_delay_alu instid0(VALU_DEP_2) | instskip(NEXT) | instid1(SALU_CYCLE_1)
	s_and_b32 s24, vcc_lo, exec_lo
	s_or_b32 s11, s11, s24
	s_or_b32 exec_lo, exec_lo, s25
	s_and_saveexec_b32 s24, s11
	s_cbranch_execnz .LBB4_615
	s_branch .LBB4_616
.LBB4_894:                              ;   in Loop: Header=BB4_144 Depth=2
	s_mov_b32 s11, -1
	s_mov_b32 s26, exec_lo
                                        ; implicit-def: $sgpr24
	v_cmpx_eq_u16_e64 0x80, v147
; %bb.895:                              ;   in Loop: Header=BB4_144 Depth=2
	s_mov_b32 s24, 0x7f800001
	s_xor_b32 s11, exec_lo, -1
; %bb.896:                              ;   in Loop: Header=BB4_144 Depth=2
	s_or_b32 exec_lo, exec_lo, s26
	s_delay_alu instid0(SALU_CYCLE_1)
	s_and_b32 s11, s11, exec_lo
                                        ; implicit-def: $vgpr147
	s_or_saveexec_b32 s25, s25
	v_mov_b32_e32 v145, s24
	s_xor_b32 exec_lo, exec_lo, s25
	s_cbranch_execz .LBB4_626
.LBB4_897:                              ;   in Loop: Header=BB4_144 Depth=2
	v_cmp_ne_u16_e64 vcc_lo, 0, v147
	v_mov_b32_e32 v145, 0
	s_and_not1_b32 s11, s11, exec_lo
	s_delay_alu instid0(VALU_DEP_2) | instskip(NEXT) | instid1(SALU_CYCLE_1)
	s_and_b32 s24, vcc_lo, exec_lo
	s_or_b32 s11, s11, s24
	s_or_b32 exec_lo, exec_lo, s25
	s_and_saveexec_b32 s24, s11
	s_cbranch_execnz .LBB4_627
	s_branch .LBB4_628
.LBB4_898:                              ;   in Loop: Header=BB4_144 Depth=2
	s_mov_b32 s11, -1
	s_mov_b32 s26, exec_lo
                                        ; implicit-def: $sgpr24
	v_cmpx_eq_u16_e64 0x80, v148
; %bb.899:                              ;   in Loop: Header=BB4_144 Depth=2
	s_mov_b32 s24, 0x7f800001
	s_xor_b32 s11, exec_lo, -1
; %bb.900:                              ;   in Loop: Header=BB4_144 Depth=2
	s_or_b32 exec_lo, exec_lo, s26
	s_delay_alu instid0(SALU_CYCLE_1)
	s_and_b32 s11, s11, exec_lo
                                        ; implicit-def: $vgpr148
	s_or_saveexec_b32 s25, s25
	v_mov_b32_e32 v147, s24
	s_xor_b32 exec_lo, exec_lo, s25
	s_cbranch_execz .LBB4_630
.LBB4_901:                              ;   in Loop: Header=BB4_144 Depth=2
	v_cmp_ne_u16_e64 vcc_lo, 0, v148
	v_mov_b32_e32 v147, 0
	s_and_not1_b32 s11, s11, exec_lo
	s_delay_alu instid0(VALU_DEP_2) | instskip(NEXT) | instid1(SALU_CYCLE_1)
	s_and_b32 s24, vcc_lo, exec_lo
	s_or_b32 s11, s11, s24
	s_or_b32 exec_lo, exec_lo, s25
	s_and_saveexec_b32 s24, s11
	s_cbranch_execnz .LBB4_631
	s_branch .LBB4_632
.LBB4_902:                              ;   in Loop: Header=BB4_144 Depth=2
	s_mov_b32 s11, -1
	s_mov_b32 s26, exec_lo
                                        ; implicit-def: $sgpr24
	v_cmpx_eq_u16_e64 0x80, v147
; %bb.903:                              ;   in Loop: Header=BB4_144 Depth=2
	s_mov_b32 s24, 0x7f800001
	s_xor_b32 s11, exec_lo, -1
; %bb.904:                              ;   in Loop: Header=BB4_144 Depth=2
	s_or_b32 exec_lo, exec_lo, s26
	s_delay_alu instid0(SALU_CYCLE_1)
	s_and_b32 s11, s11, exec_lo
	s_or_saveexec_b32 s25, s25
	v_mov_b32_e32 v146, s24
	s_xor_b32 exec_lo, exec_lo, s25
	s_cbranch_execz .LBB4_642
.LBB4_905:                              ;   in Loop: Header=BB4_144 Depth=2
	v_cmp_ne_u16_e64 vcc_lo, 0, v147
	v_mov_b32_e32 v146, 0
	s_and_not1_b32 s11, s11, exec_lo
	s_delay_alu instid0(VALU_DEP_2) | instskip(NEXT) | instid1(SALU_CYCLE_1)
	s_and_b32 s24, vcc_lo, exec_lo
	s_or_b32 s11, s11, s24
	s_or_b32 exec_lo, exec_lo, s25
	s_and_saveexec_b32 s24, s11
	s_cbranch_execnz .LBB4_643
	s_branch .LBB4_644
.LBB4_906:                              ;   in Loop: Header=BB4_144 Depth=2
	s_mov_b32 s11, -1
	s_mov_b32 s26, exec_lo
                                        ; implicit-def: $sgpr24
	v_cmpx_eq_u16_e32 0x80, v17
; %bb.907:                              ;   in Loop: Header=BB4_144 Depth=2
	s_mov_b32 s24, 0x7f800001
	s_xor_b32 s11, exec_lo, -1
; %bb.908:                              ;   in Loop: Header=BB4_144 Depth=2
	s_or_b32 exec_lo, exec_lo, s26
	s_delay_alu instid0(SALU_CYCLE_1)
	s_and_b32 s11, s11, exec_lo
	s_or_saveexec_b32 s25, s25
	v_mov_b32_e32 v147, s24
	s_xor_b32 exec_lo, exec_lo, s25
	s_cbranch_execz .LBB4_646
.LBB4_909:                              ;   in Loop: Header=BB4_144 Depth=2
	v_cmp_ne_u16_e32 vcc_lo, 0, v17
	v_mov_b32_e32 v147, 0
	s_and_not1_b32 s11, s11, exec_lo
	s_and_b32 s24, vcc_lo, exec_lo
	s_delay_alu instid0(SALU_CYCLE_1)
	s_or_b32 s11, s11, s24
	s_or_b32 exec_lo, exec_lo, s25
	s_and_saveexec_b32 s24, s11
	s_cbranch_execnz .LBB4_647
	s_branch .LBB4_648
.LBB4_910:                              ;   in Loop: Header=BB4_53 Depth=1
	s_or_b32 exec_lo, exec_lo, s23
.LBB4_911:                              ;   in Loop: Header=BB4_53 Depth=1
	s_delay_alu instid0(SALU_CYCLE_1) | instskip(SKIP_3) | instid1(VALU_DEP_1)
	s_or_b32 exec_lo, exec_lo, s12
	v_dual_mov_b32 v16, 0 :: v_dual_and_b32 v11, 0x3ffffc00, v52
	s_mov_b32 s11, 0
	s_mov_b32 s23, exec_lo
                                        ; implicit-def: $vgpr17
                                        ; implicit-def: $vgpr18
                                        ; implicit-def: $vgpr10
	v_cmpx_ne_u32_e64 v11, v52
	s_cbranch_execz .LBB4_1304
; %bb.912:                              ;   in Loop: Header=BB4_53 Depth=1
	v_lshlrev_b32_e32 v10, 5, v112
	v_bfe_u32 v15, v52, 9, 1
	s_mov_b32 s24, exec_lo
	s_delay_alu instid0(VALU_DEP_2) | instskip(NEXT) | instid1(VALU_DEP_1)
	v_sub_nc_u32_e32 v10, v86, v10
	v_ashrrev_i32_e32 v12, 31, v10
	s_delay_alu instid0(VALU_DEP_1) | instskip(NEXT) | instid1(VALU_DEP_1)
	v_lshrrev_b32_e32 v12, 27, v12
	v_add_nc_u32_e32 v12, v10, v12
	s_delay_alu instid0(VALU_DEP_1) | instskip(SKIP_1) | instid1(VALU_DEP_2)
	v_and_b32_e32 v13, 0xffffffe0, v12
	v_ashrrev_i32_e32 v12, 5, v12
	v_sub_nc_u32_e32 v24, v10, v13
	v_and_b32_e32 v13, 0x3ff, v52
	v_and_b32_e32 v10, 0x200, v52
	s_delay_alu instid0(VALU_DEP_3) | instskip(NEXT) | instid1(VALU_DEP_2)
	v_lshlrev_b32_e32 v14, 4, v24
	v_sub_nc_u32_e32 v25, v13, v10
	s_delay_alu instid0(VALU_DEP_2) | instskip(NEXT) | instid1(VALU_DEP_2)
	v_lshl_add_u32 v10, v12, 9, v14
	v_cmp_lt_i32_e32 vcc_lo, 15, v25
	s_delay_alu instid0(VALU_DEP_2) | instskip(SKIP_1) | instid1(VALU_DEP_1)
	v_sub_nc_u32_e32 v67, v13, v10
	v_add_co_ci_u32_e64 v14, s11, 0, v15, vcc_lo
	v_sub_nc_u32_e32 v66, v14, v12
	s_delay_alu instid0(VALU_DEP_3)
	v_cmpx_lt_i32_e32 15, v67
	s_cbranch_execz .LBB4_1301
; %bb.913:                              ;   in Loop: Header=BB4_53 Depth=1
	s_cbranch_execnz .LBB4_4025
; %bb.914:                              ;   in Loop: Header=BB4_53 Depth=1
	ds_load_b128 v[12:15], v0
	ds_load_b64 v[16:17], v0
	v_add_nc_u32_e32 v10, v10, v11
	s_mov_b32 s25, 0
	s_delay_alu instid0(VALU_DEP_1) | instskip(SKIP_2) | instid1(VALU_DEP_1)
	v_ashrrev_i32_e32 v11, 31, v10
	s_waitcnt lgkmcnt(1)
	v_add_co_u32 v18, s11, v12, v10
	v_add_co_ci_u32_e64 v19, s11, v13, v11, s11
	v_add_co_u32 v20, s11, v14, v10
	s_delay_alu instid0(VALU_DEP_1) | instskip(SKIP_2) | instid1(VALU_DEP_1)
	v_add_co_ci_u32_e64 v21, s11, v15, v11, s11
	s_waitcnt lgkmcnt(0)
	v_add_co_u32 v22, s11, v16, v10
	v_add_co_ci_u32_e64 v23, s11, v17, v11, s11
	s_branch .LBB4_918
.LBB4_915:                              ;   in Loop: Header=BB4_918 Depth=2
	s_or_b32 exec_lo, exec_lo, s11
	s_delay_alu instid0(VALU_DEP_1) | instskip(NEXT) | instid1(VALU_DEP_2)
	v_lshrrev_b32_e32 v117, 21, v117
	v_min_i32_e32 v118, 31, v17
	v_cmp_gt_i32_e64 s11, 32, v17
	v_lshrrev_b32_e32 v13, 24, v13
	s_delay_alu instid0(VALU_DEP_3) | instskip(NEXT) | instid1(VALU_DEP_3)
	v_lshlrev_b32_e32 v118, 2, v118
	v_cndmask_b32_e64 v117, 3, v117, s11
	s_delay_alu instid0(VALU_DEP_3) | instskip(NEXT) | instid1(VALU_DEP_3)
	v_and_b32_e32 v13, 0x80, v13
	v_and_b32_e32 v118, 0xfc, v118
	s_delay_alu instid0(VALU_DEP_3) | instskip(SKIP_1) | instid1(VALU_DEP_2)
	v_and_b32_e32 v119, 3, v117
	v_or_b32_e32 v17, v17, v117
	v_or3_b32 v13, v13, v118, v119
	s_delay_alu instid0(VALU_DEP_2) | instskip(NEXT) | instid1(VALU_DEP_2)
	v_cmp_ne_u32_e64 s11, 0, v17
	v_lshlrev_b32_e32 v13, 8, v13
	s_delay_alu instid0(VALU_DEP_1)
	v_cndmask_b32_e64 v17, 0, v13, s11
.LBB4_916:                              ;   in Loop: Header=BB4_918 Depth=2
	s_or_b32 exec_lo, exec_lo, s27
.LBB4_917:                              ;   in Loop: Header=BB4_918 Depth=2
	s_delay_alu instid0(SALU_CYCLE_1)
	s_or_b32 exec_lo, exec_lo, s26
	v_or_b32_e32 v11, v11, v112
	v_and_b32_e32 v13, 0xff, v70
	v_lshlrev_b32_e32 v69, 8, v69
	v_and_b32_e32 v70, 0xff, v114
	v_lshlrev_b32_e32 v112, 8, v113
	v_or_b32_e32 v17, v17, v116
	v_and_b32_e32 v14, 0xff, v14
	v_lshlrev_b32_e32 v10, 24, v10
	v_lshlrev_b32_e32 v11, 16, v11
	;; [unrolled: 1-line block ×3, first 2 shown]
	v_perm_b32 v68, v69, v68, 0xc0c0500
	v_lshlrev_b32_e32 v12, 24, v12
	v_lshlrev_b32_e32 v69, 16, v70
	v_perm_b32 v15, v112, v15, 0xc0c0500
	v_and_b32_e32 v16, 0xff, v16
	v_lshlrev_b32_e32 v17, 16, v17
	v_add_co_u32 v18, s11, v18, v100
	v_or3_b32 v11, v71, v14, v11
	v_or3_b32 v10, v10, v13, v68
	;; [unrolled: 1-line block ×4, first 2 shown]
	v_sub_nc_u32_e32 v67, v67, v85
	v_add_co_ci_u32_e64 v19, s11, v19, v101, s11
	v_add_co_u32 v20, s11, v20, v100
	s_delay_alu instid0(VALU_DEP_1) | instskip(SKIP_3) | instid1(VALU_DEP_1)
	v_add_co_ci_u32_e64 v21, s11, v21, v101, s11
	global_store_b128 v[22:23], v[10:13], off glc slc dlc
	v_cmp_gt_i32_e64 s11, 16, v67
	v_add_co_u32 v22, s12, v22, v100
	v_add_co_ci_u32_e64 v23, s12, v23, v101, s12
	v_sub_nc_u32_e32 v66, v66, v83
	s_delay_alu instid0(VALU_DEP_4) | instskip(NEXT) | instid1(SALU_CYCLE_1)
	s_or_b32 s25, s11, s25
	s_and_not1_b32 exec_lo, exec_lo, s25
	s_cbranch_execz .LBB4_1300
.LBB4_918:                              ;   Parent Loop BB4_53 Depth=1
                                        ; =>  This Inner Loop Header: Depth=2
	global_load_b128 v[14:17], v[18:19], off slc dlc
	global_load_b128 v[10:13], v[20:21], off slc dlc
	s_mov_b32 s12, 0
	s_mov_b32 s27, exec_lo
                                        ; implicit-def: $sgpr26
	s_waitcnt vmcnt(1)
	v_and_b32_e32 v69, 0xff, v14
	s_delay_alu instid0(VALU_DEP_1)
	v_cmpx_lt_i16_e32 0x7f, v69
	s_xor_b32 s27, exec_lo, s27
	s_cbranch_execnz .LBB4_1172
; %bb.919:                              ;   in Loop: Header=BB4_918 Depth=2
	s_or_saveexec_b32 s27, s27
	v_mov_b32_e32 v68, s26
	s_xor_b32 exec_lo, exec_lo, s27
	s_cbranch_execnz .LBB4_1175
.LBB4_920:                              ;   in Loop: Header=BB4_918 Depth=2
	s_or_b32 exec_lo, exec_lo, s27
	s_and_saveexec_b32 s26, s12
	s_cbranch_execz .LBB4_922
.LBB4_921:                              ;   in Loop: Header=BB4_918 Depth=2
	v_and_b32_e32 v68, 3, v14
	v_bfe_u32 v71, v14, 2, 5
	v_lshlrev_b32_e32 v112, 24, v14
	s_delay_alu instid0(VALU_DEP_3) | instskip(NEXT) | instid1(VALU_DEP_3)
	v_clz_i32_u32_e32 v69, v68
	v_cmp_eq_u32_e64 s11, 0, v71
	s_delay_alu instid0(VALU_DEP_2) | instskip(NEXT) | instid1(VALU_DEP_1)
	v_min_u32_e32 v69, 32, v69
	v_subrev_nc_u32_e32 v70, 29, v69
	v_sub_nc_u32_e32 v69, 30, v69
	s_delay_alu instid0(VALU_DEP_2) | instskip(NEXT) | instid1(VALU_DEP_2)
	v_lshlrev_b32_e32 v70, v70, v14
	v_cndmask_b32_e64 v69, v71, v69, s11
	s_delay_alu instid0(VALU_DEP_2) | instskip(NEXT) | instid1(VALU_DEP_2)
	v_and_b32_e32 v70, 3, v70
	v_lshl_add_u32 v69, v69, 23, 0x37800000
	s_delay_alu instid0(VALU_DEP_2) | instskip(SKIP_1) | instid1(VALU_DEP_2)
	v_cndmask_b32_e64 v68, v68, v70, s11
	v_and_b32_e32 v70, 0x80000000, v112
	v_lshlrev_b32_e32 v68, 21, v68
	s_delay_alu instid0(VALU_DEP_1)
	v_or3_b32 v68, v70, v69, v68
.LBB4_922:                              ;   in Loop: Header=BB4_918 Depth=2
	s_or_b32 exec_lo, exec_lo, s26
	s_waitcnt vmcnt(0)
	v_and_b32_e32 v70, 0xff, v10
	s_mov_b32 s12, 0
	s_mov_b32 s27, exec_lo
                                        ; implicit-def: $sgpr26
	s_delay_alu instid0(VALU_DEP_1)
	v_cmpx_lt_i16_e32 0x7f, v70
	s_xor_b32 s27, exec_lo, s27
	s_cbranch_execnz .LBB4_1176
; %bb.923:                              ;   in Loop: Header=BB4_918 Depth=2
	s_or_saveexec_b32 s27, s27
	v_mov_b32_e32 v69, s26
	s_xor_b32 exec_lo, exec_lo, s27
	s_cbranch_execnz .LBB4_1179
.LBB4_924:                              ;   in Loop: Header=BB4_918 Depth=2
	s_or_b32 exec_lo, exec_lo, s27
	s_and_saveexec_b32 s26, s12
	s_cbranch_execz .LBB4_926
.LBB4_925:                              ;   in Loop: Header=BB4_918 Depth=2
	v_and_b32_e32 v69, 3, v10
	v_bfe_u32 v112, v10, 2, 5
	v_lshlrev_b32_e32 v113, 24, v10
	s_delay_alu instid0(VALU_DEP_3) | instskip(NEXT) | instid1(VALU_DEP_3)
	v_clz_i32_u32_e32 v70, v69
	v_cmp_eq_u32_e64 s11, 0, v112
	s_delay_alu instid0(VALU_DEP_2) | instskip(NEXT) | instid1(VALU_DEP_1)
	v_min_u32_e32 v70, 32, v70
	v_subrev_nc_u32_e32 v71, 29, v70
	v_sub_nc_u32_e32 v70, 30, v70
	s_delay_alu instid0(VALU_DEP_2) | instskip(NEXT) | instid1(VALU_DEP_2)
	v_lshlrev_b32_e32 v71, v71, v10
	v_cndmask_b32_e64 v70, v112, v70, s11
	s_delay_alu instid0(VALU_DEP_2) | instskip(NEXT) | instid1(VALU_DEP_2)
	v_and_b32_e32 v71, 3, v71
	v_lshl_add_u32 v70, v70, 23, 0x37800000
	s_delay_alu instid0(VALU_DEP_2) | instskip(SKIP_1) | instid1(VALU_DEP_2)
	v_cndmask_b32_e64 v69, v69, v71, s11
	v_and_b32_e32 v71, 0x80000000, v113
	v_lshlrev_b32_e32 v69, 21, v69
	s_delay_alu instid0(VALU_DEP_1)
	v_or3_b32 v69, v71, v70, v69
.LBB4_926:                              ;   in Loop: Header=BB4_918 Depth=2
	s_or_b32 exec_lo, exec_lo, s26
	s_delay_alu instid0(VALU_DEP_1) | instskip(NEXT) | instid1(VALU_DEP_1)
	v_mul_f32_e32 v69, v68, v69
	v_and_b32_e32 v68, 0x7f800000, v69
	s_delay_alu instid0(VALU_DEP_1) | instskip(SKIP_1) | instid1(VALU_DEP_2)
	v_cmp_ne_u32_e64 s11, 0x7f800000, v68
	v_mov_b32_e32 v68, 0x80
	s_and_saveexec_b32 s26, s11
	s_cbranch_execz .LBB4_934
; %bb.927:                              ;   in Loop: Header=BB4_918 Depth=2
	v_mov_b32_e32 v68, 0
	s_mov_b32 s27, exec_lo
	v_cmpx_ne_u32_e32 0, v69
	s_cbranch_execz .LBB4_933
; %bb.928:                              ;   in Loop: Header=BB4_918 Depth=2
	v_bfe_u32 v68, v69, 23, 8
	v_and_b32_e32 v70, 0x7fffff, v69
	s_delay_alu instid0(VALU_DEP_2) | instskip(SKIP_1) | instid1(VALU_DEP_3)
	v_sub_nc_u32_e32 v71, 0x70, v68
	v_cmp_gt_u32_e64 s11, 0x71, v68
	v_or_b32_e32 v112, 0x800000, v70
	s_delay_alu instid0(VALU_DEP_2) | instskip(SKIP_2) | instid1(VALU_DEP_2)
	v_cndmask_b32_e64 v71, 0, v71, s11
	v_cmp_eq_u32_e64 s11, 0, v68
	v_add_nc_u32_e32 v68, 0xffffff91, v68
	v_cndmask_b32_e64 v71, v71, 0x6f, s11
	v_cndmask_b32_e64 v70, v112, v70, s11
	s_delay_alu instid0(VALU_DEP_3) | instskip(NEXT) | instid1(VALU_DEP_3)
	v_cndmask_b32_e64 v68, v68, 0xffffff92, s11
	v_lshl_add_u32 v112, 0x200000, v71, -1
	s_delay_alu instid0(VALU_DEP_3) | instskip(SKIP_1) | instid1(VALU_DEP_4)
	v_lshrrev_b32_e32 v113, v71, v70
	v_lshlrev_b32_e64 v115, v71, 0x100000
	v_add_nc_u32_e32 v71, v71, v68
	s_delay_alu instid0(VALU_DEP_4) | instskip(NEXT) | instid1(VALU_DEP_4)
	v_and_b32_e32 v70, v112, v70
	v_bfe_u32 v114, v113, 21, 1
	s_delay_alu instid0(VALU_DEP_2) | instskip(NEXT) | instid1(VALU_DEP_2)
	v_cmp_eq_u32_e64 s12, v70, v115
	v_add_nc_u32_e32 v112, -1, v114
	s_delay_alu instid0(VALU_DEP_1) | instskip(SKIP_2) | instid1(VALU_DEP_2)
	v_cndmask_b32_e64 v70, 0, v112, s12
	v_lshrrev_b32_e32 v112, 23, v113
	s_mov_b32 s12, exec_lo
	v_add_nc_u32_e32 v70, v70, v113
	s_delay_alu instid0(VALU_DEP_2) | instskip(NEXT) | instid1(VALU_DEP_2)
	v_xor_b32_e32 v112, 1, v112
	v_and_b32_e32 v68, 0x1fffff, v70
	s_delay_alu instid0(VALU_DEP_1) | instskip(NEXT) | instid1(VALU_DEP_3)
	v_add_nc_u32_e32 v70, v68, v113
                                        ; implicit-def: $vgpr68
	v_cmpx_ne_u32_e64 v71, v112
	s_xor_b32 s12, exec_lo, s12
; %bb.929:                              ;   in Loop: Header=BB4_918 Depth=2
	s_delay_alu instid0(VALU_DEP_2) | instskip(SKIP_1) | instid1(VALU_DEP_2)
	v_cmp_lt_u32_e64 s11, 0xffffff, v70
	v_sub_nc_u32_e32 v68, v71, v112
	v_cndmask_b32_e64 v71, 0, 1, s11
	s_delay_alu instid0(VALU_DEP_2) | instskip(NEXT) | instid1(VALU_DEP_2)
	v_add_co_ci_u32_e64 v68, s11, 0, v68, s11
	v_lshrrev_b32_e32 v70, v71, v70
; %bb.930:                              ;   in Loop: Header=BB4_918 Depth=2
	s_and_not1_saveexec_b32 s11, s12
; %bb.931:                              ;   in Loop: Header=BB4_918 Depth=2
	s_delay_alu instid0(VALU_DEP_1)
	v_bfe_u32 v68, v70, 23, 1
; %bb.932:                              ;   in Loop: Header=BB4_918 Depth=2
	s_or_b32 exec_lo, exec_lo, s11
	v_lshrrev_b32_e32 v70, 21, v70
	s_delay_alu instid0(VALU_DEP_2) | instskip(SKIP_2) | instid1(VALU_DEP_3)
	v_cmp_gt_i32_e64 s11, 32, v68
	v_lshrrev_b32_e32 v69, 24, v69
	v_min_i32_e32 v71, 31, v68
	v_cndmask_b32_e64 v70, 3, v70, s11
	s_delay_alu instid0(VALU_DEP_3) | instskip(NEXT) | instid1(VALU_DEP_3)
	v_and_b32_e32 v69, 0x80, v69
	v_lshlrev_b32_e32 v71, 2, v71
	s_delay_alu instid0(VALU_DEP_3) | instskip(SKIP_1) | instid1(VALU_DEP_2)
	v_and_b32_e32 v112, 3, v70
	v_or_b32_e32 v68, v68, v70
	v_or3_b32 v69, v71, v69, v112
	s_delay_alu instid0(VALU_DEP_2) | instskip(NEXT) | instid1(VALU_DEP_1)
	v_cmp_ne_u32_e64 s11, 0, v68
	v_cndmask_b32_e64 v68, 0, v69, s11
.LBB4_933:                              ;   in Loop: Header=BB4_918 Depth=2
	s_or_b32 exec_lo, exec_lo, s27
.LBB4_934:                              ;   in Loop: Header=BB4_918 Depth=2
	s_delay_alu instid0(SALU_CYCLE_1) | instskip(SKIP_3) | instid1(VALU_DEP_1)
	s_or_b32 exec_lo, exec_lo, s26
	v_lshrrev_b16 v70, 8, v14
	s_mov_b32 s12, 0
	s_mov_b32 s27, exec_lo
                                        ; implicit-def: $sgpr26
	v_cmpx_lt_i16_e32 0x7f, v70
	s_xor_b32 s27, exec_lo, s27
	s_cbranch_execnz .LBB4_1180
; %bb.935:                              ;   in Loop: Header=BB4_918 Depth=2
	s_or_saveexec_b32 s27, s27
	v_mov_b32_e32 v69, s26
	s_xor_b32 exec_lo, exec_lo, s27
	s_cbranch_execnz .LBB4_1183
.LBB4_936:                              ;   in Loop: Header=BB4_918 Depth=2
	s_or_b32 exec_lo, exec_lo, s27
	s_and_saveexec_b32 s26, s12
	s_cbranch_execz .LBB4_938
.LBB4_937:                              ;   in Loop: Header=BB4_918 Depth=2
	v_and_b32_e32 v69, 0xffff, v70
	v_lshlrev_b32_e32 v70, 24, v70
	s_delay_alu instid0(VALU_DEP_2) | instskip(NEXT) | instid1(VALU_DEP_2)
	v_and_b32_e32 v71, 3, v69
	v_and_b32_e32 v70, 0x80000000, v70
	s_delay_alu instid0(VALU_DEP_2) | instskip(NEXT) | instid1(VALU_DEP_1)
	v_clz_i32_u32_e32 v112, v71
	v_min_u32_e32 v112, 32, v112
	s_delay_alu instid0(VALU_DEP_1) | instskip(SKIP_1) | instid1(VALU_DEP_2)
	v_subrev_nc_u32_e32 v113, 29, v112
	v_sub_nc_u32_e32 v112, 30, v112
	v_lshlrev_b32_e32 v113, v113, v69
	v_bfe_u32 v69, v69, 2, 5
	s_delay_alu instid0(VALU_DEP_2) | instskip(NEXT) | instid1(VALU_DEP_2)
	v_and_b32_e32 v113, 3, v113
	v_cmp_eq_u32_e64 s11, 0, v69
	s_delay_alu instid0(VALU_DEP_1) | instskip(NEXT) | instid1(VALU_DEP_3)
	v_cndmask_b32_e64 v69, v69, v112, s11
	v_cndmask_b32_e64 v71, v71, v113, s11
	s_delay_alu instid0(VALU_DEP_2) | instskip(NEXT) | instid1(VALU_DEP_2)
	v_lshl_add_u32 v69, v69, 23, 0x37800000
	v_lshlrev_b32_e32 v71, 21, v71
	s_delay_alu instid0(VALU_DEP_1)
	v_or3_b32 v69, v70, v69, v71
.LBB4_938:                              ;   in Loop: Header=BB4_918 Depth=2
	s_or_b32 exec_lo, exec_lo, s26
	v_lshrrev_b16 v70, 8, v10
	s_mov_b32 s12, 0
	s_mov_b32 s27, exec_lo
                                        ; implicit-def: $sgpr26
	s_delay_alu instid0(VALU_DEP_1)
	v_cmpx_lt_i16_e32 0x7f, v70
	s_xor_b32 s27, exec_lo, s27
	s_cbranch_execnz .LBB4_1184
; %bb.939:                              ;   in Loop: Header=BB4_918 Depth=2
	s_or_saveexec_b32 s27, s27
	v_mov_b32_e32 v71, s26
	s_xor_b32 exec_lo, exec_lo, s27
	s_cbranch_execnz .LBB4_1187
.LBB4_940:                              ;   in Loop: Header=BB4_918 Depth=2
	s_or_b32 exec_lo, exec_lo, s27
	s_and_saveexec_b32 s26, s12
	s_cbranch_execz .LBB4_942
.LBB4_941:                              ;   in Loop: Header=BB4_918 Depth=2
	v_and_b32_e32 v71, 0xffff, v70
	v_lshlrev_b32_e32 v70, 24, v70
	s_delay_alu instid0(VALU_DEP_2) | instskip(NEXT) | instid1(VALU_DEP_2)
	v_and_b32_e32 v112, 3, v71
	v_and_b32_e32 v70, 0x80000000, v70
	s_delay_alu instid0(VALU_DEP_2) | instskip(NEXT) | instid1(VALU_DEP_1)
	v_clz_i32_u32_e32 v113, v112
	v_min_u32_e32 v113, 32, v113
	s_delay_alu instid0(VALU_DEP_1) | instskip(SKIP_1) | instid1(VALU_DEP_2)
	v_subrev_nc_u32_e32 v114, 29, v113
	v_sub_nc_u32_e32 v113, 30, v113
	v_lshlrev_b32_e32 v114, v114, v71
	v_bfe_u32 v71, v71, 2, 5
	s_delay_alu instid0(VALU_DEP_2) | instskip(NEXT) | instid1(VALU_DEP_2)
	v_and_b32_e32 v114, 3, v114
	v_cmp_eq_u32_e64 s11, 0, v71
	s_delay_alu instid0(VALU_DEP_1) | instskip(NEXT) | instid1(VALU_DEP_3)
	v_cndmask_b32_e64 v71, v71, v113, s11
	v_cndmask_b32_e64 v112, v112, v114, s11
	s_delay_alu instid0(VALU_DEP_2) | instskip(NEXT) | instid1(VALU_DEP_2)
	v_lshl_add_u32 v71, v71, 23, 0x37800000
	v_lshlrev_b32_e32 v112, 21, v112
	s_delay_alu instid0(VALU_DEP_1)
	v_or3_b32 v71, v70, v71, v112
.LBB4_942:                              ;   in Loop: Header=BB4_918 Depth=2
	s_or_b32 exec_lo, exec_lo, s26
	s_delay_alu instid0(VALU_DEP_1) | instskip(NEXT) | instid1(VALU_DEP_1)
	v_mul_f32_e32 v70, v69, v71
	v_and_b32_e32 v69, 0x7f800000, v70
	s_delay_alu instid0(VALU_DEP_1) | instskip(SKIP_1) | instid1(VALU_DEP_2)
	v_cmp_ne_u32_e64 s11, 0x7f800000, v69
	v_mov_b32_e32 v69, 0x80
	s_and_saveexec_b32 s26, s11
	s_cbranch_execz .LBB4_950
; %bb.943:                              ;   in Loop: Header=BB4_918 Depth=2
	v_mov_b32_e32 v69, 0
	s_mov_b32 s27, exec_lo
	v_cmpx_ne_u32_e32 0, v70
	s_cbranch_execz .LBB4_949
; %bb.944:                              ;   in Loop: Header=BB4_918 Depth=2
	v_bfe_u32 v69, v70, 23, 8
	v_and_b32_e32 v71, 0x7fffff, v70
	s_delay_alu instid0(VALU_DEP_2) | instskip(SKIP_1) | instid1(VALU_DEP_3)
	v_sub_nc_u32_e32 v112, 0x70, v69
	v_cmp_gt_u32_e64 s11, 0x71, v69
	v_or_b32_e32 v113, 0x800000, v71
	s_delay_alu instid0(VALU_DEP_2) | instskip(SKIP_2) | instid1(VALU_DEP_2)
	v_cndmask_b32_e64 v112, 0, v112, s11
	v_cmp_eq_u32_e64 s11, 0, v69
	v_add_nc_u32_e32 v69, 0xffffff91, v69
	v_cndmask_b32_e64 v112, v112, 0x6f, s11
	v_cndmask_b32_e64 v71, v113, v71, s11
	s_delay_alu instid0(VALU_DEP_3) | instskip(NEXT) | instid1(VALU_DEP_3)
	v_cndmask_b32_e64 v69, v69, 0xffffff92, s11
	v_lshl_add_u32 v113, 0x200000, v112, -1
	s_delay_alu instid0(VALU_DEP_3) | instskip(SKIP_1) | instid1(VALU_DEP_4)
	v_lshrrev_b32_e32 v114, v112, v71
	v_lshlrev_b32_e64 v116, v112, 0x100000
	v_add_nc_u32_e32 v112, v112, v69
	s_delay_alu instid0(VALU_DEP_4) | instskip(NEXT) | instid1(VALU_DEP_4)
	v_and_b32_e32 v71, v113, v71
	v_bfe_u32 v115, v114, 21, 1
	s_delay_alu instid0(VALU_DEP_2) | instskip(NEXT) | instid1(VALU_DEP_2)
	v_cmp_eq_u32_e64 s12, v71, v116
	v_add_nc_u32_e32 v113, -1, v115
	s_delay_alu instid0(VALU_DEP_1) | instskip(SKIP_2) | instid1(VALU_DEP_2)
	v_cndmask_b32_e64 v71, 0, v113, s12
	v_lshrrev_b32_e32 v113, 23, v114
	s_mov_b32 s12, exec_lo
	v_add_nc_u32_e32 v71, v71, v114
	s_delay_alu instid0(VALU_DEP_2) | instskip(NEXT) | instid1(VALU_DEP_2)
	v_xor_b32_e32 v113, 1, v113
	v_and_b32_e32 v69, 0x1fffff, v71
	s_delay_alu instid0(VALU_DEP_1) | instskip(NEXT) | instid1(VALU_DEP_3)
	v_add_nc_u32_e32 v71, v69, v114
                                        ; implicit-def: $vgpr69
	v_cmpx_ne_u32_e64 v112, v113
	s_xor_b32 s12, exec_lo, s12
; %bb.945:                              ;   in Loop: Header=BB4_918 Depth=2
	s_delay_alu instid0(VALU_DEP_2) | instskip(SKIP_1) | instid1(VALU_DEP_2)
	v_cmp_lt_u32_e64 s11, 0xffffff, v71
	v_sub_nc_u32_e32 v69, v112, v113
	v_cndmask_b32_e64 v112, 0, 1, s11
	s_delay_alu instid0(VALU_DEP_2) | instskip(NEXT) | instid1(VALU_DEP_2)
	v_add_co_ci_u32_e64 v69, s11, 0, v69, s11
	v_lshrrev_b32_e32 v71, v112, v71
; %bb.946:                              ;   in Loop: Header=BB4_918 Depth=2
	s_and_not1_saveexec_b32 s11, s12
; %bb.947:                              ;   in Loop: Header=BB4_918 Depth=2
	s_delay_alu instid0(VALU_DEP_1)
	v_bfe_u32 v69, v71, 23, 1
; %bb.948:                              ;   in Loop: Header=BB4_918 Depth=2
	s_or_b32 exec_lo, exec_lo, s11
	v_lshrrev_b32_e32 v71, 21, v71
	s_delay_alu instid0(VALU_DEP_2) | instskip(SKIP_2) | instid1(VALU_DEP_3)
	v_cmp_gt_i32_e64 s11, 32, v69
	v_lshrrev_b32_e32 v70, 24, v70
	v_min_i32_e32 v112, 31, v69
	v_cndmask_b32_e64 v71, 3, v71, s11
	s_delay_alu instid0(VALU_DEP_3) | instskip(NEXT) | instid1(VALU_DEP_3)
	v_and_b32_e32 v70, 0x80, v70
	v_lshlrev_b32_e32 v112, 2, v112
	s_delay_alu instid0(VALU_DEP_3) | instskip(SKIP_1) | instid1(VALU_DEP_2)
	v_and_b32_e32 v113, 3, v71
	v_or_b32_e32 v69, v69, v71
	v_or3_b32 v70, v112, v70, v113
	s_delay_alu instid0(VALU_DEP_2) | instskip(NEXT) | instid1(VALU_DEP_1)
	v_cmp_ne_u32_e64 s11, 0, v69
	v_cndmask_b32_e64 v69, 0, v70, s11
.LBB4_949:                              ;   in Loop: Header=BB4_918 Depth=2
	s_or_b32 exec_lo, exec_lo, s27
.LBB4_950:                              ;   in Loop: Header=BB4_918 Depth=2
	s_delay_alu instid0(SALU_CYCLE_1) | instskip(SKIP_3) | instid1(VALU_DEP_1)
	s_or_b32 exec_lo, exec_lo, s26
	v_lshrrev_b32_e32 v71, 16, v14
	s_mov_b32 s12, 0
	s_mov_b32 s27, exec_lo
                                        ; implicit-def: $sgpr26
	v_and_b32_e32 v112, 0xff, v71
	s_delay_alu instid0(VALU_DEP_1)
	v_cmpx_lt_i16_e32 0x7f, v112
	s_xor_b32 s27, exec_lo, s27
	s_cbranch_execnz .LBB4_1188
; %bb.951:                              ;   in Loop: Header=BB4_918 Depth=2
	s_or_saveexec_b32 s27, s27
	v_mov_b32_e32 v70, s26
	s_xor_b32 exec_lo, exec_lo, s27
	s_cbranch_execnz .LBB4_1191
.LBB4_952:                              ;   in Loop: Header=BB4_918 Depth=2
	s_or_b32 exec_lo, exec_lo, s27
	s_and_saveexec_b32 s26, s12
	s_cbranch_execz .LBB4_954
.LBB4_953:                              ;   in Loop: Header=BB4_918 Depth=2
	v_bfe_u32 v70, v14, 16, 2
	v_lshlrev_b32_e32 v114, 8, v14
	s_delay_alu instid0(VALU_DEP_2) | instskip(NEXT) | instid1(VALU_DEP_1)
	v_clz_i32_u32_e32 v112, v70
	v_min_u32_e32 v112, 32, v112
	s_delay_alu instid0(VALU_DEP_1) | instskip(SKIP_1) | instid1(VALU_DEP_2)
	v_subrev_nc_u32_e32 v113, 29, v112
	v_sub_nc_u32_e32 v112, 30, v112
	v_lshlrev_b32_e32 v71, v113, v71
	v_bfe_u32 v113, v14, 18, 5
	s_delay_alu instid0(VALU_DEP_2) | instskip(NEXT) | instid1(VALU_DEP_2)
	v_and_b32_e32 v71, 3, v71
	v_cmp_eq_u32_e64 s11, 0, v113
	s_delay_alu instid0(VALU_DEP_1) | instskip(NEXT) | instid1(VALU_DEP_3)
	v_cndmask_b32_e64 v112, v113, v112, s11
	v_cndmask_b32_e64 v70, v70, v71, s11
	v_and_b32_e32 v71, 0x80000000, v114
	s_delay_alu instid0(VALU_DEP_3) | instskip(NEXT) | instid1(VALU_DEP_3)
	v_lshl_add_u32 v112, v112, 23, 0x37800000
	v_lshlrev_b32_e32 v70, 21, v70
	s_delay_alu instid0(VALU_DEP_1)
	v_or3_b32 v70, v71, v112, v70
.LBB4_954:                              ;   in Loop: Header=BB4_918 Depth=2
	s_or_b32 exec_lo, exec_lo, s26
	v_lshrrev_b32_e32 v71, 16, v10
	s_mov_b32 s12, 0
	s_mov_b32 s27, exec_lo
                                        ; implicit-def: $sgpr26
	s_delay_alu instid0(VALU_DEP_1) | instskip(NEXT) | instid1(VALU_DEP_1)
	v_and_b32_e32 v113, 0xff, v71
	v_cmpx_lt_i16_e32 0x7f, v113
	s_xor_b32 s27, exec_lo, s27
	s_cbranch_execnz .LBB4_1192
; %bb.955:                              ;   in Loop: Header=BB4_918 Depth=2
	s_or_saveexec_b32 s27, s27
	v_mov_b32_e32 v112, s26
	s_xor_b32 exec_lo, exec_lo, s27
	s_cbranch_execnz .LBB4_1195
.LBB4_956:                              ;   in Loop: Header=BB4_918 Depth=2
	s_or_b32 exec_lo, exec_lo, s27
	s_and_saveexec_b32 s26, s12
	s_cbranch_execz .LBB4_958
.LBB4_957:                              ;   in Loop: Header=BB4_918 Depth=2
	v_bfe_u32 v112, v10, 16, 2
	v_lshlrev_b32_e32 v115, 8, v10
	s_delay_alu instid0(VALU_DEP_2) | instskip(NEXT) | instid1(VALU_DEP_1)
	v_clz_i32_u32_e32 v113, v112
	v_min_u32_e32 v113, 32, v113
	s_delay_alu instid0(VALU_DEP_1) | instskip(SKIP_1) | instid1(VALU_DEP_2)
	v_subrev_nc_u32_e32 v114, 29, v113
	v_sub_nc_u32_e32 v113, 30, v113
	v_lshlrev_b32_e32 v71, v114, v71
	v_bfe_u32 v114, v10, 18, 5
	s_delay_alu instid0(VALU_DEP_2) | instskip(NEXT) | instid1(VALU_DEP_2)
	v_and_b32_e32 v71, 3, v71
	v_cmp_eq_u32_e64 s11, 0, v114
	s_delay_alu instid0(VALU_DEP_1) | instskip(NEXT) | instid1(VALU_DEP_3)
	v_cndmask_b32_e64 v113, v114, v113, s11
	v_cndmask_b32_e64 v71, v112, v71, s11
	v_and_b32_e32 v112, 0x80000000, v115
	s_delay_alu instid0(VALU_DEP_3) | instskip(NEXT) | instid1(VALU_DEP_3)
	v_lshl_add_u32 v113, v113, 23, 0x37800000
	v_lshlrev_b32_e32 v71, 21, v71
	s_delay_alu instid0(VALU_DEP_1)
	v_or3_b32 v112, v112, v113, v71
.LBB4_958:                              ;   in Loop: Header=BB4_918 Depth=2
	s_or_b32 exec_lo, exec_lo, s26
	s_delay_alu instid0(VALU_DEP_1) | instskip(NEXT) | instid1(VALU_DEP_1)
	v_mul_f32_e32 v71, v70, v112
	v_and_b32_e32 v70, 0x7f800000, v71
	s_delay_alu instid0(VALU_DEP_1) | instskip(SKIP_1) | instid1(VALU_DEP_2)
	v_cmp_ne_u32_e64 s11, 0x7f800000, v70
	v_mov_b32_e32 v70, 0x80
	s_and_saveexec_b32 s26, s11
	s_cbranch_execz .LBB4_966
; %bb.959:                              ;   in Loop: Header=BB4_918 Depth=2
	v_mov_b32_e32 v70, 0
	s_mov_b32 s27, exec_lo
	v_cmpx_ne_u32_e32 0, v71
	s_cbranch_execz .LBB4_965
; %bb.960:                              ;   in Loop: Header=BB4_918 Depth=2
	v_bfe_u32 v70, v71, 23, 8
	v_and_b32_e32 v112, 0x7fffff, v71
	s_delay_alu instid0(VALU_DEP_2) | instskip(SKIP_1) | instid1(VALU_DEP_3)
	v_sub_nc_u32_e32 v113, 0x70, v70
	v_cmp_gt_u32_e64 s11, 0x71, v70
	v_or_b32_e32 v114, 0x800000, v112
	s_delay_alu instid0(VALU_DEP_2) | instskip(SKIP_2) | instid1(VALU_DEP_2)
	v_cndmask_b32_e64 v113, 0, v113, s11
	v_cmp_eq_u32_e64 s11, 0, v70
	v_add_nc_u32_e32 v70, 0xffffff91, v70
	v_cndmask_b32_e64 v113, v113, 0x6f, s11
	v_cndmask_b32_e64 v112, v114, v112, s11
	s_delay_alu instid0(VALU_DEP_3) | instskip(NEXT) | instid1(VALU_DEP_3)
	v_cndmask_b32_e64 v70, v70, 0xffffff92, s11
	v_lshl_add_u32 v114, 0x200000, v113, -1
	s_delay_alu instid0(VALU_DEP_3) | instskip(SKIP_1) | instid1(VALU_DEP_4)
	v_lshrrev_b32_e32 v115, v113, v112
	v_lshlrev_b32_e64 v117, v113, 0x100000
	v_add_nc_u32_e32 v113, v113, v70
	s_delay_alu instid0(VALU_DEP_4) | instskip(NEXT) | instid1(VALU_DEP_4)
	v_and_b32_e32 v112, v114, v112
	v_bfe_u32 v116, v115, 21, 1
	s_delay_alu instid0(VALU_DEP_2) | instskip(NEXT) | instid1(VALU_DEP_2)
	v_cmp_eq_u32_e64 s12, v112, v117
	v_add_nc_u32_e32 v114, -1, v116
	s_delay_alu instid0(VALU_DEP_1) | instskip(SKIP_2) | instid1(VALU_DEP_2)
	v_cndmask_b32_e64 v112, 0, v114, s12
	v_lshrrev_b32_e32 v114, 23, v115
	s_mov_b32 s12, exec_lo
	v_add_nc_u32_e32 v112, v112, v115
	s_delay_alu instid0(VALU_DEP_2) | instskip(NEXT) | instid1(VALU_DEP_2)
	v_xor_b32_e32 v114, 1, v114
	v_and_b32_e32 v70, 0x1fffff, v112
	s_delay_alu instid0(VALU_DEP_1) | instskip(NEXT) | instid1(VALU_DEP_3)
	v_add_nc_u32_e32 v112, v70, v115
                                        ; implicit-def: $vgpr70
	v_cmpx_ne_u32_e64 v113, v114
	s_xor_b32 s12, exec_lo, s12
; %bb.961:                              ;   in Loop: Header=BB4_918 Depth=2
	s_delay_alu instid0(VALU_DEP_2) | instskip(SKIP_1) | instid1(VALU_DEP_2)
	v_cmp_lt_u32_e64 s11, 0xffffff, v112
	v_sub_nc_u32_e32 v70, v113, v114
	v_cndmask_b32_e64 v113, 0, 1, s11
	s_delay_alu instid0(VALU_DEP_2) | instskip(NEXT) | instid1(VALU_DEP_2)
	v_add_co_ci_u32_e64 v70, s11, 0, v70, s11
	v_lshrrev_b32_e32 v112, v113, v112
; %bb.962:                              ;   in Loop: Header=BB4_918 Depth=2
	s_and_not1_saveexec_b32 s11, s12
; %bb.963:                              ;   in Loop: Header=BB4_918 Depth=2
	s_delay_alu instid0(VALU_DEP_1)
	v_bfe_u32 v70, v112, 23, 1
; %bb.964:                              ;   in Loop: Header=BB4_918 Depth=2
	s_or_b32 exec_lo, exec_lo, s11
	v_lshrrev_b32_e32 v112, 21, v112
	s_delay_alu instid0(VALU_DEP_2) | instskip(SKIP_2) | instid1(VALU_DEP_3)
	v_cmp_gt_i32_e64 s11, 32, v70
	v_lshrrev_b32_e32 v71, 24, v71
	v_min_i32_e32 v113, 31, v70
	v_cndmask_b32_e64 v112, 3, v112, s11
	s_delay_alu instid0(VALU_DEP_3) | instskip(NEXT) | instid1(VALU_DEP_3)
	v_and_b32_e32 v71, 0x80, v71
	v_lshlrev_b32_e32 v113, 2, v113
	s_delay_alu instid0(VALU_DEP_3) | instskip(SKIP_1) | instid1(VALU_DEP_2)
	v_and_b32_e32 v114, 3, v112
	v_or_b32_e32 v70, v70, v112
	v_or3_b32 v71, v113, v71, v114
	s_delay_alu instid0(VALU_DEP_2) | instskip(NEXT) | instid1(VALU_DEP_1)
	v_cmp_ne_u32_e64 s11, 0, v70
	v_cndmask_b32_e64 v70, 0, v71, s11
.LBB4_965:                              ;   in Loop: Header=BB4_918 Depth=2
	s_or_b32 exec_lo, exec_lo, s27
.LBB4_966:                              ;   in Loop: Header=BB4_918 Depth=2
	s_delay_alu instid0(SALU_CYCLE_1) | instskip(SKIP_3) | instid1(VALU_DEP_1)
	s_or_b32 exec_lo, exec_lo, s26
	v_lshrrev_b32_e32 v112, 24, v14
	s_mov_b32 s12, 0
	s_mov_b32 s27, exec_lo
                                        ; implicit-def: $sgpr26
	v_cmpx_lt_i16_e32 0x7f, v112
	s_xor_b32 s27, exec_lo, s27
	s_cbranch_execnz .LBB4_1196
; %bb.967:                              ;   in Loop: Header=BB4_918 Depth=2
	s_or_saveexec_b32 s27, s27
	v_mov_b32_e32 v71, s26
	s_xor_b32 exec_lo, exec_lo, s27
	s_cbranch_execnz .LBB4_1199
.LBB4_968:                              ;   in Loop: Header=BB4_918 Depth=2
	s_or_b32 exec_lo, exec_lo, s27
	s_and_saveexec_b32 s26, s12
	s_cbranch_execz .LBB4_970
.LBB4_969:                              ;   in Loop: Header=BB4_918 Depth=2
	v_bfe_u32 v71, v14, 24, 2
	s_delay_alu instid0(VALU_DEP_1) | instskip(NEXT) | instid1(VALU_DEP_1)
	v_clz_i32_u32_e32 v113, v71
	v_min_u32_e32 v113, 32, v113
	s_delay_alu instid0(VALU_DEP_1) | instskip(SKIP_1) | instid1(VALU_DEP_2)
	v_subrev_nc_u32_e32 v114, 29, v113
	v_sub_nc_u32_e32 v113, 30, v113
	v_lshlrev_b32_e32 v112, v114, v112
	v_bfe_u32 v114, v14, 26, 5
	v_and_b32_e32 v14, 0x80000000, v14
	s_delay_alu instid0(VALU_DEP_3) | instskip(NEXT) | instid1(VALU_DEP_3)
	v_and_b32_e32 v112, 3, v112
	v_cmp_eq_u32_e64 s11, 0, v114
	s_delay_alu instid0(VALU_DEP_1) | instskip(NEXT) | instid1(VALU_DEP_3)
	v_cndmask_b32_e64 v113, v114, v113, s11
	v_cndmask_b32_e64 v71, v71, v112, s11
	s_delay_alu instid0(VALU_DEP_2) | instskip(NEXT) | instid1(VALU_DEP_2)
	v_lshl_add_u32 v112, v113, 23, 0x37800000
	v_lshlrev_b32_e32 v71, 21, v71
	s_delay_alu instid0(VALU_DEP_1)
	v_or3_b32 v71, v14, v112, v71
.LBB4_970:                              ;   in Loop: Header=BB4_918 Depth=2
	s_or_b32 exec_lo, exec_lo, s26
	v_lshrrev_b32_e32 v14, 24, v10
	s_mov_b32 s12, 0
	s_mov_b32 s27, exec_lo
                                        ; implicit-def: $sgpr26
	s_delay_alu instid0(VALU_DEP_1)
	v_cmpx_lt_i16_e32 0x7f, v14
	s_xor_b32 s27, exec_lo, s27
	s_cbranch_execnz .LBB4_1200
; %bb.971:                              ;   in Loop: Header=BB4_918 Depth=2
	s_or_saveexec_b32 s27, s27
	v_mov_b32_e32 v112, s26
	s_xor_b32 exec_lo, exec_lo, s27
	s_cbranch_execnz .LBB4_1203
.LBB4_972:                              ;   in Loop: Header=BB4_918 Depth=2
	s_or_b32 exec_lo, exec_lo, s27
	s_and_saveexec_b32 s26, s12
	s_cbranch_execz .LBB4_974
.LBB4_973:                              ;   in Loop: Header=BB4_918 Depth=2
	v_bfe_u32 v112, v10, 24, 2
	s_delay_alu instid0(VALU_DEP_1) | instskip(NEXT) | instid1(VALU_DEP_1)
	v_clz_i32_u32_e32 v113, v112
	v_min_u32_e32 v113, 32, v113
	s_delay_alu instid0(VALU_DEP_1) | instskip(SKIP_1) | instid1(VALU_DEP_2)
	v_subrev_nc_u32_e32 v114, 29, v113
	v_sub_nc_u32_e32 v113, 30, v113
	v_lshlrev_b32_e32 v14, v114, v14
	v_bfe_u32 v114, v10, 26, 5
	v_and_b32_e32 v10, 0x80000000, v10
	s_delay_alu instid0(VALU_DEP_3) | instskip(NEXT) | instid1(VALU_DEP_3)
	v_and_b32_e32 v14, 3, v14
	v_cmp_eq_u32_e64 s11, 0, v114
	s_delay_alu instid0(VALU_DEP_1) | instskip(NEXT) | instid1(VALU_DEP_3)
	v_cndmask_b32_e64 v113, v114, v113, s11
	v_cndmask_b32_e64 v14, v112, v14, s11
	s_delay_alu instid0(VALU_DEP_2) | instskip(NEXT) | instid1(VALU_DEP_2)
	v_lshl_add_u32 v112, v113, 23, 0x37800000
	v_lshlrev_b32_e32 v14, 21, v14
	s_delay_alu instid0(VALU_DEP_1)
	v_or3_b32 v112, v10, v112, v14
.LBB4_974:                              ;   in Loop: Header=BB4_918 Depth=2
	s_or_b32 exec_lo, exec_lo, s26
	s_delay_alu instid0(VALU_DEP_1) | instskip(NEXT) | instid1(VALU_DEP_1)
	v_mul_f32_e32 v14, v71, v112
	v_and_b32_e32 v10, 0x7f800000, v14
	s_delay_alu instid0(VALU_DEP_1) | instskip(SKIP_1) | instid1(VALU_DEP_2)
	v_cmp_ne_u32_e64 s11, 0x7f800000, v10
	v_mov_b32_e32 v10, 0x80
	s_and_saveexec_b32 s26, s11
	s_cbranch_execz .LBB4_982
; %bb.975:                              ;   in Loop: Header=BB4_918 Depth=2
	v_mov_b32_e32 v10, 0
	s_mov_b32 s27, exec_lo
	v_cmpx_ne_u32_e32 0, v14
	s_cbranch_execz .LBB4_981
; %bb.976:                              ;   in Loop: Header=BB4_918 Depth=2
	v_bfe_u32 v10, v14, 23, 8
	v_and_b32_e32 v71, 0x7fffff, v14
	s_delay_alu instid0(VALU_DEP_2) | instskip(SKIP_1) | instid1(VALU_DEP_3)
	v_sub_nc_u32_e32 v112, 0x70, v10
	v_cmp_gt_u32_e64 s11, 0x71, v10
	v_or_b32_e32 v113, 0x800000, v71
	s_delay_alu instid0(VALU_DEP_2) | instskip(SKIP_2) | instid1(VALU_DEP_2)
	v_cndmask_b32_e64 v112, 0, v112, s11
	v_cmp_eq_u32_e64 s11, 0, v10
	v_add_nc_u32_e32 v10, 0xffffff91, v10
	v_cndmask_b32_e64 v112, v112, 0x6f, s11
	v_cndmask_b32_e64 v71, v113, v71, s11
	s_delay_alu instid0(VALU_DEP_3) | instskip(NEXT) | instid1(VALU_DEP_3)
	v_cndmask_b32_e64 v10, v10, 0xffffff92, s11
	v_lshl_add_u32 v113, 0x200000, v112, -1
	s_delay_alu instid0(VALU_DEP_3) | instskip(SKIP_1) | instid1(VALU_DEP_4)
	v_lshrrev_b32_e32 v114, v112, v71
	v_lshlrev_b32_e64 v116, v112, 0x100000
	v_add_nc_u32_e32 v112, v112, v10
	s_delay_alu instid0(VALU_DEP_4) | instskip(NEXT) | instid1(VALU_DEP_4)
	v_and_b32_e32 v71, v113, v71
	v_bfe_u32 v115, v114, 21, 1
	s_delay_alu instid0(VALU_DEP_2) | instskip(NEXT) | instid1(VALU_DEP_2)
	v_cmp_eq_u32_e64 s12, v71, v116
	v_add_nc_u32_e32 v113, -1, v115
	s_delay_alu instid0(VALU_DEP_1) | instskip(SKIP_2) | instid1(VALU_DEP_2)
	v_cndmask_b32_e64 v71, 0, v113, s12
	v_lshrrev_b32_e32 v113, 23, v114
	s_mov_b32 s12, exec_lo
	v_add_nc_u32_e32 v71, v71, v114
	s_delay_alu instid0(VALU_DEP_2) | instskip(NEXT) | instid1(VALU_DEP_2)
	v_xor_b32_e32 v113, 1, v113
	v_and_b32_e32 v10, 0x1fffff, v71
	s_delay_alu instid0(VALU_DEP_1) | instskip(NEXT) | instid1(VALU_DEP_3)
	v_add_nc_u32_e32 v71, v10, v114
                                        ; implicit-def: $vgpr10
	v_cmpx_ne_u32_e64 v112, v113
	s_xor_b32 s12, exec_lo, s12
; %bb.977:                              ;   in Loop: Header=BB4_918 Depth=2
	s_delay_alu instid0(VALU_DEP_2) | instskip(SKIP_1) | instid1(VALU_DEP_2)
	v_cmp_lt_u32_e64 s11, 0xffffff, v71
	v_sub_nc_u32_e32 v10, v112, v113
	v_cndmask_b32_e64 v112, 0, 1, s11
	s_delay_alu instid0(VALU_DEP_2) | instskip(NEXT) | instid1(VALU_DEP_2)
	v_add_co_ci_u32_e64 v10, s11, 0, v10, s11
	v_lshrrev_b32_e32 v71, v112, v71
; %bb.978:                              ;   in Loop: Header=BB4_918 Depth=2
	s_and_not1_saveexec_b32 s11, s12
; %bb.979:                              ;   in Loop: Header=BB4_918 Depth=2
	s_delay_alu instid0(VALU_DEP_1)
	v_bfe_u32 v10, v71, 23, 1
; %bb.980:                              ;   in Loop: Header=BB4_918 Depth=2
	s_or_b32 exec_lo, exec_lo, s11
	v_lshrrev_b32_e32 v71, 21, v71
	s_delay_alu instid0(VALU_DEP_2) | instskip(SKIP_2) | instid1(VALU_DEP_3)
	v_cmp_gt_i32_e64 s11, 32, v10
	v_lshrrev_b32_e32 v14, 24, v14
	v_min_i32_e32 v112, 31, v10
	v_cndmask_b32_e64 v71, 3, v71, s11
	s_delay_alu instid0(VALU_DEP_3) | instskip(NEXT) | instid1(VALU_DEP_3)
	v_and_b32_e32 v14, 0x80, v14
	v_lshlrev_b32_e32 v112, 2, v112
	s_delay_alu instid0(VALU_DEP_3) | instskip(SKIP_1) | instid1(VALU_DEP_2)
	v_and_b32_e32 v113, 3, v71
	v_or_b32_e32 v10, v10, v71
	v_or3_b32 v14, v112, v14, v113
	s_delay_alu instid0(VALU_DEP_2) | instskip(NEXT) | instid1(VALU_DEP_1)
	v_cmp_ne_u32_e64 s11, 0, v10
	v_cndmask_b32_e64 v10, 0, v14, s11
.LBB4_981:                              ;   in Loop: Header=BB4_918 Depth=2
	s_or_b32 exec_lo, exec_lo, s27
.LBB4_982:                              ;   in Loop: Header=BB4_918 Depth=2
	s_delay_alu instid0(SALU_CYCLE_1) | instskip(SKIP_3) | instid1(VALU_DEP_1)
	s_or_b32 exec_lo, exec_lo, s26
	v_and_b32_e32 v71, 0xff, v15
	s_mov_b32 s12, 0
	s_mov_b32 s27, exec_lo
                                        ; implicit-def: $sgpr26
	v_cmpx_lt_i16_e32 0x7f, v71
	s_xor_b32 s27, exec_lo, s27
	s_cbranch_execnz .LBB4_1204
; %bb.983:                              ;   in Loop: Header=BB4_918 Depth=2
	s_or_saveexec_b32 s27, s27
	v_mov_b32_e32 v14, s26
	s_xor_b32 exec_lo, exec_lo, s27
	s_cbranch_execnz .LBB4_1207
.LBB4_984:                              ;   in Loop: Header=BB4_918 Depth=2
	s_or_b32 exec_lo, exec_lo, s27
	s_and_saveexec_b32 s26, s12
	s_cbranch_execz .LBB4_986
.LBB4_985:                              ;   in Loop: Header=BB4_918 Depth=2
	v_and_b32_e32 v14, 3, v15
	v_bfe_u32 v113, v15, 2, 5
	v_lshlrev_b32_e32 v114, 24, v15
	s_delay_alu instid0(VALU_DEP_3) | instskip(NEXT) | instid1(VALU_DEP_3)
	v_clz_i32_u32_e32 v71, v14
	v_cmp_eq_u32_e64 s11, 0, v113
	s_delay_alu instid0(VALU_DEP_2) | instskip(NEXT) | instid1(VALU_DEP_1)
	v_min_u32_e32 v71, 32, v71
	v_subrev_nc_u32_e32 v112, 29, v71
	v_sub_nc_u32_e32 v71, 30, v71
	s_delay_alu instid0(VALU_DEP_2) | instskip(NEXT) | instid1(VALU_DEP_2)
	v_lshlrev_b32_e32 v112, v112, v15
	v_cndmask_b32_e64 v71, v113, v71, s11
	s_delay_alu instid0(VALU_DEP_2) | instskip(NEXT) | instid1(VALU_DEP_2)
	v_and_b32_e32 v112, 3, v112
	v_lshl_add_u32 v71, v71, 23, 0x37800000
	s_delay_alu instid0(VALU_DEP_2) | instskip(SKIP_1) | instid1(VALU_DEP_2)
	v_cndmask_b32_e64 v14, v14, v112, s11
	v_and_b32_e32 v112, 0x80000000, v114
	v_lshlrev_b32_e32 v14, 21, v14
	s_delay_alu instid0(VALU_DEP_1)
	v_or3_b32 v14, v112, v71, v14
.LBB4_986:                              ;   in Loop: Header=BB4_918 Depth=2
	s_or_b32 exec_lo, exec_lo, s26
	v_and_b32_e32 v112, 0xff, v11
	s_mov_b32 s12, 0
	s_mov_b32 s27, exec_lo
                                        ; implicit-def: $sgpr26
	s_delay_alu instid0(VALU_DEP_1)
	v_cmpx_lt_i16_e32 0x7f, v112
	s_xor_b32 s27, exec_lo, s27
	s_cbranch_execnz .LBB4_1208
; %bb.987:                              ;   in Loop: Header=BB4_918 Depth=2
	s_or_saveexec_b32 s27, s27
	v_mov_b32_e32 v71, s26
	s_xor_b32 exec_lo, exec_lo, s27
	s_cbranch_execnz .LBB4_1211
.LBB4_988:                              ;   in Loop: Header=BB4_918 Depth=2
	s_or_b32 exec_lo, exec_lo, s27
	s_and_saveexec_b32 s26, s12
	s_cbranch_execz .LBB4_990
.LBB4_989:                              ;   in Loop: Header=BB4_918 Depth=2
	v_and_b32_e32 v71, 3, v11
	v_bfe_u32 v114, v11, 2, 5
	v_lshlrev_b32_e32 v115, 24, v11
	s_delay_alu instid0(VALU_DEP_3) | instskip(NEXT) | instid1(VALU_DEP_3)
	v_clz_i32_u32_e32 v112, v71
	v_cmp_eq_u32_e64 s11, 0, v114
	s_delay_alu instid0(VALU_DEP_2) | instskip(NEXT) | instid1(VALU_DEP_1)
	v_min_u32_e32 v112, 32, v112
	v_subrev_nc_u32_e32 v113, 29, v112
	v_sub_nc_u32_e32 v112, 30, v112
	s_delay_alu instid0(VALU_DEP_2) | instskip(NEXT) | instid1(VALU_DEP_2)
	v_lshlrev_b32_e32 v113, v113, v11
	v_cndmask_b32_e64 v112, v114, v112, s11
	s_delay_alu instid0(VALU_DEP_2) | instskip(NEXT) | instid1(VALU_DEP_2)
	v_and_b32_e32 v113, 3, v113
	v_lshl_add_u32 v112, v112, 23, 0x37800000
	s_delay_alu instid0(VALU_DEP_2) | instskip(SKIP_1) | instid1(VALU_DEP_2)
	v_cndmask_b32_e64 v71, v71, v113, s11
	v_and_b32_e32 v113, 0x80000000, v115
	v_lshlrev_b32_e32 v71, 21, v71
	s_delay_alu instid0(VALU_DEP_1)
	v_or3_b32 v71, v113, v112, v71
.LBB4_990:                              ;   in Loop: Header=BB4_918 Depth=2
	s_or_b32 exec_lo, exec_lo, s26
	s_delay_alu instid0(VALU_DEP_1) | instskip(NEXT) | instid1(VALU_DEP_1)
	v_mul_f32_e32 v71, v14, v71
	v_and_b32_e32 v14, 0x7f800000, v71
	s_delay_alu instid0(VALU_DEP_1) | instskip(SKIP_1) | instid1(VALU_DEP_2)
	v_cmp_ne_u32_e64 s11, 0x7f800000, v14
	v_mov_b32_e32 v14, 0x80
	s_and_saveexec_b32 s26, s11
	s_cbranch_execz .LBB4_998
; %bb.991:                              ;   in Loop: Header=BB4_918 Depth=2
	v_mov_b32_e32 v14, 0
	s_mov_b32 s27, exec_lo
	v_cmpx_ne_u32_e32 0, v71
	s_cbranch_execz .LBB4_997
; %bb.992:                              ;   in Loop: Header=BB4_918 Depth=2
	v_bfe_u32 v14, v71, 23, 8
	v_and_b32_e32 v112, 0x7fffff, v71
	s_delay_alu instid0(VALU_DEP_2) | instskip(SKIP_1) | instid1(VALU_DEP_3)
	v_sub_nc_u32_e32 v113, 0x70, v14
	v_cmp_gt_u32_e64 s11, 0x71, v14
	v_or_b32_e32 v114, 0x800000, v112
	s_delay_alu instid0(VALU_DEP_2) | instskip(SKIP_2) | instid1(VALU_DEP_2)
	v_cndmask_b32_e64 v113, 0, v113, s11
	v_cmp_eq_u32_e64 s11, 0, v14
	v_add_nc_u32_e32 v14, 0xffffff91, v14
	v_cndmask_b32_e64 v113, v113, 0x6f, s11
	v_cndmask_b32_e64 v112, v114, v112, s11
	s_delay_alu instid0(VALU_DEP_3) | instskip(NEXT) | instid1(VALU_DEP_3)
	v_cndmask_b32_e64 v14, v14, 0xffffff92, s11
	v_lshl_add_u32 v114, 0x200000, v113, -1
	s_delay_alu instid0(VALU_DEP_3) | instskip(SKIP_1) | instid1(VALU_DEP_4)
	v_lshrrev_b32_e32 v115, v113, v112
	v_lshlrev_b32_e64 v117, v113, 0x100000
	v_add_nc_u32_e32 v113, v113, v14
	s_delay_alu instid0(VALU_DEP_4) | instskip(NEXT) | instid1(VALU_DEP_4)
	v_and_b32_e32 v112, v114, v112
	v_bfe_u32 v116, v115, 21, 1
	s_delay_alu instid0(VALU_DEP_2) | instskip(NEXT) | instid1(VALU_DEP_2)
	v_cmp_eq_u32_e64 s12, v112, v117
	v_add_nc_u32_e32 v114, -1, v116
	s_delay_alu instid0(VALU_DEP_1) | instskip(SKIP_2) | instid1(VALU_DEP_2)
	v_cndmask_b32_e64 v112, 0, v114, s12
	v_lshrrev_b32_e32 v114, 23, v115
	s_mov_b32 s12, exec_lo
	v_add_nc_u32_e32 v112, v112, v115
	s_delay_alu instid0(VALU_DEP_2) | instskip(NEXT) | instid1(VALU_DEP_2)
	v_xor_b32_e32 v114, 1, v114
	v_and_b32_e32 v14, 0x1fffff, v112
	s_delay_alu instid0(VALU_DEP_1) | instskip(NEXT) | instid1(VALU_DEP_3)
	v_add_nc_u32_e32 v112, v14, v115
                                        ; implicit-def: $vgpr14
	v_cmpx_ne_u32_e64 v113, v114
	s_xor_b32 s12, exec_lo, s12
; %bb.993:                              ;   in Loop: Header=BB4_918 Depth=2
	s_delay_alu instid0(VALU_DEP_2) | instskip(SKIP_1) | instid1(VALU_DEP_2)
	v_cmp_lt_u32_e64 s11, 0xffffff, v112
	v_sub_nc_u32_e32 v14, v113, v114
	v_cndmask_b32_e64 v113, 0, 1, s11
	s_delay_alu instid0(VALU_DEP_2) | instskip(NEXT) | instid1(VALU_DEP_2)
	v_add_co_ci_u32_e64 v14, s11, 0, v14, s11
	v_lshrrev_b32_e32 v112, v113, v112
; %bb.994:                              ;   in Loop: Header=BB4_918 Depth=2
	s_and_not1_saveexec_b32 s11, s12
; %bb.995:                              ;   in Loop: Header=BB4_918 Depth=2
	s_delay_alu instid0(VALU_DEP_1)
	v_bfe_u32 v14, v112, 23, 1
; %bb.996:                              ;   in Loop: Header=BB4_918 Depth=2
	s_or_b32 exec_lo, exec_lo, s11
	v_lshrrev_b32_e32 v112, 21, v112
	s_delay_alu instid0(VALU_DEP_2) | instskip(SKIP_2) | instid1(VALU_DEP_3)
	v_cmp_gt_i32_e64 s11, 32, v14
	v_lshrrev_b32_e32 v71, 24, v71
	v_min_i32_e32 v113, 31, v14
	v_cndmask_b32_e64 v112, 3, v112, s11
	s_delay_alu instid0(VALU_DEP_3) | instskip(NEXT) | instid1(VALU_DEP_3)
	v_and_b32_e32 v71, 0x80, v71
	v_lshlrev_b32_e32 v113, 2, v113
	s_delay_alu instid0(VALU_DEP_3) | instskip(SKIP_1) | instid1(VALU_DEP_2)
	v_and_b32_e32 v114, 3, v112
	v_or_b32_e32 v14, v14, v112
	v_or3_b32 v71, v113, v71, v114
	s_delay_alu instid0(VALU_DEP_2) | instskip(NEXT) | instid1(VALU_DEP_1)
	v_cmp_ne_u32_e64 s11, 0, v14
	v_cndmask_b32_e64 v14, 0, v71, s11
.LBB4_997:                              ;   in Loop: Header=BB4_918 Depth=2
	s_or_b32 exec_lo, exec_lo, s27
.LBB4_998:                              ;   in Loop: Header=BB4_918 Depth=2
	s_delay_alu instid0(SALU_CYCLE_1) | instskip(SKIP_3) | instid1(VALU_DEP_1)
	s_or_b32 exec_lo, exec_lo, s26
	v_lshrrev_b16 v112, 8, v15
	s_mov_b32 s12, 0
	s_mov_b32 s27, exec_lo
                                        ; implicit-def: $sgpr26
	v_cmpx_lt_i16_e32 0x7f, v112
	s_xor_b32 s27, exec_lo, s27
	s_cbranch_execnz .LBB4_1212
; %bb.999:                              ;   in Loop: Header=BB4_918 Depth=2
	s_or_saveexec_b32 s27, s27
	v_mov_b32_e32 v71, s26
	s_xor_b32 exec_lo, exec_lo, s27
	s_cbranch_execnz .LBB4_1215
.LBB4_1000:                             ;   in Loop: Header=BB4_918 Depth=2
	s_or_b32 exec_lo, exec_lo, s27
	s_and_saveexec_b32 s26, s12
	s_cbranch_execz .LBB4_1002
.LBB4_1001:                             ;   in Loop: Header=BB4_918 Depth=2
	v_and_b32_e32 v71, 0xffff, v112
	v_lshlrev_b32_e32 v112, 24, v112
	s_delay_alu instid0(VALU_DEP_2) | instskip(NEXT) | instid1(VALU_DEP_2)
	v_and_b32_e32 v113, 3, v71
	v_and_b32_e32 v112, 0x80000000, v112
	s_delay_alu instid0(VALU_DEP_2) | instskip(NEXT) | instid1(VALU_DEP_1)
	v_clz_i32_u32_e32 v114, v113
	v_min_u32_e32 v114, 32, v114
	s_delay_alu instid0(VALU_DEP_1) | instskip(SKIP_1) | instid1(VALU_DEP_2)
	v_subrev_nc_u32_e32 v115, 29, v114
	v_sub_nc_u32_e32 v114, 30, v114
	v_lshlrev_b32_e32 v115, v115, v71
	v_bfe_u32 v71, v71, 2, 5
	s_delay_alu instid0(VALU_DEP_2) | instskip(NEXT) | instid1(VALU_DEP_2)
	v_and_b32_e32 v115, 3, v115
	v_cmp_eq_u32_e64 s11, 0, v71
	s_delay_alu instid0(VALU_DEP_1) | instskip(NEXT) | instid1(VALU_DEP_3)
	v_cndmask_b32_e64 v71, v71, v114, s11
	v_cndmask_b32_e64 v113, v113, v115, s11
	s_delay_alu instid0(VALU_DEP_2) | instskip(NEXT) | instid1(VALU_DEP_2)
	v_lshl_add_u32 v71, v71, 23, 0x37800000
	v_lshlrev_b32_e32 v113, 21, v113
	s_delay_alu instid0(VALU_DEP_1)
	v_or3_b32 v71, v112, v71, v113
.LBB4_1002:                             ;   in Loop: Header=BB4_918 Depth=2
	s_or_b32 exec_lo, exec_lo, s26
	v_lshrrev_b16 v112, 8, v11
	s_mov_b32 s12, 0
	s_mov_b32 s27, exec_lo
                                        ; implicit-def: $sgpr26
	s_delay_alu instid0(VALU_DEP_1)
	v_cmpx_lt_i16_e32 0x7f, v112
	s_xor_b32 s27, exec_lo, s27
	s_cbranch_execnz .LBB4_1216
; %bb.1003:                             ;   in Loop: Header=BB4_918 Depth=2
	s_or_saveexec_b32 s27, s27
	v_mov_b32_e32 v113, s26
	s_xor_b32 exec_lo, exec_lo, s27
	s_cbranch_execnz .LBB4_1219
.LBB4_1004:                             ;   in Loop: Header=BB4_918 Depth=2
	s_or_b32 exec_lo, exec_lo, s27
	s_and_saveexec_b32 s26, s12
	s_cbranch_execz .LBB4_1006
.LBB4_1005:                             ;   in Loop: Header=BB4_918 Depth=2
	v_and_b32_e32 v113, 0xffff, v112
	v_lshlrev_b32_e32 v112, 24, v112
	s_delay_alu instid0(VALU_DEP_2) | instskip(NEXT) | instid1(VALU_DEP_2)
	v_and_b32_e32 v114, 3, v113
	v_and_b32_e32 v112, 0x80000000, v112
	s_delay_alu instid0(VALU_DEP_2) | instskip(NEXT) | instid1(VALU_DEP_1)
	v_clz_i32_u32_e32 v115, v114
	v_min_u32_e32 v115, 32, v115
	s_delay_alu instid0(VALU_DEP_1) | instskip(SKIP_1) | instid1(VALU_DEP_2)
	v_subrev_nc_u32_e32 v116, 29, v115
	v_sub_nc_u32_e32 v115, 30, v115
	v_lshlrev_b32_e32 v116, v116, v113
	v_bfe_u32 v113, v113, 2, 5
	s_delay_alu instid0(VALU_DEP_2) | instskip(NEXT) | instid1(VALU_DEP_2)
	v_and_b32_e32 v116, 3, v116
	v_cmp_eq_u32_e64 s11, 0, v113
	s_delay_alu instid0(VALU_DEP_1) | instskip(NEXT) | instid1(VALU_DEP_3)
	v_cndmask_b32_e64 v113, v113, v115, s11
	v_cndmask_b32_e64 v114, v114, v116, s11
	s_delay_alu instid0(VALU_DEP_2) | instskip(NEXT) | instid1(VALU_DEP_2)
	v_lshl_add_u32 v113, v113, 23, 0x37800000
	v_lshlrev_b32_e32 v114, 21, v114
	s_delay_alu instid0(VALU_DEP_1)
	v_or3_b32 v113, v112, v113, v114
.LBB4_1006:                             ;   in Loop: Header=BB4_918 Depth=2
	s_or_b32 exec_lo, exec_lo, s26
	s_delay_alu instid0(VALU_DEP_1) | instskip(NEXT) | instid1(VALU_DEP_1)
	v_mul_f32_e32 v112, v71, v113
	v_and_b32_e32 v71, 0x7f800000, v112
	s_delay_alu instid0(VALU_DEP_1) | instskip(SKIP_1) | instid1(VALU_DEP_2)
	v_cmp_ne_u32_e64 s11, 0x7f800000, v71
	v_mov_b32_e32 v71, 0x8000
	s_and_saveexec_b32 s26, s11
	s_cbranch_execz .LBB4_1014
; %bb.1007:                             ;   in Loop: Header=BB4_918 Depth=2
	v_mov_b32_e32 v71, 0
	s_mov_b32 s27, exec_lo
	v_cmpx_ne_u32_e32 0, v112
	s_cbranch_execz .LBB4_1013
; %bb.1008:                             ;   in Loop: Header=BB4_918 Depth=2
	v_bfe_u32 v71, v112, 23, 8
	v_and_b32_e32 v113, 0x7fffff, v112
	s_delay_alu instid0(VALU_DEP_2) | instskip(SKIP_1) | instid1(VALU_DEP_3)
	v_sub_nc_u32_e32 v114, 0x70, v71
	v_cmp_gt_u32_e64 s11, 0x71, v71
	v_or_b32_e32 v115, 0x800000, v113
	s_delay_alu instid0(VALU_DEP_2) | instskip(SKIP_2) | instid1(VALU_DEP_2)
	v_cndmask_b32_e64 v114, 0, v114, s11
	v_cmp_eq_u32_e64 s11, 0, v71
	v_add_nc_u32_e32 v71, 0xffffff91, v71
	v_cndmask_b32_e64 v114, v114, 0x6f, s11
	v_cndmask_b32_e64 v113, v115, v113, s11
	s_delay_alu instid0(VALU_DEP_3) | instskip(NEXT) | instid1(VALU_DEP_3)
	v_cndmask_b32_e64 v71, v71, 0xffffff92, s11
	v_lshl_add_u32 v115, 0x200000, v114, -1
	s_delay_alu instid0(VALU_DEP_3) | instskip(SKIP_1) | instid1(VALU_DEP_4)
	v_lshrrev_b32_e32 v116, v114, v113
	v_lshlrev_b32_e64 v118, v114, 0x100000
	v_add_nc_u32_e32 v114, v114, v71
	s_delay_alu instid0(VALU_DEP_4) | instskip(NEXT) | instid1(VALU_DEP_4)
	v_and_b32_e32 v113, v115, v113
	v_bfe_u32 v117, v116, 21, 1
	s_delay_alu instid0(VALU_DEP_2) | instskip(NEXT) | instid1(VALU_DEP_2)
	v_cmp_eq_u32_e64 s12, v113, v118
	v_add_nc_u32_e32 v115, -1, v117
	s_delay_alu instid0(VALU_DEP_1) | instskip(SKIP_2) | instid1(VALU_DEP_2)
	v_cndmask_b32_e64 v113, 0, v115, s12
	v_lshrrev_b32_e32 v115, 23, v116
	s_mov_b32 s12, exec_lo
	v_add_nc_u32_e32 v113, v113, v116
	s_delay_alu instid0(VALU_DEP_2) | instskip(NEXT) | instid1(VALU_DEP_2)
	v_xor_b32_e32 v115, 1, v115
	v_and_b32_e32 v71, 0x1fffff, v113
	s_delay_alu instid0(VALU_DEP_1) | instskip(NEXT) | instid1(VALU_DEP_3)
	v_add_nc_u32_e32 v113, v71, v116
                                        ; implicit-def: $vgpr71
	v_cmpx_ne_u32_e64 v114, v115
	s_xor_b32 s12, exec_lo, s12
; %bb.1009:                             ;   in Loop: Header=BB4_918 Depth=2
	s_delay_alu instid0(VALU_DEP_2) | instskip(SKIP_1) | instid1(VALU_DEP_2)
	v_cmp_lt_u32_e64 s11, 0xffffff, v113
	v_sub_nc_u32_e32 v71, v114, v115
	v_cndmask_b32_e64 v114, 0, 1, s11
	s_delay_alu instid0(VALU_DEP_2) | instskip(NEXT) | instid1(VALU_DEP_2)
	v_add_co_ci_u32_e64 v71, s11, 0, v71, s11
	v_lshrrev_b32_e32 v113, v114, v113
; %bb.1010:                             ;   in Loop: Header=BB4_918 Depth=2
	s_and_not1_saveexec_b32 s11, s12
; %bb.1011:                             ;   in Loop: Header=BB4_918 Depth=2
	s_delay_alu instid0(VALU_DEP_1)
	v_bfe_u32 v71, v113, 23, 1
; %bb.1012:                             ;   in Loop: Header=BB4_918 Depth=2
	s_or_b32 exec_lo, exec_lo, s11
	v_lshrrev_b32_e32 v113, 21, v113
	s_delay_alu instid0(VALU_DEP_2) | instskip(SKIP_2) | instid1(VALU_DEP_3)
	v_min_i32_e32 v114, 31, v71
	v_cmp_gt_i32_e64 s11, 32, v71
	v_lshrrev_b32_e32 v112, 24, v112
	v_lshlrev_b32_e32 v114, 2, v114
	s_delay_alu instid0(VALU_DEP_3) | instskip(NEXT) | instid1(VALU_DEP_3)
	v_cndmask_b32_e64 v113, 3, v113, s11
	v_and_b32_e32 v112, 0x80, v112
	s_delay_alu instid0(VALU_DEP_3) | instskip(NEXT) | instid1(VALU_DEP_3)
	v_and_b32_e32 v114, 0xfc, v114
	v_and_b32_e32 v115, 3, v113
	v_or_b32_e32 v71, v71, v113
	s_delay_alu instid0(VALU_DEP_2) | instskip(NEXT) | instid1(VALU_DEP_2)
	v_or3_b32 v112, v112, v114, v115
	v_cmp_ne_u32_e64 s11, 0, v71
	s_delay_alu instid0(VALU_DEP_2) | instskip(NEXT) | instid1(VALU_DEP_1)
	v_lshlrev_b32_e32 v112, 8, v112
	v_cndmask_b32_e64 v71, 0, v112, s11
.LBB4_1013:                             ;   in Loop: Header=BB4_918 Depth=2
	s_or_b32 exec_lo, exec_lo, s27
.LBB4_1014:                             ;   in Loop: Header=BB4_918 Depth=2
	s_delay_alu instid0(SALU_CYCLE_1) | instskip(SKIP_3) | instid1(VALU_DEP_1)
	s_or_b32 exec_lo, exec_lo, s26
	v_lshrrev_b32_e32 v113, 16, v15
	s_mov_b32 s12, 0
	s_mov_b32 s27, exec_lo
                                        ; implicit-def: $sgpr26
	v_and_b32_e32 v114, 0xff, v113
	s_delay_alu instid0(VALU_DEP_1)
	v_cmpx_lt_i16_e32 0x7f, v114
	s_xor_b32 s27, exec_lo, s27
	s_cbranch_execnz .LBB4_1220
; %bb.1015:                             ;   in Loop: Header=BB4_918 Depth=2
	s_or_saveexec_b32 s27, s27
	v_mov_b32_e32 v112, s26
	s_xor_b32 exec_lo, exec_lo, s27
	s_cbranch_execnz .LBB4_1223
.LBB4_1016:                             ;   in Loop: Header=BB4_918 Depth=2
	s_or_b32 exec_lo, exec_lo, s27
	s_and_saveexec_b32 s26, s12
	s_cbranch_execz .LBB4_1018
.LBB4_1017:                             ;   in Loop: Header=BB4_918 Depth=2
	v_bfe_u32 v112, v15, 16, 2
	v_lshlrev_b32_e32 v116, 8, v15
	s_delay_alu instid0(VALU_DEP_2) | instskip(NEXT) | instid1(VALU_DEP_1)
	v_clz_i32_u32_e32 v114, v112
	v_min_u32_e32 v114, 32, v114
	s_delay_alu instid0(VALU_DEP_1) | instskip(SKIP_1) | instid1(VALU_DEP_2)
	v_subrev_nc_u32_e32 v115, 29, v114
	v_sub_nc_u32_e32 v114, 30, v114
	v_lshlrev_b32_e32 v113, v115, v113
	v_bfe_u32 v115, v15, 18, 5
	s_delay_alu instid0(VALU_DEP_2) | instskip(NEXT) | instid1(VALU_DEP_2)
	v_and_b32_e32 v113, 3, v113
	v_cmp_eq_u32_e64 s11, 0, v115
	s_delay_alu instid0(VALU_DEP_1) | instskip(NEXT) | instid1(VALU_DEP_3)
	v_cndmask_b32_e64 v114, v115, v114, s11
	v_cndmask_b32_e64 v112, v112, v113, s11
	v_and_b32_e32 v113, 0x80000000, v116
	s_delay_alu instid0(VALU_DEP_3) | instskip(NEXT) | instid1(VALU_DEP_3)
	v_lshl_add_u32 v114, v114, 23, 0x37800000
	v_lshlrev_b32_e32 v112, 21, v112
	s_delay_alu instid0(VALU_DEP_1)
	v_or3_b32 v112, v113, v114, v112
.LBB4_1018:                             ;   in Loop: Header=BB4_918 Depth=2
	s_or_b32 exec_lo, exec_lo, s26
	v_lshrrev_b32_e32 v113, 16, v11
	s_mov_b32 s12, 0
	s_mov_b32 s27, exec_lo
                                        ; implicit-def: $sgpr26
	s_delay_alu instid0(VALU_DEP_1) | instskip(NEXT) | instid1(VALU_DEP_1)
	v_and_b32_e32 v115, 0xff, v113
	v_cmpx_lt_i16_e32 0x7f, v115
	s_xor_b32 s27, exec_lo, s27
	s_cbranch_execnz .LBB4_1224
; %bb.1019:                             ;   in Loop: Header=BB4_918 Depth=2
	s_or_saveexec_b32 s27, s27
	v_mov_b32_e32 v114, s26
	s_xor_b32 exec_lo, exec_lo, s27
	s_cbranch_execnz .LBB4_1227
.LBB4_1020:                             ;   in Loop: Header=BB4_918 Depth=2
	s_or_b32 exec_lo, exec_lo, s27
	s_and_saveexec_b32 s26, s12
	s_cbranch_execz .LBB4_1022
.LBB4_1021:                             ;   in Loop: Header=BB4_918 Depth=2
	v_bfe_u32 v114, v11, 16, 2
	v_lshlrev_b32_e32 v117, 8, v11
	s_delay_alu instid0(VALU_DEP_2) | instskip(NEXT) | instid1(VALU_DEP_1)
	v_clz_i32_u32_e32 v115, v114
	v_min_u32_e32 v115, 32, v115
	s_delay_alu instid0(VALU_DEP_1) | instskip(SKIP_1) | instid1(VALU_DEP_2)
	v_subrev_nc_u32_e32 v116, 29, v115
	v_sub_nc_u32_e32 v115, 30, v115
	v_lshlrev_b32_e32 v113, v116, v113
	v_bfe_u32 v116, v11, 18, 5
	s_delay_alu instid0(VALU_DEP_2) | instskip(NEXT) | instid1(VALU_DEP_2)
	v_and_b32_e32 v113, 3, v113
	v_cmp_eq_u32_e64 s11, 0, v116
	s_delay_alu instid0(VALU_DEP_1) | instskip(NEXT) | instid1(VALU_DEP_3)
	v_cndmask_b32_e64 v115, v116, v115, s11
	v_cndmask_b32_e64 v113, v114, v113, s11
	v_and_b32_e32 v114, 0x80000000, v117
	s_delay_alu instid0(VALU_DEP_3) | instskip(NEXT) | instid1(VALU_DEP_3)
	v_lshl_add_u32 v115, v115, 23, 0x37800000
	v_lshlrev_b32_e32 v113, 21, v113
	s_delay_alu instid0(VALU_DEP_1)
	v_or3_b32 v114, v114, v115, v113
.LBB4_1022:                             ;   in Loop: Header=BB4_918 Depth=2
	s_or_b32 exec_lo, exec_lo, s26
	s_delay_alu instid0(VALU_DEP_1) | instskip(NEXT) | instid1(VALU_DEP_1)
	v_mul_f32_e32 v113, v112, v114
	v_and_b32_e32 v112, 0x7f800000, v113
	s_delay_alu instid0(VALU_DEP_1) | instskip(SKIP_1) | instid1(VALU_DEP_2)
	v_cmp_ne_u32_e64 s11, 0x7f800000, v112
	v_mov_b32_e32 v112, 0x80
	s_and_saveexec_b32 s26, s11
	s_cbranch_execz .LBB4_1030
; %bb.1023:                             ;   in Loop: Header=BB4_918 Depth=2
	v_mov_b32_e32 v112, 0
	s_mov_b32 s27, exec_lo
	v_cmpx_ne_u32_e32 0, v113
	s_cbranch_execz .LBB4_1029
; %bb.1024:                             ;   in Loop: Header=BB4_918 Depth=2
	v_bfe_u32 v112, v113, 23, 8
	v_and_b32_e32 v114, 0x7fffff, v113
	s_delay_alu instid0(VALU_DEP_2) | instskip(SKIP_1) | instid1(VALU_DEP_3)
	v_sub_nc_u32_e32 v115, 0x70, v112
	v_cmp_gt_u32_e64 s11, 0x71, v112
	v_or_b32_e32 v116, 0x800000, v114
	s_delay_alu instid0(VALU_DEP_2) | instskip(SKIP_2) | instid1(VALU_DEP_2)
	v_cndmask_b32_e64 v115, 0, v115, s11
	v_cmp_eq_u32_e64 s11, 0, v112
	v_add_nc_u32_e32 v112, 0xffffff91, v112
	v_cndmask_b32_e64 v115, v115, 0x6f, s11
	v_cndmask_b32_e64 v114, v116, v114, s11
	s_delay_alu instid0(VALU_DEP_3) | instskip(NEXT) | instid1(VALU_DEP_3)
	v_cndmask_b32_e64 v112, v112, 0xffffff92, s11
	v_lshl_add_u32 v116, 0x200000, v115, -1
	s_delay_alu instid0(VALU_DEP_3) | instskip(SKIP_1) | instid1(VALU_DEP_4)
	v_lshrrev_b32_e32 v117, v115, v114
	v_lshlrev_b32_e64 v119, v115, 0x100000
	v_add_nc_u32_e32 v115, v115, v112
	s_delay_alu instid0(VALU_DEP_4) | instskip(NEXT) | instid1(VALU_DEP_4)
	v_and_b32_e32 v114, v116, v114
	v_bfe_u32 v118, v117, 21, 1
	s_delay_alu instid0(VALU_DEP_2) | instskip(NEXT) | instid1(VALU_DEP_2)
	v_cmp_eq_u32_e64 s12, v114, v119
	v_add_nc_u32_e32 v116, -1, v118
	s_delay_alu instid0(VALU_DEP_1) | instskip(SKIP_2) | instid1(VALU_DEP_2)
	v_cndmask_b32_e64 v114, 0, v116, s12
	v_lshrrev_b32_e32 v116, 23, v117
	s_mov_b32 s12, exec_lo
	v_add_nc_u32_e32 v114, v114, v117
	s_delay_alu instid0(VALU_DEP_2) | instskip(NEXT) | instid1(VALU_DEP_2)
	v_xor_b32_e32 v116, 1, v116
	v_and_b32_e32 v112, 0x1fffff, v114
	s_delay_alu instid0(VALU_DEP_1) | instskip(NEXT) | instid1(VALU_DEP_3)
	v_add_nc_u32_e32 v114, v112, v117
                                        ; implicit-def: $vgpr112
	v_cmpx_ne_u32_e64 v115, v116
	s_xor_b32 s12, exec_lo, s12
; %bb.1025:                             ;   in Loop: Header=BB4_918 Depth=2
	s_delay_alu instid0(VALU_DEP_2) | instskip(SKIP_1) | instid1(VALU_DEP_2)
	v_cmp_lt_u32_e64 s11, 0xffffff, v114
	v_sub_nc_u32_e32 v112, v115, v116
	v_cndmask_b32_e64 v115, 0, 1, s11
	s_delay_alu instid0(VALU_DEP_2) | instskip(NEXT) | instid1(VALU_DEP_2)
	v_add_co_ci_u32_e64 v112, s11, 0, v112, s11
	v_lshrrev_b32_e32 v114, v115, v114
; %bb.1026:                             ;   in Loop: Header=BB4_918 Depth=2
	s_and_not1_saveexec_b32 s11, s12
; %bb.1027:                             ;   in Loop: Header=BB4_918 Depth=2
	s_delay_alu instid0(VALU_DEP_1)
	v_bfe_u32 v112, v114, 23, 1
; %bb.1028:                             ;   in Loop: Header=BB4_918 Depth=2
	s_or_b32 exec_lo, exec_lo, s11
	v_lshrrev_b32_e32 v114, 21, v114
	s_delay_alu instid0(VALU_DEP_2) | instskip(SKIP_2) | instid1(VALU_DEP_3)
	v_min_i32_e32 v115, 31, v112
	v_cmp_gt_i32_e64 s11, 32, v112
	v_lshrrev_b32_e32 v113, 24, v113
	v_lshlrev_b32_e32 v115, 2, v115
	s_delay_alu instid0(VALU_DEP_3) | instskip(NEXT) | instid1(VALU_DEP_3)
	v_cndmask_b32_e64 v114, 3, v114, s11
	v_and_b32_e32 v113, 0x80, v113
	s_delay_alu instid0(VALU_DEP_3) | instskip(NEXT) | instid1(VALU_DEP_3)
	v_and_b32_e32 v115, 0xfc, v115
	v_and_b32_e32 v116, 3, v114
	v_or_b32_e32 v112, v112, v114
	s_delay_alu instid0(VALU_DEP_2) | instskip(NEXT) | instid1(VALU_DEP_2)
	v_or3_b32 v113, v115, v113, v116
	v_cmp_ne_u32_e64 s11, 0, v112
	s_delay_alu instid0(VALU_DEP_1)
	v_cndmask_b32_e64 v112, 0, v113, s11
.LBB4_1029:                             ;   in Loop: Header=BB4_918 Depth=2
	s_or_b32 exec_lo, exec_lo, s27
.LBB4_1030:                             ;   in Loop: Header=BB4_918 Depth=2
	s_delay_alu instid0(SALU_CYCLE_1) | instskip(SKIP_3) | instid1(VALU_DEP_1)
	s_or_b32 exec_lo, exec_lo, s26
	v_lshrrev_b32_e32 v114, 24, v15
	s_mov_b32 s12, 0
	s_mov_b32 s27, exec_lo
                                        ; implicit-def: $sgpr26
	v_cmpx_lt_i16_e32 0x7f, v114
	s_xor_b32 s27, exec_lo, s27
	s_cbranch_execnz .LBB4_1228
; %bb.1031:                             ;   in Loop: Header=BB4_918 Depth=2
	s_or_saveexec_b32 s27, s27
	v_mov_b32_e32 v113, s26
	s_xor_b32 exec_lo, exec_lo, s27
	s_cbranch_execnz .LBB4_1231
.LBB4_1032:                             ;   in Loop: Header=BB4_918 Depth=2
	s_or_b32 exec_lo, exec_lo, s27
	s_and_saveexec_b32 s26, s12
	s_cbranch_execz .LBB4_1034
.LBB4_1033:                             ;   in Loop: Header=BB4_918 Depth=2
	v_bfe_u32 v113, v15, 24, 2
	s_delay_alu instid0(VALU_DEP_1) | instskip(NEXT) | instid1(VALU_DEP_1)
	v_clz_i32_u32_e32 v115, v113
	v_min_u32_e32 v115, 32, v115
	s_delay_alu instid0(VALU_DEP_1) | instskip(SKIP_1) | instid1(VALU_DEP_2)
	v_subrev_nc_u32_e32 v116, 29, v115
	v_sub_nc_u32_e32 v115, 30, v115
	v_lshlrev_b32_e32 v114, v116, v114
	v_bfe_u32 v116, v15, 26, 5
	v_and_b32_e32 v15, 0x80000000, v15
	s_delay_alu instid0(VALU_DEP_3) | instskip(NEXT) | instid1(VALU_DEP_3)
	v_and_b32_e32 v114, 3, v114
	v_cmp_eq_u32_e64 s11, 0, v116
	s_delay_alu instid0(VALU_DEP_1) | instskip(NEXT) | instid1(VALU_DEP_3)
	v_cndmask_b32_e64 v115, v116, v115, s11
	v_cndmask_b32_e64 v113, v113, v114, s11
	s_delay_alu instid0(VALU_DEP_2) | instskip(NEXT) | instid1(VALU_DEP_2)
	v_lshl_add_u32 v114, v115, 23, 0x37800000
	v_lshlrev_b32_e32 v113, 21, v113
	s_delay_alu instid0(VALU_DEP_1)
	v_or3_b32 v113, v15, v114, v113
.LBB4_1034:                             ;   in Loop: Header=BB4_918 Depth=2
	s_or_b32 exec_lo, exec_lo, s26
	v_lshrrev_b32_e32 v15, 24, v11
	s_mov_b32 s12, 0
	s_mov_b32 s27, exec_lo
                                        ; implicit-def: $sgpr26
	s_delay_alu instid0(VALU_DEP_1)
	v_cmpx_lt_i16_e32 0x7f, v15
	s_xor_b32 s27, exec_lo, s27
	s_cbranch_execnz .LBB4_1232
; %bb.1035:                             ;   in Loop: Header=BB4_918 Depth=2
	s_or_saveexec_b32 s27, s27
	v_mov_b32_e32 v114, s26
	s_xor_b32 exec_lo, exec_lo, s27
	s_cbranch_execnz .LBB4_1235
.LBB4_1036:                             ;   in Loop: Header=BB4_918 Depth=2
	s_or_b32 exec_lo, exec_lo, s27
	s_and_saveexec_b32 s26, s12
	s_cbranch_execz .LBB4_1038
.LBB4_1037:                             ;   in Loop: Header=BB4_918 Depth=2
	v_bfe_u32 v114, v11, 24, 2
	s_delay_alu instid0(VALU_DEP_1) | instskip(NEXT) | instid1(VALU_DEP_1)
	v_clz_i32_u32_e32 v115, v114
	v_min_u32_e32 v115, 32, v115
	s_delay_alu instid0(VALU_DEP_1) | instskip(SKIP_1) | instid1(VALU_DEP_2)
	v_subrev_nc_u32_e32 v116, 29, v115
	v_sub_nc_u32_e32 v115, 30, v115
	v_lshlrev_b32_e32 v15, v116, v15
	v_bfe_u32 v116, v11, 26, 5
	v_and_b32_e32 v11, 0x80000000, v11
	s_delay_alu instid0(VALU_DEP_3) | instskip(NEXT) | instid1(VALU_DEP_3)
	v_and_b32_e32 v15, 3, v15
	v_cmp_eq_u32_e64 s11, 0, v116
	s_delay_alu instid0(VALU_DEP_1) | instskip(NEXT) | instid1(VALU_DEP_3)
	v_cndmask_b32_e64 v115, v116, v115, s11
	v_cndmask_b32_e64 v15, v114, v15, s11
	s_delay_alu instid0(VALU_DEP_2) | instskip(NEXT) | instid1(VALU_DEP_2)
	v_lshl_add_u32 v114, v115, 23, 0x37800000
	v_lshlrev_b32_e32 v15, 21, v15
	s_delay_alu instid0(VALU_DEP_1)
	v_or3_b32 v114, v11, v114, v15
.LBB4_1038:                             ;   in Loop: Header=BB4_918 Depth=2
	s_or_b32 exec_lo, exec_lo, s26
	s_delay_alu instid0(VALU_DEP_1) | instskip(NEXT) | instid1(VALU_DEP_1)
	v_mul_f32_e32 v15, v113, v114
	v_and_b32_e32 v11, 0x7f800000, v15
	s_delay_alu instid0(VALU_DEP_1) | instskip(SKIP_1) | instid1(VALU_DEP_2)
	v_cmp_ne_u32_e64 s11, 0x7f800000, v11
	v_mov_b32_e32 v11, 0x8000
	s_and_saveexec_b32 s26, s11
	s_cbranch_execz .LBB4_1046
; %bb.1039:                             ;   in Loop: Header=BB4_918 Depth=2
	v_mov_b32_e32 v11, 0
	s_mov_b32 s27, exec_lo
	v_cmpx_ne_u32_e32 0, v15
	s_cbranch_execz .LBB4_1045
; %bb.1040:                             ;   in Loop: Header=BB4_918 Depth=2
	v_bfe_u32 v11, v15, 23, 8
	v_and_b32_e32 v113, 0x7fffff, v15
	s_delay_alu instid0(VALU_DEP_2) | instskip(SKIP_1) | instid1(VALU_DEP_3)
	v_sub_nc_u32_e32 v114, 0x70, v11
	v_cmp_gt_u32_e64 s11, 0x71, v11
	v_or_b32_e32 v115, 0x800000, v113
	s_delay_alu instid0(VALU_DEP_2) | instskip(SKIP_2) | instid1(VALU_DEP_2)
	v_cndmask_b32_e64 v114, 0, v114, s11
	v_cmp_eq_u32_e64 s11, 0, v11
	v_add_nc_u32_e32 v11, 0xffffff91, v11
	v_cndmask_b32_e64 v114, v114, 0x6f, s11
	v_cndmask_b32_e64 v113, v115, v113, s11
	s_delay_alu instid0(VALU_DEP_3) | instskip(NEXT) | instid1(VALU_DEP_3)
	v_cndmask_b32_e64 v11, v11, 0xffffff92, s11
	v_lshl_add_u32 v115, 0x200000, v114, -1
	s_delay_alu instid0(VALU_DEP_3) | instskip(SKIP_1) | instid1(VALU_DEP_4)
	v_lshrrev_b32_e32 v116, v114, v113
	v_lshlrev_b32_e64 v118, v114, 0x100000
	v_add_nc_u32_e32 v114, v114, v11
	s_delay_alu instid0(VALU_DEP_4) | instskip(NEXT) | instid1(VALU_DEP_4)
	v_and_b32_e32 v113, v115, v113
	v_bfe_u32 v117, v116, 21, 1
	s_delay_alu instid0(VALU_DEP_2) | instskip(NEXT) | instid1(VALU_DEP_2)
	v_cmp_eq_u32_e64 s12, v113, v118
	v_add_nc_u32_e32 v115, -1, v117
	s_delay_alu instid0(VALU_DEP_1) | instskip(SKIP_2) | instid1(VALU_DEP_2)
	v_cndmask_b32_e64 v113, 0, v115, s12
	v_lshrrev_b32_e32 v115, 23, v116
	s_mov_b32 s12, exec_lo
	v_add_nc_u32_e32 v113, v113, v116
	s_delay_alu instid0(VALU_DEP_2) | instskip(NEXT) | instid1(VALU_DEP_2)
	v_xor_b32_e32 v115, 1, v115
	v_and_b32_e32 v11, 0x1fffff, v113
	s_delay_alu instid0(VALU_DEP_1) | instskip(NEXT) | instid1(VALU_DEP_3)
	v_add_nc_u32_e32 v113, v11, v116
                                        ; implicit-def: $vgpr11
	v_cmpx_ne_u32_e64 v114, v115
	s_xor_b32 s12, exec_lo, s12
; %bb.1041:                             ;   in Loop: Header=BB4_918 Depth=2
	s_delay_alu instid0(VALU_DEP_2) | instskip(SKIP_1) | instid1(VALU_DEP_2)
	v_cmp_lt_u32_e64 s11, 0xffffff, v113
	v_sub_nc_u32_e32 v11, v114, v115
	v_cndmask_b32_e64 v114, 0, 1, s11
	s_delay_alu instid0(VALU_DEP_2) | instskip(NEXT) | instid1(VALU_DEP_2)
	v_add_co_ci_u32_e64 v11, s11, 0, v11, s11
	v_lshrrev_b32_e32 v113, v114, v113
; %bb.1042:                             ;   in Loop: Header=BB4_918 Depth=2
	s_and_not1_saveexec_b32 s11, s12
; %bb.1043:                             ;   in Loop: Header=BB4_918 Depth=2
	s_delay_alu instid0(VALU_DEP_1)
	v_bfe_u32 v11, v113, 23, 1
; %bb.1044:                             ;   in Loop: Header=BB4_918 Depth=2
	s_or_b32 exec_lo, exec_lo, s11
	v_lshrrev_b32_e32 v113, 21, v113
	s_delay_alu instid0(VALU_DEP_2) | instskip(SKIP_2) | instid1(VALU_DEP_3)
	v_min_i32_e32 v114, 31, v11
	v_cmp_gt_i32_e64 s11, 32, v11
	v_lshrrev_b32_e32 v15, 24, v15
	v_lshlrev_b32_e32 v114, 2, v114
	s_delay_alu instid0(VALU_DEP_3) | instskip(NEXT) | instid1(VALU_DEP_3)
	v_cndmask_b32_e64 v113, 3, v113, s11
	v_and_b32_e32 v15, 0x80, v15
	s_delay_alu instid0(VALU_DEP_3) | instskip(NEXT) | instid1(VALU_DEP_3)
	v_and_b32_e32 v114, 0xfc, v114
	v_and_b32_e32 v115, 3, v113
	v_or_b32_e32 v11, v11, v113
	s_delay_alu instid0(VALU_DEP_2) | instskip(NEXT) | instid1(VALU_DEP_2)
	v_or3_b32 v15, v15, v114, v115
	v_cmp_ne_u32_e64 s11, 0, v11
	s_delay_alu instid0(VALU_DEP_2) | instskip(NEXT) | instid1(VALU_DEP_1)
	v_lshlrev_b32_e32 v15, 8, v15
	v_cndmask_b32_e64 v11, 0, v15, s11
.LBB4_1045:                             ;   in Loop: Header=BB4_918 Depth=2
	s_or_b32 exec_lo, exec_lo, s27
.LBB4_1046:                             ;   in Loop: Header=BB4_918 Depth=2
	s_delay_alu instid0(SALU_CYCLE_1) | instskip(SKIP_3) | instid1(VALU_DEP_1)
	s_or_b32 exec_lo, exec_lo, s26
	v_and_b32_e32 v113, 0xff, v16
	s_mov_b32 s12, 0
	s_mov_b32 s27, exec_lo
                                        ; implicit-def: $sgpr26
	v_cmpx_lt_i16_e32 0x7f, v113
	s_xor_b32 s27, exec_lo, s27
	s_cbranch_execnz .LBB4_1236
; %bb.1047:                             ;   in Loop: Header=BB4_918 Depth=2
	s_or_saveexec_b32 s27, s27
	v_mov_b32_e32 v15, s26
	s_xor_b32 exec_lo, exec_lo, s27
	s_cbranch_execnz .LBB4_1239
.LBB4_1048:                             ;   in Loop: Header=BB4_918 Depth=2
	s_or_b32 exec_lo, exec_lo, s27
	s_and_saveexec_b32 s26, s12
	s_cbranch_execz .LBB4_1050
.LBB4_1049:                             ;   in Loop: Header=BB4_918 Depth=2
	v_and_b32_e32 v15, 3, v16
	v_bfe_u32 v115, v16, 2, 5
	v_lshlrev_b32_e32 v116, 24, v16
	s_delay_alu instid0(VALU_DEP_3) | instskip(NEXT) | instid1(VALU_DEP_3)
	v_clz_i32_u32_e32 v113, v15
	v_cmp_eq_u32_e64 s11, 0, v115
	s_delay_alu instid0(VALU_DEP_2) | instskip(NEXT) | instid1(VALU_DEP_1)
	v_min_u32_e32 v113, 32, v113
	v_subrev_nc_u32_e32 v114, 29, v113
	v_sub_nc_u32_e32 v113, 30, v113
	s_delay_alu instid0(VALU_DEP_2) | instskip(NEXT) | instid1(VALU_DEP_2)
	v_lshlrev_b32_e32 v114, v114, v16
	v_cndmask_b32_e64 v113, v115, v113, s11
	s_delay_alu instid0(VALU_DEP_2) | instskip(NEXT) | instid1(VALU_DEP_2)
	v_and_b32_e32 v114, 3, v114
	v_lshl_add_u32 v113, v113, 23, 0x37800000
	s_delay_alu instid0(VALU_DEP_2) | instskip(SKIP_1) | instid1(VALU_DEP_2)
	v_cndmask_b32_e64 v15, v15, v114, s11
	v_and_b32_e32 v114, 0x80000000, v116
	v_lshlrev_b32_e32 v15, 21, v15
	s_delay_alu instid0(VALU_DEP_1)
	v_or3_b32 v15, v114, v113, v15
.LBB4_1050:                             ;   in Loop: Header=BB4_918 Depth=2
	s_or_b32 exec_lo, exec_lo, s26
	v_and_b32_e32 v114, 0xff, v12
	s_mov_b32 s12, 0
	s_mov_b32 s27, exec_lo
                                        ; implicit-def: $sgpr26
	s_delay_alu instid0(VALU_DEP_1)
	v_cmpx_lt_i16_e32 0x7f, v114
	s_xor_b32 s27, exec_lo, s27
	s_cbranch_execnz .LBB4_1240
; %bb.1051:                             ;   in Loop: Header=BB4_918 Depth=2
	s_or_saveexec_b32 s27, s27
	v_mov_b32_e32 v113, s26
	s_xor_b32 exec_lo, exec_lo, s27
	s_cbranch_execnz .LBB4_1243
.LBB4_1052:                             ;   in Loop: Header=BB4_918 Depth=2
	s_or_b32 exec_lo, exec_lo, s27
	s_and_saveexec_b32 s26, s12
	s_cbranch_execz .LBB4_1054
.LBB4_1053:                             ;   in Loop: Header=BB4_918 Depth=2
	v_and_b32_e32 v113, 3, v12
	v_bfe_u32 v116, v12, 2, 5
	v_lshlrev_b32_e32 v117, 24, v12
	s_delay_alu instid0(VALU_DEP_3) | instskip(NEXT) | instid1(VALU_DEP_3)
	v_clz_i32_u32_e32 v114, v113
	v_cmp_eq_u32_e64 s11, 0, v116
	s_delay_alu instid0(VALU_DEP_2) | instskip(NEXT) | instid1(VALU_DEP_1)
	v_min_u32_e32 v114, 32, v114
	v_subrev_nc_u32_e32 v115, 29, v114
	v_sub_nc_u32_e32 v114, 30, v114
	s_delay_alu instid0(VALU_DEP_2) | instskip(NEXT) | instid1(VALU_DEP_2)
	v_lshlrev_b32_e32 v115, v115, v12
	v_cndmask_b32_e64 v114, v116, v114, s11
	s_delay_alu instid0(VALU_DEP_2) | instskip(NEXT) | instid1(VALU_DEP_2)
	v_and_b32_e32 v115, 3, v115
	v_lshl_add_u32 v114, v114, 23, 0x37800000
	s_delay_alu instid0(VALU_DEP_2) | instskip(SKIP_1) | instid1(VALU_DEP_2)
	v_cndmask_b32_e64 v113, v113, v115, s11
	v_and_b32_e32 v115, 0x80000000, v117
	v_lshlrev_b32_e32 v113, 21, v113
	s_delay_alu instid0(VALU_DEP_1)
	v_or3_b32 v113, v115, v114, v113
.LBB4_1054:                             ;   in Loop: Header=BB4_918 Depth=2
	s_or_b32 exec_lo, exec_lo, s26
	s_delay_alu instid0(VALU_DEP_1) | instskip(NEXT) | instid1(VALU_DEP_1)
	v_mul_f32_e32 v113, v15, v113
	v_and_b32_e32 v15, 0x7f800000, v113
	s_delay_alu instid0(VALU_DEP_1) | instskip(SKIP_1) | instid1(VALU_DEP_2)
	v_cmp_ne_u32_e64 s11, 0x7f800000, v15
	v_mov_b32_e32 v15, 0x80
	s_and_saveexec_b32 s26, s11
	s_cbranch_execz .LBB4_1062
; %bb.1055:                             ;   in Loop: Header=BB4_918 Depth=2
	v_mov_b32_e32 v15, 0
	s_mov_b32 s27, exec_lo
	v_cmpx_ne_u32_e32 0, v113
	s_cbranch_execz .LBB4_1061
; %bb.1056:                             ;   in Loop: Header=BB4_918 Depth=2
	v_bfe_u32 v15, v113, 23, 8
	v_and_b32_e32 v114, 0x7fffff, v113
	s_delay_alu instid0(VALU_DEP_2) | instskip(SKIP_1) | instid1(VALU_DEP_3)
	v_sub_nc_u32_e32 v115, 0x70, v15
	v_cmp_gt_u32_e64 s11, 0x71, v15
	v_or_b32_e32 v116, 0x800000, v114
	s_delay_alu instid0(VALU_DEP_2) | instskip(SKIP_2) | instid1(VALU_DEP_2)
	v_cndmask_b32_e64 v115, 0, v115, s11
	v_cmp_eq_u32_e64 s11, 0, v15
	v_add_nc_u32_e32 v15, 0xffffff91, v15
	v_cndmask_b32_e64 v115, v115, 0x6f, s11
	v_cndmask_b32_e64 v114, v116, v114, s11
	s_delay_alu instid0(VALU_DEP_3) | instskip(NEXT) | instid1(VALU_DEP_3)
	v_cndmask_b32_e64 v15, v15, 0xffffff92, s11
	v_lshl_add_u32 v116, 0x200000, v115, -1
	s_delay_alu instid0(VALU_DEP_3) | instskip(SKIP_1) | instid1(VALU_DEP_4)
	v_lshrrev_b32_e32 v117, v115, v114
	v_lshlrev_b32_e64 v119, v115, 0x100000
	v_add_nc_u32_e32 v115, v115, v15
	s_delay_alu instid0(VALU_DEP_4) | instskip(NEXT) | instid1(VALU_DEP_4)
	v_and_b32_e32 v114, v116, v114
	v_bfe_u32 v118, v117, 21, 1
	s_delay_alu instid0(VALU_DEP_2) | instskip(NEXT) | instid1(VALU_DEP_2)
	v_cmp_eq_u32_e64 s12, v114, v119
	v_add_nc_u32_e32 v116, -1, v118
	s_delay_alu instid0(VALU_DEP_1) | instskip(SKIP_2) | instid1(VALU_DEP_2)
	v_cndmask_b32_e64 v114, 0, v116, s12
	v_lshrrev_b32_e32 v116, 23, v117
	s_mov_b32 s12, exec_lo
	v_add_nc_u32_e32 v114, v114, v117
	s_delay_alu instid0(VALU_DEP_2) | instskip(NEXT) | instid1(VALU_DEP_2)
	v_xor_b32_e32 v116, 1, v116
	v_and_b32_e32 v15, 0x1fffff, v114
	s_delay_alu instid0(VALU_DEP_1) | instskip(NEXT) | instid1(VALU_DEP_3)
	v_add_nc_u32_e32 v114, v15, v117
                                        ; implicit-def: $vgpr15
	v_cmpx_ne_u32_e64 v115, v116
	s_xor_b32 s12, exec_lo, s12
; %bb.1057:                             ;   in Loop: Header=BB4_918 Depth=2
	s_delay_alu instid0(VALU_DEP_2) | instskip(SKIP_1) | instid1(VALU_DEP_2)
	v_cmp_lt_u32_e64 s11, 0xffffff, v114
	v_sub_nc_u32_e32 v15, v115, v116
	v_cndmask_b32_e64 v115, 0, 1, s11
	s_delay_alu instid0(VALU_DEP_2) | instskip(NEXT) | instid1(VALU_DEP_2)
	v_add_co_ci_u32_e64 v15, s11, 0, v15, s11
	v_lshrrev_b32_e32 v114, v115, v114
; %bb.1058:                             ;   in Loop: Header=BB4_918 Depth=2
	s_and_not1_saveexec_b32 s11, s12
; %bb.1059:                             ;   in Loop: Header=BB4_918 Depth=2
	s_delay_alu instid0(VALU_DEP_1)
	v_bfe_u32 v15, v114, 23, 1
; %bb.1060:                             ;   in Loop: Header=BB4_918 Depth=2
	s_or_b32 exec_lo, exec_lo, s11
	v_lshrrev_b32_e32 v114, 21, v114
	s_delay_alu instid0(VALU_DEP_2) | instskip(SKIP_2) | instid1(VALU_DEP_3)
	v_cmp_gt_i32_e64 s11, 32, v15
	v_lshrrev_b32_e32 v113, 24, v113
	v_min_i32_e32 v115, 31, v15
	v_cndmask_b32_e64 v114, 3, v114, s11
	s_delay_alu instid0(VALU_DEP_3) | instskip(NEXT) | instid1(VALU_DEP_3)
	v_and_b32_e32 v113, 0x80, v113
	v_lshlrev_b32_e32 v115, 2, v115
	s_delay_alu instid0(VALU_DEP_3) | instskip(SKIP_1) | instid1(VALU_DEP_2)
	v_and_b32_e32 v116, 3, v114
	v_or_b32_e32 v15, v15, v114
	v_or3_b32 v113, v115, v113, v116
	s_delay_alu instid0(VALU_DEP_2) | instskip(NEXT) | instid1(VALU_DEP_1)
	v_cmp_ne_u32_e64 s11, 0, v15
	v_cndmask_b32_e64 v15, 0, v113, s11
.LBB4_1061:                             ;   in Loop: Header=BB4_918 Depth=2
	s_or_b32 exec_lo, exec_lo, s27
.LBB4_1062:                             ;   in Loop: Header=BB4_918 Depth=2
	s_delay_alu instid0(SALU_CYCLE_1) | instskip(SKIP_3) | instid1(VALU_DEP_1)
	s_or_b32 exec_lo, exec_lo, s26
	v_lshrrev_b16 v114, 8, v16
	s_mov_b32 s12, 0
	s_mov_b32 s27, exec_lo
                                        ; implicit-def: $sgpr26
	v_cmpx_lt_i16_e32 0x7f, v114
	s_xor_b32 s27, exec_lo, s27
	s_cbranch_execnz .LBB4_1244
; %bb.1063:                             ;   in Loop: Header=BB4_918 Depth=2
	s_or_saveexec_b32 s27, s27
	v_mov_b32_e32 v113, s26
	s_xor_b32 exec_lo, exec_lo, s27
	s_cbranch_execnz .LBB4_1247
.LBB4_1064:                             ;   in Loop: Header=BB4_918 Depth=2
	s_or_b32 exec_lo, exec_lo, s27
	s_and_saveexec_b32 s26, s12
	s_cbranch_execz .LBB4_1066
.LBB4_1065:                             ;   in Loop: Header=BB4_918 Depth=2
	v_and_b32_e32 v113, 0xffff, v114
	v_lshlrev_b32_e32 v114, 24, v114
	s_delay_alu instid0(VALU_DEP_2) | instskip(NEXT) | instid1(VALU_DEP_2)
	v_and_b32_e32 v115, 3, v113
	v_and_b32_e32 v114, 0x80000000, v114
	s_delay_alu instid0(VALU_DEP_2) | instskip(NEXT) | instid1(VALU_DEP_1)
	v_clz_i32_u32_e32 v116, v115
	v_min_u32_e32 v116, 32, v116
	s_delay_alu instid0(VALU_DEP_1) | instskip(SKIP_1) | instid1(VALU_DEP_2)
	v_subrev_nc_u32_e32 v117, 29, v116
	v_sub_nc_u32_e32 v116, 30, v116
	v_lshlrev_b32_e32 v117, v117, v113
	v_bfe_u32 v113, v113, 2, 5
	s_delay_alu instid0(VALU_DEP_2) | instskip(NEXT) | instid1(VALU_DEP_2)
	v_and_b32_e32 v117, 3, v117
	v_cmp_eq_u32_e64 s11, 0, v113
	s_delay_alu instid0(VALU_DEP_1) | instskip(NEXT) | instid1(VALU_DEP_3)
	v_cndmask_b32_e64 v113, v113, v116, s11
	v_cndmask_b32_e64 v115, v115, v117, s11
	s_delay_alu instid0(VALU_DEP_2) | instskip(NEXT) | instid1(VALU_DEP_2)
	v_lshl_add_u32 v113, v113, 23, 0x37800000
	v_lshlrev_b32_e32 v115, 21, v115
	s_delay_alu instid0(VALU_DEP_1)
	v_or3_b32 v113, v114, v113, v115
.LBB4_1066:                             ;   in Loop: Header=BB4_918 Depth=2
	s_or_b32 exec_lo, exec_lo, s26
	v_lshrrev_b16 v114, 8, v12
	s_mov_b32 s12, 0
	s_mov_b32 s27, exec_lo
                                        ; implicit-def: $sgpr26
	s_delay_alu instid0(VALU_DEP_1)
	v_cmpx_lt_i16_e32 0x7f, v114
	s_xor_b32 s27, exec_lo, s27
	s_cbranch_execnz .LBB4_1248
; %bb.1067:                             ;   in Loop: Header=BB4_918 Depth=2
	s_or_saveexec_b32 s27, s27
	v_mov_b32_e32 v115, s26
	s_xor_b32 exec_lo, exec_lo, s27
	s_cbranch_execnz .LBB4_1251
.LBB4_1068:                             ;   in Loop: Header=BB4_918 Depth=2
	s_or_b32 exec_lo, exec_lo, s27
	s_and_saveexec_b32 s26, s12
	s_cbranch_execz .LBB4_1070
.LBB4_1069:                             ;   in Loop: Header=BB4_918 Depth=2
	v_and_b32_e32 v115, 0xffff, v114
	v_lshlrev_b32_e32 v114, 24, v114
	s_delay_alu instid0(VALU_DEP_2) | instskip(NEXT) | instid1(VALU_DEP_2)
	v_and_b32_e32 v116, 3, v115
	v_and_b32_e32 v114, 0x80000000, v114
	s_delay_alu instid0(VALU_DEP_2) | instskip(NEXT) | instid1(VALU_DEP_1)
	v_clz_i32_u32_e32 v117, v116
	v_min_u32_e32 v117, 32, v117
	s_delay_alu instid0(VALU_DEP_1) | instskip(SKIP_1) | instid1(VALU_DEP_2)
	v_subrev_nc_u32_e32 v118, 29, v117
	v_sub_nc_u32_e32 v117, 30, v117
	v_lshlrev_b32_e32 v118, v118, v115
	v_bfe_u32 v115, v115, 2, 5
	s_delay_alu instid0(VALU_DEP_2) | instskip(NEXT) | instid1(VALU_DEP_2)
	v_and_b32_e32 v118, 3, v118
	v_cmp_eq_u32_e64 s11, 0, v115
	s_delay_alu instid0(VALU_DEP_1) | instskip(NEXT) | instid1(VALU_DEP_3)
	v_cndmask_b32_e64 v115, v115, v117, s11
	v_cndmask_b32_e64 v116, v116, v118, s11
	s_delay_alu instid0(VALU_DEP_2) | instskip(NEXT) | instid1(VALU_DEP_2)
	v_lshl_add_u32 v115, v115, 23, 0x37800000
	v_lshlrev_b32_e32 v116, 21, v116
	s_delay_alu instid0(VALU_DEP_1)
	v_or3_b32 v115, v114, v115, v116
.LBB4_1070:                             ;   in Loop: Header=BB4_918 Depth=2
	s_or_b32 exec_lo, exec_lo, s26
	s_delay_alu instid0(VALU_DEP_1) | instskip(NEXT) | instid1(VALU_DEP_1)
	v_mul_f32_e32 v114, v113, v115
	v_and_b32_e32 v113, 0x7f800000, v114
	s_delay_alu instid0(VALU_DEP_1) | instskip(SKIP_1) | instid1(VALU_DEP_2)
	v_cmp_ne_u32_e64 s11, 0x7f800000, v113
	v_mov_b32_e32 v113, 0x80
	s_and_saveexec_b32 s26, s11
	s_cbranch_execz .LBB4_1078
; %bb.1071:                             ;   in Loop: Header=BB4_918 Depth=2
	v_mov_b32_e32 v113, 0
	s_mov_b32 s27, exec_lo
	v_cmpx_ne_u32_e32 0, v114
	s_cbranch_execz .LBB4_1077
; %bb.1072:                             ;   in Loop: Header=BB4_918 Depth=2
	v_bfe_u32 v113, v114, 23, 8
	v_and_b32_e32 v115, 0x7fffff, v114
	s_delay_alu instid0(VALU_DEP_2) | instskip(SKIP_1) | instid1(VALU_DEP_3)
	v_sub_nc_u32_e32 v116, 0x70, v113
	v_cmp_gt_u32_e64 s11, 0x71, v113
	v_or_b32_e32 v117, 0x800000, v115
	s_delay_alu instid0(VALU_DEP_2) | instskip(SKIP_2) | instid1(VALU_DEP_2)
	v_cndmask_b32_e64 v116, 0, v116, s11
	v_cmp_eq_u32_e64 s11, 0, v113
	v_add_nc_u32_e32 v113, 0xffffff91, v113
	v_cndmask_b32_e64 v116, v116, 0x6f, s11
	v_cndmask_b32_e64 v115, v117, v115, s11
	s_delay_alu instid0(VALU_DEP_3) | instskip(NEXT) | instid1(VALU_DEP_3)
	v_cndmask_b32_e64 v113, v113, 0xffffff92, s11
	v_lshl_add_u32 v117, 0x200000, v116, -1
	s_delay_alu instid0(VALU_DEP_3) | instskip(SKIP_1) | instid1(VALU_DEP_4)
	v_lshrrev_b32_e32 v118, v116, v115
	v_lshlrev_b32_e64 v128, v116, 0x100000
	v_add_nc_u32_e32 v116, v116, v113
	s_delay_alu instid0(VALU_DEP_4) | instskip(NEXT) | instid1(VALU_DEP_4)
	v_and_b32_e32 v115, v117, v115
	v_bfe_u32 v119, v118, 21, 1
	s_delay_alu instid0(VALU_DEP_2) | instskip(NEXT) | instid1(VALU_DEP_2)
	v_cmp_eq_u32_e64 s12, v115, v128
	v_add_nc_u32_e32 v117, -1, v119
	s_delay_alu instid0(VALU_DEP_1) | instskip(SKIP_2) | instid1(VALU_DEP_2)
	v_cndmask_b32_e64 v115, 0, v117, s12
	v_lshrrev_b32_e32 v117, 23, v118
	s_mov_b32 s12, exec_lo
	v_add_nc_u32_e32 v115, v115, v118
	s_delay_alu instid0(VALU_DEP_2) | instskip(NEXT) | instid1(VALU_DEP_2)
	v_xor_b32_e32 v117, 1, v117
	v_and_b32_e32 v113, 0x1fffff, v115
	s_delay_alu instid0(VALU_DEP_1) | instskip(NEXT) | instid1(VALU_DEP_3)
	v_add_nc_u32_e32 v115, v113, v118
                                        ; implicit-def: $vgpr113
	v_cmpx_ne_u32_e64 v116, v117
	s_xor_b32 s12, exec_lo, s12
; %bb.1073:                             ;   in Loop: Header=BB4_918 Depth=2
	s_delay_alu instid0(VALU_DEP_2) | instskip(SKIP_1) | instid1(VALU_DEP_2)
	v_cmp_lt_u32_e64 s11, 0xffffff, v115
	v_sub_nc_u32_e32 v113, v116, v117
	v_cndmask_b32_e64 v116, 0, 1, s11
	s_delay_alu instid0(VALU_DEP_2) | instskip(NEXT) | instid1(VALU_DEP_2)
	v_add_co_ci_u32_e64 v113, s11, 0, v113, s11
	v_lshrrev_b32_e32 v115, v116, v115
; %bb.1074:                             ;   in Loop: Header=BB4_918 Depth=2
	s_and_not1_saveexec_b32 s11, s12
; %bb.1075:                             ;   in Loop: Header=BB4_918 Depth=2
	s_delay_alu instid0(VALU_DEP_1)
	v_bfe_u32 v113, v115, 23, 1
; %bb.1076:                             ;   in Loop: Header=BB4_918 Depth=2
	s_or_b32 exec_lo, exec_lo, s11
	v_lshrrev_b32_e32 v115, 21, v115
	s_delay_alu instid0(VALU_DEP_2) | instskip(SKIP_2) | instid1(VALU_DEP_3)
	v_cmp_gt_i32_e64 s11, 32, v113
	v_lshrrev_b32_e32 v114, 24, v114
	v_min_i32_e32 v116, 31, v113
	v_cndmask_b32_e64 v115, 3, v115, s11
	s_delay_alu instid0(VALU_DEP_3) | instskip(NEXT) | instid1(VALU_DEP_3)
	v_and_b32_e32 v114, 0x80, v114
	v_lshlrev_b32_e32 v116, 2, v116
	s_delay_alu instid0(VALU_DEP_3) | instskip(SKIP_1) | instid1(VALU_DEP_2)
	v_and_b32_e32 v117, 3, v115
	v_or_b32_e32 v113, v113, v115
	v_or3_b32 v114, v116, v114, v117
	s_delay_alu instid0(VALU_DEP_2) | instskip(NEXT) | instid1(VALU_DEP_1)
	v_cmp_ne_u32_e64 s11, 0, v113
	v_cndmask_b32_e64 v113, 0, v114, s11
.LBB4_1077:                             ;   in Loop: Header=BB4_918 Depth=2
	s_or_b32 exec_lo, exec_lo, s27
.LBB4_1078:                             ;   in Loop: Header=BB4_918 Depth=2
	s_delay_alu instid0(SALU_CYCLE_1) | instskip(SKIP_3) | instid1(VALU_DEP_1)
	s_or_b32 exec_lo, exec_lo, s26
	v_lshrrev_b32_e32 v115, 16, v16
	s_mov_b32 s12, 0
	s_mov_b32 s27, exec_lo
                                        ; implicit-def: $sgpr26
	v_and_b32_e32 v116, 0xff, v115
	s_delay_alu instid0(VALU_DEP_1)
	v_cmpx_lt_i16_e32 0x7f, v116
	s_xor_b32 s27, exec_lo, s27
	s_cbranch_execnz .LBB4_1252
; %bb.1079:                             ;   in Loop: Header=BB4_918 Depth=2
	s_or_saveexec_b32 s27, s27
	v_mov_b32_e32 v114, s26
	s_xor_b32 exec_lo, exec_lo, s27
	s_cbranch_execnz .LBB4_1255
.LBB4_1080:                             ;   in Loop: Header=BB4_918 Depth=2
	s_or_b32 exec_lo, exec_lo, s27
	s_and_saveexec_b32 s26, s12
	s_cbranch_execz .LBB4_1082
.LBB4_1081:                             ;   in Loop: Header=BB4_918 Depth=2
	v_bfe_u32 v114, v16, 16, 2
	v_lshlrev_b32_e32 v118, 8, v16
	s_delay_alu instid0(VALU_DEP_2) | instskip(NEXT) | instid1(VALU_DEP_1)
	v_clz_i32_u32_e32 v116, v114
	v_min_u32_e32 v116, 32, v116
	s_delay_alu instid0(VALU_DEP_1) | instskip(SKIP_1) | instid1(VALU_DEP_2)
	v_subrev_nc_u32_e32 v117, 29, v116
	v_sub_nc_u32_e32 v116, 30, v116
	v_lshlrev_b32_e32 v115, v117, v115
	v_bfe_u32 v117, v16, 18, 5
	s_delay_alu instid0(VALU_DEP_2) | instskip(NEXT) | instid1(VALU_DEP_2)
	v_and_b32_e32 v115, 3, v115
	v_cmp_eq_u32_e64 s11, 0, v117
	s_delay_alu instid0(VALU_DEP_1) | instskip(NEXT) | instid1(VALU_DEP_3)
	v_cndmask_b32_e64 v116, v117, v116, s11
	v_cndmask_b32_e64 v114, v114, v115, s11
	v_and_b32_e32 v115, 0x80000000, v118
	s_delay_alu instid0(VALU_DEP_3) | instskip(NEXT) | instid1(VALU_DEP_3)
	v_lshl_add_u32 v116, v116, 23, 0x37800000
	v_lshlrev_b32_e32 v114, 21, v114
	s_delay_alu instid0(VALU_DEP_1)
	v_or3_b32 v114, v115, v116, v114
.LBB4_1082:                             ;   in Loop: Header=BB4_918 Depth=2
	s_or_b32 exec_lo, exec_lo, s26
	v_lshrrev_b32_e32 v115, 16, v12
	s_mov_b32 s12, 0
	s_mov_b32 s27, exec_lo
                                        ; implicit-def: $sgpr26
	s_delay_alu instid0(VALU_DEP_1) | instskip(NEXT) | instid1(VALU_DEP_1)
	v_and_b32_e32 v117, 0xff, v115
	v_cmpx_lt_i16_e32 0x7f, v117
	s_xor_b32 s27, exec_lo, s27
	s_cbranch_execnz .LBB4_1256
; %bb.1083:                             ;   in Loop: Header=BB4_918 Depth=2
	s_or_saveexec_b32 s27, s27
	v_mov_b32_e32 v116, s26
	s_xor_b32 exec_lo, exec_lo, s27
	s_cbranch_execnz .LBB4_1259
.LBB4_1084:                             ;   in Loop: Header=BB4_918 Depth=2
	s_or_b32 exec_lo, exec_lo, s27
	s_and_saveexec_b32 s26, s12
	s_cbranch_execz .LBB4_1086
.LBB4_1085:                             ;   in Loop: Header=BB4_918 Depth=2
	v_bfe_u32 v116, v12, 16, 2
	v_lshlrev_b32_e32 v119, 8, v12
	s_delay_alu instid0(VALU_DEP_2) | instskip(NEXT) | instid1(VALU_DEP_1)
	v_clz_i32_u32_e32 v117, v116
	v_min_u32_e32 v117, 32, v117
	s_delay_alu instid0(VALU_DEP_1) | instskip(SKIP_1) | instid1(VALU_DEP_2)
	v_subrev_nc_u32_e32 v118, 29, v117
	v_sub_nc_u32_e32 v117, 30, v117
	v_lshlrev_b32_e32 v115, v118, v115
	v_bfe_u32 v118, v12, 18, 5
	s_delay_alu instid0(VALU_DEP_2) | instskip(NEXT) | instid1(VALU_DEP_2)
	v_and_b32_e32 v115, 3, v115
	v_cmp_eq_u32_e64 s11, 0, v118
	s_delay_alu instid0(VALU_DEP_1) | instskip(NEXT) | instid1(VALU_DEP_3)
	v_cndmask_b32_e64 v117, v118, v117, s11
	v_cndmask_b32_e64 v115, v116, v115, s11
	v_and_b32_e32 v116, 0x80000000, v119
	s_delay_alu instid0(VALU_DEP_3) | instskip(NEXT) | instid1(VALU_DEP_3)
	v_lshl_add_u32 v117, v117, 23, 0x37800000
	v_lshlrev_b32_e32 v115, 21, v115
	s_delay_alu instid0(VALU_DEP_1)
	v_or3_b32 v116, v116, v117, v115
.LBB4_1086:                             ;   in Loop: Header=BB4_918 Depth=2
	s_or_b32 exec_lo, exec_lo, s26
	s_delay_alu instid0(VALU_DEP_1) | instskip(NEXT) | instid1(VALU_DEP_1)
	v_mul_f32_e32 v115, v114, v116
	v_and_b32_e32 v114, 0x7f800000, v115
	s_delay_alu instid0(VALU_DEP_1) | instskip(SKIP_1) | instid1(VALU_DEP_2)
	v_cmp_ne_u32_e64 s11, 0x7f800000, v114
	v_mov_b32_e32 v114, 0x80
	s_and_saveexec_b32 s26, s11
	s_cbranch_execz .LBB4_1094
; %bb.1087:                             ;   in Loop: Header=BB4_918 Depth=2
	v_mov_b32_e32 v114, 0
	s_mov_b32 s27, exec_lo
	v_cmpx_ne_u32_e32 0, v115
	s_cbranch_execz .LBB4_1093
; %bb.1088:                             ;   in Loop: Header=BB4_918 Depth=2
	v_bfe_u32 v114, v115, 23, 8
	v_and_b32_e32 v116, 0x7fffff, v115
	s_delay_alu instid0(VALU_DEP_2) | instskip(SKIP_1) | instid1(VALU_DEP_3)
	v_sub_nc_u32_e32 v117, 0x70, v114
	v_cmp_gt_u32_e64 s11, 0x71, v114
	v_or_b32_e32 v118, 0x800000, v116
	s_delay_alu instid0(VALU_DEP_2) | instskip(SKIP_2) | instid1(VALU_DEP_2)
	v_cndmask_b32_e64 v117, 0, v117, s11
	v_cmp_eq_u32_e64 s11, 0, v114
	v_add_nc_u32_e32 v114, 0xffffff91, v114
	v_cndmask_b32_e64 v117, v117, 0x6f, s11
	v_cndmask_b32_e64 v116, v118, v116, s11
	s_delay_alu instid0(VALU_DEP_3) | instskip(NEXT) | instid1(VALU_DEP_3)
	v_cndmask_b32_e64 v114, v114, 0xffffff92, s11
	v_lshl_add_u32 v118, 0x200000, v117, -1
	s_delay_alu instid0(VALU_DEP_3) | instskip(SKIP_1) | instid1(VALU_DEP_4)
	v_lshrrev_b32_e32 v119, v117, v116
	v_lshlrev_b32_e64 v129, v117, 0x100000
	v_add_nc_u32_e32 v117, v117, v114
	s_delay_alu instid0(VALU_DEP_4) | instskip(NEXT) | instid1(VALU_DEP_4)
	v_and_b32_e32 v116, v118, v116
	v_bfe_u32 v128, v119, 21, 1
	s_delay_alu instid0(VALU_DEP_2) | instskip(NEXT) | instid1(VALU_DEP_2)
	v_cmp_eq_u32_e64 s12, v116, v129
	v_add_nc_u32_e32 v118, -1, v128
	s_delay_alu instid0(VALU_DEP_1) | instskip(SKIP_2) | instid1(VALU_DEP_2)
	v_cndmask_b32_e64 v116, 0, v118, s12
	v_lshrrev_b32_e32 v118, 23, v119
	s_mov_b32 s12, exec_lo
	v_add_nc_u32_e32 v116, v116, v119
	s_delay_alu instid0(VALU_DEP_2) | instskip(NEXT) | instid1(VALU_DEP_2)
	v_xor_b32_e32 v118, 1, v118
	v_and_b32_e32 v114, 0x1fffff, v116
	s_delay_alu instid0(VALU_DEP_1) | instskip(NEXT) | instid1(VALU_DEP_3)
	v_add_nc_u32_e32 v116, v114, v119
                                        ; implicit-def: $vgpr114
	v_cmpx_ne_u32_e64 v117, v118
	s_xor_b32 s12, exec_lo, s12
; %bb.1089:                             ;   in Loop: Header=BB4_918 Depth=2
	s_delay_alu instid0(VALU_DEP_2) | instskip(SKIP_1) | instid1(VALU_DEP_2)
	v_cmp_lt_u32_e64 s11, 0xffffff, v116
	v_sub_nc_u32_e32 v114, v117, v118
	v_cndmask_b32_e64 v117, 0, 1, s11
	s_delay_alu instid0(VALU_DEP_2) | instskip(NEXT) | instid1(VALU_DEP_2)
	v_add_co_ci_u32_e64 v114, s11, 0, v114, s11
	v_lshrrev_b32_e32 v116, v117, v116
; %bb.1090:                             ;   in Loop: Header=BB4_918 Depth=2
	s_and_not1_saveexec_b32 s11, s12
; %bb.1091:                             ;   in Loop: Header=BB4_918 Depth=2
	s_delay_alu instid0(VALU_DEP_1)
	v_bfe_u32 v114, v116, 23, 1
; %bb.1092:                             ;   in Loop: Header=BB4_918 Depth=2
	s_or_b32 exec_lo, exec_lo, s11
	v_lshrrev_b32_e32 v116, 21, v116
	s_delay_alu instid0(VALU_DEP_2) | instskip(SKIP_2) | instid1(VALU_DEP_3)
	v_cmp_gt_i32_e64 s11, 32, v114
	v_lshrrev_b32_e32 v115, 24, v115
	v_min_i32_e32 v117, 31, v114
	v_cndmask_b32_e64 v116, 3, v116, s11
	s_delay_alu instid0(VALU_DEP_3) | instskip(NEXT) | instid1(VALU_DEP_3)
	v_and_b32_e32 v115, 0x80, v115
	v_lshlrev_b32_e32 v117, 2, v117
	s_delay_alu instid0(VALU_DEP_3) | instskip(SKIP_1) | instid1(VALU_DEP_2)
	v_and_b32_e32 v118, 3, v116
	v_or_b32_e32 v114, v114, v116
	v_or3_b32 v115, v117, v115, v118
	s_delay_alu instid0(VALU_DEP_2) | instskip(NEXT) | instid1(VALU_DEP_1)
	v_cmp_ne_u32_e64 s11, 0, v114
	v_cndmask_b32_e64 v114, 0, v115, s11
.LBB4_1093:                             ;   in Loop: Header=BB4_918 Depth=2
	s_or_b32 exec_lo, exec_lo, s27
.LBB4_1094:                             ;   in Loop: Header=BB4_918 Depth=2
	s_delay_alu instid0(SALU_CYCLE_1) | instskip(SKIP_3) | instid1(VALU_DEP_1)
	s_or_b32 exec_lo, exec_lo, s26
	v_lshrrev_b32_e32 v116, 24, v16
	s_mov_b32 s12, 0
	s_mov_b32 s27, exec_lo
                                        ; implicit-def: $sgpr26
	v_cmpx_lt_i16_e32 0x7f, v116
	s_xor_b32 s27, exec_lo, s27
	s_cbranch_execnz .LBB4_1260
; %bb.1095:                             ;   in Loop: Header=BB4_918 Depth=2
	s_or_saveexec_b32 s27, s27
	v_mov_b32_e32 v115, s26
	s_xor_b32 exec_lo, exec_lo, s27
	s_cbranch_execnz .LBB4_1263
.LBB4_1096:                             ;   in Loop: Header=BB4_918 Depth=2
	s_or_b32 exec_lo, exec_lo, s27
	s_and_saveexec_b32 s26, s12
	s_cbranch_execz .LBB4_1098
.LBB4_1097:                             ;   in Loop: Header=BB4_918 Depth=2
	v_bfe_u32 v115, v16, 24, 2
	s_delay_alu instid0(VALU_DEP_1) | instskip(NEXT) | instid1(VALU_DEP_1)
	v_clz_i32_u32_e32 v117, v115
	v_min_u32_e32 v117, 32, v117
	s_delay_alu instid0(VALU_DEP_1) | instskip(SKIP_1) | instid1(VALU_DEP_2)
	v_subrev_nc_u32_e32 v118, 29, v117
	v_sub_nc_u32_e32 v117, 30, v117
	v_lshlrev_b32_e32 v116, v118, v116
	v_bfe_u32 v118, v16, 26, 5
	v_and_b32_e32 v16, 0x80000000, v16
	s_delay_alu instid0(VALU_DEP_3) | instskip(NEXT) | instid1(VALU_DEP_3)
	v_and_b32_e32 v116, 3, v116
	v_cmp_eq_u32_e64 s11, 0, v118
	s_delay_alu instid0(VALU_DEP_1) | instskip(NEXT) | instid1(VALU_DEP_3)
	v_cndmask_b32_e64 v117, v118, v117, s11
	v_cndmask_b32_e64 v115, v115, v116, s11
	s_delay_alu instid0(VALU_DEP_2) | instskip(NEXT) | instid1(VALU_DEP_2)
	v_lshl_add_u32 v116, v117, 23, 0x37800000
	v_lshlrev_b32_e32 v115, 21, v115
	s_delay_alu instid0(VALU_DEP_1)
	v_or3_b32 v115, v16, v116, v115
.LBB4_1098:                             ;   in Loop: Header=BB4_918 Depth=2
	s_or_b32 exec_lo, exec_lo, s26
	v_lshrrev_b32_e32 v16, 24, v12
	s_mov_b32 s12, 0
	s_mov_b32 s27, exec_lo
                                        ; implicit-def: $sgpr26
	s_delay_alu instid0(VALU_DEP_1)
	v_cmpx_lt_i16_e32 0x7f, v16
	s_xor_b32 s27, exec_lo, s27
	s_cbranch_execnz .LBB4_1264
; %bb.1099:                             ;   in Loop: Header=BB4_918 Depth=2
	s_or_saveexec_b32 s27, s27
	v_mov_b32_e32 v116, s26
	s_xor_b32 exec_lo, exec_lo, s27
	s_cbranch_execnz .LBB4_1267
.LBB4_1100:                             ;   in Loop: Header=BB4_918 Depth=2
	s_or_b32 exec_lo, exec_lo, s27
	s_and_saveexec_b32 s26, s12
	s_cbranch_execz .LBB4_1102
.LBB4_1101:                             ;   in Loop: Header=BB4_918 Depth=2
	v_bfe_u32 v116, v12, 24, 2
	s_delay_alu instid0(VALU_DEP_1) | instskip(NEXT) | instid1(VALU_DEP_1)
	v_clz_i32_u32_e32 v117, v116
	v_min_u32_e32 v117, 32, v117
	s_delay_alu instid0(VALU_DEP_1) | instskip(SKIP_1) | instid1(VALU_DEP_2)
	v_subrev_nc_u32_e32 v118, 29, v117
	v_sub_nc_u32_e32 v117, 30, v117
	v_lshlrev_b32_e32 v16, v118, v16
	v_bfe_u32 v118, v12, 26, 5
	v_and_b32_e32 v12, 0x80000000, v12
	s_delay_alu instid0(VALU_DEP_3) | instskip(NEXT) | instid1(VALU_DEP_3)
	v_and_b32_e32 v16, 3, v16
	v_cmp_eq_u32_e64 s11, 0, v118
	s_delay_alu instid0(VALU_DEP_1) | instskip(NEXT) | instid1(VALU_DEP_3)
	v_cndmask_b32_e64 v117, v118, v117, s11
	v_cndmask_b32_e64 v16, v116, v16, s11
	s_delay_alu instid0(VALU_DEP_2) | instskip(NEXT) | instid1(VALU_DEP_2)
	v_lshl_add_u32 v116, v117, 23, 0x37800000
	v_lshlrev_b32_e32 v16, 21, v16
	s_delay_alu instid0(VALU_DEP_1)
	v_or3_b32 v116, v12, v116, v16
.LBB4_1102:                             ;   in Loop: Header=BB4_918 Depth=2
	s_or_b32 exec_lo, exec_lo, s26
	s_delay_alu instid0(VALU_DEP_1) | instskip(NEXT) | instid1(VALU_DEP_1)
	v_mul_f32_e32 v16, v115, v116
	v_and_b32_e32 v12, 0x7f800000, v16
	s_delay_alu instid0(VALU_DEP_1) | instskip(SKIP_1) | instid1(VALU_DEP_2)
	v_cmp_ne_u32_e64 s11, 0x7f800000, v12
	v_mov_b32_e32 v12, 0x80
	s_and_saveexec_b32 s26, s11
	s_cbranch_execz .LBB4_1110
; %bb.1103:                             ;   in Loop: Header=BB4_918 Depth=2
	v_mov_b32_e32 v12, 0
	s_mov_b32 s27, exec_lo
	v_cmpx_ne_u32_e32 0, v16
	s_cbranch_execz .LBB4_1109
; %bb.1104:                             ;   in Loop: Header=BB4_918 Depth=2
	v_bfe_u32 v12, v16, 23, 8
	v_and_b32_e32 v115, 0x7fffff, v16
	s_delay_alu instid0(VALU_DEP_2) | instskip(SKIP_1) | instid1(VALU_DEP_3)
	v_sub_nc_u32_e32 v116, 0x70, v12
	v_cmp_gt_u32_e64 s11, 0x71, v12
	v_or_b32_e32 v117, 0x800000, v115
	s_delay_alu instid0(VALU_DEP_2) | instskip(SKIP_2) | instid1(VALU_DEP_2)
	v_cndmask_b32_e64 v116, 0, v116, s11
	v_cmp_eq_u32_e64 s11, 0, v12
	v_add_nc_u32_e32 v12, 0xffffff91, v12
	v_cndmask_b32_e64 v116, v116, 0x6f, s11
	v_cndmask_b32_e64 v115, v117, v115, s11
	s_delay_alu instid0(VALU_DEP_3) | instskip(NEXT) | instid1(VALU_DEP_3)
	v_cndmask_b32_e64 v12, v12, 0xffffff92, s11
	v_lshl_add_u32 v117, 0x200000, v116, -1
	s_delay_alu instid0(VALU_DEP_3) | instskip(SKIP_1) | instid1(VALU_DEP_4)
	v_lshrrev_b32_e32 v118, v116, v115
	v_lshlrev_b32_e64 v128, v116, 0x100000
	v_add_nc_u32_e32 v116, v116, v12
	s_delay_alu instid0(VALU_DEP_4) | instskip(NEXT) | instid1(VALU_DEP_4)
	v_and_b32_e32 v115, v117, v115
	v_bfe_u32 v119, v118, 21, 1
	s_delay_alu instid0(VALU_DEP_2) | instskip(NEXT) | instid1(VALU_DEP_2)
	v_cmp_eq_u32_e64 s12, v115, v128
	v_add_nc_u32_e32 v117, -1, v119
	s_delay_alu instid0(VALU_DEP_1) | instskip(SKIP_2) | instid1(VALU_DEP_2)
	v_cndmask_b32_e64 v115, 0, v117, s12
	v_lshrrev_b32_e32 v117, 23, v118
	s_mov_b32 s12, exec_lo
	v_add_nc_u32_e32 v115, v115, v118
	s_delay_alu instid0(VALU_DEP_2) | instskip(NEXT) | instid1(VALU_DEP_2)
	v_xor_b32_e32 v117, 1, v117
	v_and_b32_e32 v12, 0x1fffff, v115
	s_delay_alu instid0(VALU_DEP_1) | instskip(NEXT) | instid1(VALU_DEP_3)
	v_add_nc_u32_e32 v115, v12, v118
                                        ; implicit-def: $vgpr12
	v_cmpx_ne_u32_e64 v116, v117
	s_xor_b32 s12, exec_lo, s12
; %bb.1105:                             ;   in Loop: Header=BB4_918 Depth=2
	s_delay_alu instid0(VALU_DEP_2) | instskip(SKIP_1) | instid1(VALU_DEP_2)
	v_cmp_lt_u32_e64 s11, 0xffffff, v115
	v_sub_nc_u32_e32 v12, v116, v117
	v_cndmask_b32_e64 v116, 0, 1, s11
	s_delay_alu instid0(VALU_DEP_2) | instskip(NEXT) | instid1(VALU_DEP_2)
	v_add_co_ci_u32_e64 v12, s11, 0, v12, s11
	v_lshrrev_b32_e32 v115, v116, v115
; %bb.1106:                             ;   in Loop: Header=BB4_918 Depth=2
	s_and_not1_saveexec_b32 s11, s12
; %bb.1107:                             ;   in Loop: Header=BB4_918 Depth=2
	s_delay_alu instid0(VALU_DEP_1)
	v_bfe_u32 v12, v115, 23, 1
; %bb.1108:                             ;   in Loop: Header=BB4_918 Depth=2
	s_or_b32 exec_lo, exec_lo, s11
	v_lshrrev_b32_e32 v115, 21, v115
	s_delay_alu instid0(VALU_DEP_2) | instskip(SKIP_2) | instid1(VALU_DEP_3)
	v_cmp_gt_i32_e64 s11, 32, v12
	v_lshrrev_b32_e32 v16, 24, v16
	v_min_i32_e32 v116, 31, v12
	v_cndmask_b32_e64 v115, 3, v115, s11
	s_delay_alu instid0(VALU_DEP_3) | instskip(NEXT) | instid1(VALU_DEP_3)
	v_and_b32_e32 v16, 0x80, v16
	v_lshlrev_b32_e32 v116, 2, v116
	s_delay_alu instid0(VALU_DEP_3) | instskip(SKIP_1) | instid1(VALU_DEP_2)
	v_and_b32_e32 v117, 3, v115
	v_or_b32_e32 v12, v12, v115
	v_or3_b32 v16, v116, v16, v117
	s_delay_alu instid0(VALU_DEP_2) | instskip(NEXT) | instid1(VALU_DEP_1)
	v_cmp_ne_u32_e64 s11, 0, v12
	v_cndmask_b32_e64 v12, 0, v16, s11
.LBB4_1109:                             ;   in Loop: Header=BB4_918 Depth=2
	s_or_b32 exec_lo, exec_lo, s27
.LBB4_1110:                             ;   in Loop: Header=BB4_918 Depth=2
	s_delay_alu instid0(SALU_CYCLE_1) | instskip(SKIP_3) | instid1(VALU_DEP_1)
	s_or_b32 exec_lo, exec_lo, s26
	v_and_b32_e32 v115, 0xff, v17
	s_mov_b32 s12, 0
	s_mov_b32 s27, exec_lo
                                        ; implicit-def: $sgpr26
	v_cmpx_lt_i16_e32 0x7f, v115
	s_xor_b32 s27, exec_lo, s27
	s_cbranch_execnz .LBB4_1268
; %bb.1111:                             ;   in Loop: Header=BB4_918 Depth=2
	s_or_saveexec_b32 s27, s27
	v_mov_b32_e32 v16, s26
	s_xor_b32 exec_lo, exec_lo, s27
	s_cbranch_execnz .LBB4_1271
.LBB4_1112:                             ;   in Loop: Header=BB4_918 Depth=2
	s_or_b32 exec_lo, exec_lo, s27
	s_and_saveexec_b32 s26, s12
	s_cbranch_execz .LBB4_1114
.LBB4_1113:                             ;   in Loop: Header=BB4_918 Depth=2
	v_and_b32_e32 v16, 3, v17
	v_bfe_u32 v117, v17, 2, 5
	v_lshlrev_b32_e32 v118, 24, v17
	s_delay_alu instid0(VALU_DEP_3) | instskip(NEXT) | instid1(VALU_DEP_3)
	v_clz_i32_u32_e32 v115, v16
	v_cmp_eq_u32_e64 s11, 0, v117
	s_delay_alu instid0(VALU_DEP_2) | instskip(NEXT) | instid1(VALU_DEP_1)
	v_min_u32_e32 v115, 32, v115
	v_subrev_nc_u32_e32 v116, 29, v115
	v_sub_nc_u32_e32 v115, 30, v115
	s_delay_alu instid0(VALU_DEP_2) | instskip(NEXT) | instid1(VALU_DEP_2)
	v_lshlrev_b32_e32 v116, v116, v17
	v_cndmask_b32_e64 v115, v117, v115, s11
	s_delay_alu instid0(VALU_DEP_2) | instskip(NEXT) | instid1(VALU_DEP_2)
	v_and_b32_e32 v116, 3, v116
	v_lshl_add_u32 v115, v115, 23, 0x37800000
	s_delay_alu instid0(VALU_DEP_2) | instskip(SKIP_1) | instid1(VALU_DEP_2)
	v_cndmask_b32_e64 v16, v16, v116, s11
	v_and_b32_e32 v116, 0x80000000, v118
	v_lshlrev_b32_e32 v16, 21, v16
	s_delay_alu instid0(VALU_DEP_1)
	v_or3_b32 v16, v116, v115, v16
.LBB4_1114:                             ;   in Loop: Header=BB4_918 Depth=2
	s_or_b32 exec_lo, exec_lo, s26
	v_and_b32_e32 v116, 0xff, v13
	s_mov_b32 s12, 0
	s_mov_b32 s27, exec_lo
                                        ; implicit-def: $sgpr26
	s_delay_alu instid0(VALU_DEP_1)
	v_cmpx_lt_i16_e32 0x7f, v116
	s_xor_b32 s27, exec_lo, s27
	s_cbranch_execnz .LBB4_1272
; %bb.1115:                             ;   in Loop: Header=BB4_918 Depth=2
	s_or_saveexec_b32 s27, s27
	v_mov_b32_e32 v115, s26
	s_xor_b32 exec_lo, exec_lo, s27
	s_cbranch_execnz .LBB4_1275
.LBB4_1116:                             ;   in Loop: Header=BB4_918 Depth=2
	s_or_b32 exec_lo, exec_lo, s27
	s_and_saveexec_b32 s26, s12
	s_cbranch_execz .LBB4_1118
.LBB4_1117:                             ;   in Loop: Header=BB4_918 Depth=2
	v_and_b32_e32 v115, 3, v13
	v_bfe_u32 v118, v13, 2, 5
	v_lshlrev_b32_e32 v119, 24, v13
	s_delay_alu instid0(VALU_DEP_3) | instskip(NEXT) | instid1(VALU_DEP_3)
	v_clz_i32_u32_e32 v116, v115
	v_cmp_eq_u32_e64 s11, 0, v118
	s_delay_alu instid0(VALU_DEP_2) | instskip(NEXT) | instid1(VALU_DEP_1)
	v_min_u32_e32 v116, 32, v116
	v_subrev_nc_u32_e32 v117, 29, v116
	v_sub_nc_u32_e32 v116, 30, v116
	s_delay_alu instid0(VALU_DEP_2) | instskip(NEXT) | instid1(VALU_DEP_2)
	v_lshlrev_b32_e32 v117, v117, v13
	v_cndmask_b32_e64 v116, v118, v116, s11
	s_delay_alu instid0(VALU_DEP_2) | instskip(NEXT) | instid1(VALU_DEP_2)
	v_and_b32_e32 v117, 3, v117
	v_lshl_add_u32 v116, v116, 23, 0x37800000
	s_delay_alu instid0(VALU_DEP_2) | instskip(SKIP_1) | instid1(VALU_DEP_2)
	v_cndmask_b32_e64 v115, v115, v117, s11
	v_and_b32_e32 v117, 0x80000000, v119
	v_lshlrev_b32_e32 v115, 21, v115
	s_delay_alu instid0(VALU_DEP_1)
	v_or3_b32 v115, v117, v116, v115
.LBB4_1118:                             ;   in Loop: Header=BB4_918 Depth=2
	s_or_b32 exec_lo, exec_lo, s26
	s_delay_alu instid0(VALU_DEP_1) | instskip(NEXT) | instid1(VALU_DEP_1)
	v_mul_f32_e32 v115, v16, v115
	v_and_b32_e32 v16, 0x7f800000, v115
	s_delay_alu instid0(VALU_DEP_1) | instskip(SKIP_1) | instid1(VALU_DEP_2)
	v_cmp_ne_u32_e64 s11, 0x7f800000, v16
	v_mov_b32_e32 v16, 0x80
	s_and_saveexec_b32 s26, s11
	s_cbranch_execz .LBB4_1126
; %bb.1119:                             ;   in Loop: Header=BB4_918 Depth=2
	v_mov_b32_e32 v16, 0
	s_mov_b32 s27, exec_lo
	v_cmpx_ne_u32_e32 0, v115
	s_cbranch_execz .LBB4_1125
; %bb.1120:                             ;   in Loop: Header=BB4_918 Depth=2
	v_bfe_u32 v16, v115, 23, 8
	v_and_b32_e32 v116, 0x7fffff, v115
	s_delay_alu instid0(VALU_DEP_2) | instskip(SKIP_1) | instid1(VALU_DEP_3)
	v_sub_nc_u32_e32 v117, 0x70, v16
	v_cmp_gt_u32_e64 s11, 0x71, v16
	v_or_b32_e32 v118, 0x800000, v116
	s_delay_alu instid0(VALU_DEP_2) | instskip(SKIP_2) | instid1(VALU_DEP_2)
	v_cndmask_b32_e64 v117, 0, v117, s11
	v_cmp_eq_u32_e64 s11, 0, v16
	v_add_nc_u32_e32 v16, 0xffffff91, v16
	v_cndmask_b32_e64 v117, v117, 0x6f, s11
	v_cndmask_b32_e64 v116, v118, v116, s11
	s_delay_alu instid0(VALU_DEP_3) | instskip(NEXT) | instid1(VALU_DEP_3)
	v_cndmask_b32_e64 v16, v16, 0xffffff92, s11
	v_lshl_add_u32 v118, 0x200000, v117, -1
	s_delay_alu instid0(VALU_DEP_3) | instskip(SKIP_1) | instid1(VALU_DEP_4)
	v_lshrrev_b32_e32 v119, v117, v116
	v_lshlrev_b32_e64 v129, v117, 0x100000
	v_add_nc_u32_e32 v117, v117, v16
	s_delay_alu instid0(VALU_DEP_4) | instskip(NEXT) | instid1(VALU_DEP_4)
	v_and_b32_e32 v116, v118, v116
	v_bfe_u32 v128, v119, 21, 1
	s_delay_alu instid0(VALU_DEP_2) | instskip(NEXT) | instid1(VALU_DEP_2)
	v_cmp_eq_u32_e64 s12, v116, v129
	v_add_nc_u32_e32 v118, -1, v128
	s_delay_alu instid0(VALU_DEP_1) | instskip(SKIP_2) | instid1(VALU_DEP_2)
	v_cndmask_b32_e64 v116, 0, v118, s12
	v_lshrrev_b32_e32 v118, 23, v119
	s_mov_b32 s12, exec_lo
	v_add_nc_u32_e32 v116, v116, v119
	s_delay_alu instid0(VALU_DEP_2) | instskip(NEXT) | instid1(VALU_DEP_2)
	v_xor_b32_e32 v118, 1, v118
	v_and_b32_e32 v16, 0x1fffff, v116
	s_delay_alu instid0(VALU_DEP_1) | instskip(NEXT) | instid1(VALU_DEP_3)
	v_add_nc_u32_e32 v116, v16, v119
                                        ; implicit-def: $vgpr16
	v_cmpx_ne_u32_e64 v117, v118
	s_xor_b32 s12, exec_lo, s12
; %bb.1121:                             ;   in Loop: Header=BB4_918 Depth=2
	s_delay_alu instid0(VALU_DEP_2) | instskip(SKIP_1) | instid1(VALU_DEP_2)
	v_cmp_lt_u32_e64 s11, 0xffffff, v116
	v_sub_nc_u32_e32 v16, v117, v118
	v_cndmask_b32_e64 v117, 0, 1, s11
	s_delay_alu instid0(VALU_DEP_2) | instskip(NEXT) | instid1(VALU_DEP_2)
	v_add_co_ci_u32_e64 v16, s11, 0, v16, s11
	v_lshrrev_b32_e32 v116, v117, v116
; %bb.1122:                             ;   in Loop: Header=BB4_918 Depth=2
	s_and_not1_saveexec_b32 s11, s12
; %bb.1123:                             ;   in Loop: Header=BB4_918 Depth=2
	s_delay_alu instid0(VALU_DEP_1)
	v_bfe_u32 v16, v116, 23, 1
; %bb.1124:                             ;   in Loop: Header=BB4_918 Depth=2
	s_or_b32 exec_lo, exec_lo, s11
	v_lshrrev_b32_e32 v116, 21, v116
	s_delay_alu instid0(VALU_DEP_2) | instskip(SKIP_2) | instid1(VALU_DEP_3)
	v_cmp_gt_i32_e64 s11, 32, v16
	v_lshrrev_b32_e32 v115, 24, v115
	v_min_i32_e32 v117, 31, v16
	v_cndmask_b32_e64 v116, 3, v116, s11
	s_delay_alu instid0(VALU_DEP_3) | instskip(NEXT) | instid1(VALU_DEP_3)
	v_and_b32_e32 v115, 0x80, v115
	v_lshlrev_b32_e32 v117, 2, v117
	s_delay_alu instid0(VALU_DEP_3) | instskip(SKIP_1) | instid1(VALU_DEP_2)
	v_and_b32_e32 v118, 3, v116
	v_or_b32_e32 v16, v16, v116
	v_or3_b32 v115, v117, v115, v118
	s_delay_alu instid0(VALU_DEP_2) | instskip(NEXT) | instid1(VALU_DEP_1)
	v_cmp_ne_u32_e64 s11, 0, v16
	v_cndmask_b32_e64 v16, 0, v115, s11
.LBB4_1125:                             ;   in Loop: Header=BB4_918 Depth=2
	s_or_b32 exec_lo, exec_lo, s27
.LBB4_1126:                             ;   in Loop: Header=BB4_918 Depth=2
	s_delay_alu instid0(SALU_CYCLE_1) | instskip(SKIP_3) | instid1(VALU_DEP_1)
	s_or_b32 exec_lo, exec_lo, s26
	v_lshrrev_b16 v116, 8, v17
	s_mov_b32 s12, 0
	s_mov_b32 s27, exec_lo
                                        ; implicit-def: $sgpr26
	v_cmpx_lt_i16_e32 0x7f, v116
	s_xor_b32 s27, exec_lo, s27
	s_cbranch_execnz .LBB4_1276
; %bb.1127:                             ;   in Loop: Header=BB4_918 Depth=2
	s_or_saveexec_b32 s27, s27
	v_mov_b32_e32 v115, s26
	s_xor_b32 exec_lo, exec_lo, s27
	s_cbranch_execnz .LBB4_1279
.LBB4_1128:                             ;   in Loop: Header=BB4_918 Depth=2
	s_or_b32 exec_lo, exec_lo, s27
	s_and_saveexec_b32 s26, s12
	s_cbranch_execz .LBB4_1130
.LBB4_1129:                             ;   in Loop: Header=BB4_918 Depth=2
	v_and_b32_e32 v115, 0xffff, v116
	v_lshlrev_b32_e32 v116, 24, v116
	s_delay_alu instid0(VALU_DEP_2) | instskip(NEXT) | instid1(VALU_DEP_2)
	v_and_b32_e32 v117, 3, v115
	v_and_b32_e32 v116, 0x80000000, v116
	s_delay_alu instid0(VALU_DEP_2) | instskip(NEXT) | instid1(VALU_DEP_1)
	v_clz_i32_u32_e32 v118, v117
	v_min_u32_e32 v118, 32, v118
	s_delay_alu instid0(VALU_DEP_1) | instskip(SKIP_1) | instid1(VALU_DEP_2)
	v_subrev_nc_u32_e32 v119, 29, v118
	v_sub_nc_u32_e32 v118, 30, v118
	v_lshlrev_b32_e32 v119, v119, v115
	v_bfe_u32 v115, v115, 2, 5
	s_delay_alu instid0(VALU_DEP_2) | instskip(NEXT) | instid1(VALU_DEP_2)
	v_and_b32_e32 v119, 3, v119
	v_cmp_eq_u32_e64 s11, 0, v115
	s_delay_alu instid0(VALU_DEP_1) | instskip(NEXT) | instid1(VALU_DEP_3)
	v_cndmask_b32_e64 v115, v115, v118, s11
	v_cndmask_b32_e64 v117, v117, v119, s11
	s_delay_alu instid0(VALU_DEP_2) | instskip(NEXT) | instid1(VALU_DEP_2)
	v_lshl_add_u32 v115, v115, 23, 0x37800000
	v_lshlrev_b32_e32 v117, 21, v117
	s_delay_alu instid0(VALU_DEP_1)
	v_or3_b32 v115, v116, v115, v117
.LBB4_1130:                             ;   in Loop: Header=BB4_918 Depth=2
	s_or_b32 exec_lo, exec_lo, s26
	v_lshrrev_b16 v116, 8, v13
	s_mov_b32 s12, 0
	s_mov_b32 s27, exec_lo
                                        ; implicit-def: $sgpr26
	s_delay_alu instid0(VALU_DEP_1)
	v_cmpx_lt_i16_e32 0x7f, v116
	s_xor_b32 s27, exec_lo, s27
	s_cbranch_execnz .LBB4_1280
; %bb.1131:                             ;   in Loop: Header=BB4_918 Depth=2
	s_or_saveexec_b32 s27, s27
	v_mov_b32_e32 v117, s26
	s_xor_b32 exec_lo, exec_lo, s27
	s_cbranch_execnz .LBB4_1283
.LBB4_1132:                             ;   in Loop: Header=BB4_918 Depth=2
	s_or_b32 exec_lo, exec_lo, s27
	s_and_saveexec_b32 s26, s12
	s_cbranch_execz .LBB4_1134
.LBB4_1133:                             ;   in Loop: Header=BB4_918 Depth=2
	v_and_b32_e32 v117, 0xffff, v116
	v_lshlrev_b32_e32 v116, 24, v116
	s_delay_alu instid0(VALU_DEP_2) | instskip(NEXT) | instid1(VALU_DEP_2)
	v_and_b32_e32 v118, 3, v117
	v_and_b32_e32 v116, 0x80000000, v116
	s_delay_alu instid0(VALU_DEP_2) | instskip(NEXT) | instid1(VALU_DEP_1)
	v_clz_i32_u32_e32 v119, v118
	v_min_u32_e32 v119, 32, v119
	s_delay_alu instid0(VALU_DEP_1) | instskip(SKIP_1) | instid1(VALU_DEP_2)
	v_subrev_nc_u32_e32 v128, 29, v119
	v_sub_nc_u32_e32 v119, 30, v119
	v_lshlrev_b32_e32 v128, v128, v117
	v_bfe_u32 v117, v117, 2, 5
	s_delay_alu instid0(VALU_DEP_2) | instskip(NEXT) | instid1(VALU_DEP_2)
	v_and_b32_e32 v128, 3, v128
	v_cmp_eq_u32_e64 s11, 0, v117
	s_delay_alu instid0(VALU_DEP_1) | instskip(NEXT) | instid1(VALU_DEP_3)
	v_cndmask_b32_e64 v117, v117, v119, s11
	v_cndmask_b32_e64 v118, v118, v128, s11
	s_delay_alu instid0(VALU_DEP_2) | instskip(NEXT) | instid1(VALU_DEP_2)
	v_lshl_add_u32 v117, v117, 23, 0x37800000
	v_lshlrev_b32_e32 v118, 21, v118
	s_delay_alu instid0(VALU_DEP_1)
	v_or3_b32 v117, v116, v117, v118
.LBB4_1134:                             ;   in Loop: Header=BB4_918 Depth=2
	s_or_b32 exec_lo, exec_lo, s26
	s_delay_alu instid0(VALU_DEP_1) | instskip(NEXT) | instid1(VALU_DEP_1)
	v_mul_f32_e32 v116, v115, v117
	v_and_b32_e32 v115, 0x7f800000, v116
	s_delay_alu instid0(VALU_DEP_1) | instskip(SKIP_1) | instid1(VALU_DEP_2)
	v_cmp_ne_u32_e64 s11, 0x7f800000, v115
	v_mov_b32_e32 v115, 0x8000
	s_and_saveexec_b32 s26, s11
	s_cbranch_execz .LBB4_1142
; %bb.1135:                             ;   in Loop: Header=BB4_918 Depth=2
	v_mov_b32_e32 v115, 0
	s_mov_b32 s27, exec_lo
	v_cmpx_ne_u32_e32 0, v116
	s_cbranch_execz .LBB4_1141
; %bb.1136:                             ;   in Loop: Header=BB4_918 Depth=2
	v_bfe_u32 v115, v116, 23, 8
	v_and_b32_e32 v117, 0x7fffff, v116
	s_delay_alu instid0(VALU_DEP_2) | instskip(SKIP_1) | instid1(VALU_DEP_3)
	v_sub_nc_u32_e32 v118, 0x70, v115
	v_cmp_gt_u32_e64 s11, 0x71, v115
	v_or_b32_e32 v119, 0x800000, v117
	s_delay_alu instid0(VALU_DEP_2) | instskip(SKIP_2) | instid1(VALU_DEP_2)
	v_cndmask_b32_e64 v118, 0, v118, s11
	v_cmp_eq_u32_e64 s11, 0, v115
	v_add_nc_u32_e32 v115, 0xffffff91, v115
	v_cndmask_b32_e64 v118, v118, 0x6f, s11
	v_cndmask_b32_e64 v117, v119, v117, s11
	s_delay_alu instid0(VALU_DEP_3) | instskip(NEXT) | instid1(VALU_DEP_3)
	v_cndmask_b32_e64 v115, v115, 0xffffff92, s11
	v_lshl_add_u32 v119, 0x200000, v118, -1
	s_delay_alu instid0(VALU_DEP_3) | instskip(SKIP_1) | instid1(VALU_DEP_4)
	v_lshrrev_b32_e32 v128, v118, v117
	v_lshlrev_b32_e64 v130, v118, 0x100000
	v_add_nc_u32_e32 v118, v118, v115
	s_delay_alu instid0(VALU_DEP_4) | instskip(NEXT) | instid1(VALU_DEP_4)
	v_and_b32_e32 v117, v119, v117
	v_bfe_u32 v129, v128, 21, 1
	s_delay_alu instid0(VALU_DEP_2) | instskip(NEXT) | instid1(VALU_DEP_2)
	v_cmp_eq_u32_e64 s12, v117, v130
	v_add_nc_u32_e32 v119, -1, v129
	s_delay_alu instid0(VALU_DEP_1) | instskip(SKIP_2) | instid1(VALU_DEP_2)
	v_cndmask_b32_e64 v117, 0, v119, s12
	v_lshrrev_b32_e32 v119, 23, v128
	s_mov_b32 s12, exec_lo
	v_add_nc_u32_e32 v117, v117, v128
	s_delay_alu instid0(VALU_DEP_2) | instskip(NEXT) | instid1(VALU_DEP_2)
	v_xor_b32_e32 v119, 1, v119
	v_and_b32_e32 v115, 0x1fffff, v117
	s_delay_alu instid0(VALU_DEP_1) | instskip(NEXT) | instid1(VALU_DEP_3)
	v_add_nc_u32_e32 v117, v115, v128
                                        ; implicit-def: $vgpr115
	v_cmpx_ne_u32_e64 v118, v119
	s_xor_b32 s12, exec_lo, s12
; %bb.1137:                             ;   in Loop: Header=BB4_918 Depth=2
	s_delay_alu instid0(VALU_DEP_2) | instskip(SKIP_1) | instid1(VALU_DEP_2)
	v_cmp_lt_u32_e64 s11, 0xffffff, v117
	v_sub_nc_u32_e32 v115, v118, v119
	v_cndmask_b32_e64 v118, 0, 1, s11
	s_delay_alu instid0(VALU_DEP_2) | instskip(NEXT) | instid1(VALU_DEP_2)
	v_add_co_ci_u32_e64 v115, s11, 0, v115, s11
	v_lshrrev_b32_e32 v117, v118, v117
; %bb.1138:                             ;   in Loop: Header=BB4_918 Depth=2
	s_and_not1_saveexec_b32 s11, s12
; %bb.1139:                             ;   in Loop: Header=BB4_918 Depth=2
	s_delay_alu instid0(VALU_DEP_1)
	v_bfe_u32 v115, v117, 23, 1
; %bb.1140:                             ;   in Loop: Header=BB4_918 Depth=2
	s_or_b32 exec_lo, exec_lo, s11
	v_lshrrev_b32_e32 v117, 21, v117
	s_delay_alu instid0(VALU_DEP_2) | instskip(SKIP_2) | instid1(VALU_DEP_3)
	v_min_i32_e32 v118, 31, v115
	v_cmp_gt_i32_e64 s11, 32, v115
	v_lshrrev_b32_e32 v116, 24, v116
	v_lshlrev_b32_e32 v118, 2, v118
	s_delay_alu instid0(VALU_DEP_3) | instskip(NEXT) | instid1(VALU_DEP_3)
	v_cndmask_b32_e64 v117, 3, v117, s11
	v_and_b32_e32 v116, 0x80, v116
	s_delay_alu instid0(VALU_DEP_3) | instskip(NEXT) | instid1(VALU_DEP_3)
	v_and_b32_e32 v118, 0xfc, v118
	v_and_b32_e32 v119, 3, v117
	v_or_b32_e32 v115, v115, v117
	s_delay_alu instid0(VALU_DEP_2) | instskip(NEXT) | instid1(VALU_DEP_2)
	v_or3_b32 v116, v116, v118, v119
	v_cmp_ne_u32_e64 s11, 0, v115
	s_delay_alu instid0(VALU_DEP_2) | instskip(NEXT) | instid1(VALU_DEP_1)
	v_lshlrev_b32_e32 v116, 8, v116
	v_cndmask_b32_e64 v115, 0, v116, s11
.LBB4_1141:                             ;   in Loop: Header=BB4_918 Depth=2
	s_or_b32 exec_lo, exec_lo, s27
.LBB4_1142:                             ;   in Loop: Header=BB4_918 Depth=2
	s_delay_alu instid0(SALU_CYCLE_1) | instskip(SKIP_3) | instid1(VALU_DEP_1)
	s_or_b32 exec_lo, exec_lo, s26
	v_lshrrev_b32_e32 v117, 16, v17
	s_mov_b32 s12, 0
	s_mov_b32 s27, exec_lo
                                        ; implicit-def: $sgpr26
	v_and_b32_e32 v118, 0xff, v117
	s_delay_alu instid0(VALU_DEP_1)
	v_cmpx_lt_i16_e32 0x7f, v118
	s_xor_b32 s27, exec_lo, s27
	s_cbranch_execnz .LBB4_1284
; %bb.1143:                             ;   in Loop: Header=BB4_918 Depth=2
	s_or_saveexec_b32 s27, s27
	v_mov_b32_e32 v116, s26
	s_xor_b32 exec_lo, exec_lo, s27
	s_cbranch_execnz .LBB4_1287
.LBB4_1144:                             ;   in Loop: Header=BB4_918 Depth=2
	s_or_b32 exec_lo, exec_lo, s27
	s_and_saveexec_b32 s26, s12
	s_cbranch_execz .LBB4_1146
.LBB4_1145:                             ;   in Loop: Header=BB4_918 Depth=2
	v_bfe_u32 v116, v17, 16, 2
	v_lshlrev_b32_e32 v128, 8, v17
	s_delay_alu instid0(VALU_DEP_2) | instskip(NEXT) | instid1(VALU_DEP_1)
	v_clz_i32_u32_e32 v118, v116
	v_min_u32_e32 v118, 32, v118
	s_delay_alu instid0(VALU_DEP_1) | instskip(SKIP_1) | instid1(VALU_DEP_2)
	v_subrev_nc_u32_e32 v119, 29, v118
	v_sub_nc_u32_e32 v118, 30, v118
	v_lshlrev_b32_e32 v117, v119, v117
	v_bfe_u32 v119, v17, 18, 5
	s_delay_alu instid0(VALU_DEP_2) | instskip(NEXT) | instid1(VALU_DEP_2)
	v_and_b32_e32 v117, 3, v117
	v_cmp_eq_u32_e64 s11, 0, v119
	s_delay_alu instid0(VALU_DEP_1) | instskip(NEXT) | instid1(VALU_DEP_3)
	v_cndmask_b32_e64 v118, v119, v118, s11
	v_cndmask_b32_e64 v116, v116, v117, s11
	v_and_b32_e32 v117, 0x80000000, v128
	s_delay_alu instid0(VALU_DEP_3) | instskip(NEXT) | instid1(VALU_DEP_3)
	v_lshl_add_u32 v118, v118, 23, 0x37800000
	v_lshlrev_b32_e32 v116, 21, v116
	s_delay_alu instid0(VALU_DEP_1)
	v_or3_b32 v116, v117, v118, v116
.LBB4_1146:                             ;   in Loop: Header=BB4_918 Depth=2
	s_or_b32 exec_lo, exec_lo, s26
	v_lshrrev_b32_e32 v117, 16, v13
	s_mov_b32 s12, 0
	s_mov_b32 s27, exec_lo
                                        ; implicit-def: $sgpr26
	s_delay_alu instid0(VALU_DEP_1) | instskip(NEXT) | instid1(VALU_DEP_1)
	v_and_b32_e32 v119, 0xff, v117
	v_cmpx_lt_i16_e32 0x7f, v119
	s_xor_b32 s27, exec_lo, s27
	s_cbranch_execnz .LBB4_1288
; %bb.1147:                             ;   in Loop: Header=BB4_918 Depth=2
	s_or_saveexec_b32 s27, s27
	v_mov_b32_e32 v118, s26
	s_xor_b32 exec_lo, exec_lo, s27
	s_cbranch_execnz .LBB4_1291
.LBB4_1148:                             ;   in Loop: Header=BB4_918 Depth=2
	s_or_b32 exec_lo, exec_lo, s27
	s_and_saveexec_b32 s26, s12
	s_cbranch_execz .LBB4_1150
.LBB4_1149:                             ;   in Loop: Header=BB4_918 Depth=2
	v_bfe_u32 v118, v13, 16, 2
	v_lshlrev_b32_e32 v129, 8, v13
	s_delay_alu instid0(VALU_DEP_2) | instskip(NEXT) | instid1(VALU_DEP_1)
	v_clz_i32_u32_e32 v119, v118
	v_min_u32_e32 v119, 32, v119
	s_delay_alu instid0(VALU_DEP_1) | instskip(SKIP_1) | instid1(VALU_DEP_2)
	v_subrev_nc_u32_e32 v128, 29, v119
	v_sub_nc_u32_e32 v119, 30, v119
	v_lshlrev_b32_e32 v117, v128, v117
	v_bfe_u32 v128, v13, 18, 5
	s_delay_alu instid0(VALU_DEP_2) | instskip(NEXT) | instid1(VALU_DEP_2)
	v_and_b32_e32 v117, 3, v117
	v_cmp_eq_u32_e64 s11, 0, v128
	s_delay_alu instid0(VALU_DEP_1) | instskip(NEXT) | instid1(VALU_DEP_3)
	v_cndmask_b32_e64 v119, v128, v119, s11
	v_cndmask_b32_e64 v117, v118, v117, s11
	v_and_b32_e32 v118, 0x80000000, v129
	s_delay_alu instid0(VALU_DEP_3) | instskip(NEXT) | instid1(VALU_DEP_3)
	v_lshl_add_u32 v119, v119, 23, 0x37800000
	v_lshlrev_b32_e32 v117, 21, v117
	s_delay_alu instid0(VALU_DEP_1)
	v_or3_b32 v118, v118, v119, v117
.LBB4_1150:                             ;   in Loop: Header=BB4_918 Depth=2
	s_or_b32 exec_lo, exec_lo, s26
	s_delay_alu instid0(VALU_DEP_1) | instskip(NEXT) | instid1(VALU_DEP_1)
	v_mul_f32_e32 v117, v116, v118
	v_and_b32_e32 v116, 0x7f800000, v117
	s_delay_alu instid0(VALU_DEP_1) | instskip(SKIP_1) | instid1(VALU_DEP_2)
	v_cmp_ne_u32_e64 s11, 0x7f800000, v116
	v_mov_b32_e32 v116, 0x80
	s_and_saveexec_b32 s26, s11
	s_cbranch_execz .LBB4_1158
; %bb.1151:                             ;   in Loop: Header=BB4_918 Depth=2
	v_mov_b32_e32 v116, 0
	s_mov_b32 s27, exec_lo
	v_cmpx_ne_u32_e32 0, v117
	s_cbranch_execz .LBB4_1157
; %bb.1152:                             ;   in Loop: Header=BB4_918 Depth=2
	v_bfe_u32 v116, v117, 23, 8
	v_and_b32_e32 v118, 0x7fffff, v117
	s_delay_alu instid0(VALU_DEP_2) | instskip(SKIP_1) | instid1(VALU_DEP_3)
	v_sub_nc_u32_e32 v119, 0x70, v116
	v_cmp_gt_u32_e64 s11, 0x71, v116
	v_or_b32_e32 v128, 0x800000, v118
	s_delay_alu instid0(VALU_DEP_2) | instskip(SKIP_2) | instid1(VALU_DEP_2)
	v_cndmask_b32_e64 v119, 0, v119, s11
	v_cmp_eq_u32_e64 s11, 0, v116
	v_add_nc_u32_e32 v116, 0xffffff91, v116
	v_cndmask_b32_e64 v119, v119, 0x6f, s11
	v_cndmask_b32_e64 v118, v128, v118, s11
	s_delay_alu instid0(VALU_DEP_3) | instskip(NEXT) | instid1(VALU_DEP_3)
	v_cndmask_b32_e64 v116, v116, 0xffffff92, s11
	v_lshl_add_u32 v128, 0x200000, v119, -1
	s_delay_alu instid0(VALU_DEP_3) | instskip(SKIP_1) | instid1(VALU_DEP_4)
	v_lshrrev_b32_e32 v129, v119, v118
	v_lshlrev_b32_e64 v131, v119, 0x100000
	v_add_nc_u32_e32 v119, v119, v116
	s_delay_alu instid0(VALU_DEP_4) | instskip(NEXT) | instid1(VALU_DEP_4)
	v_and_b32_e32 v118, v128, v118
	v_bfe_u32 v130, v129, 21, 1
	s_delay_alu instid0(VALU_DEP_2) | instskip(NEXT) | instid1(VALU_DEP_2)
	v_cmp_eq_u32_e64 s12, v118, v131
	v_add_nc_u32_e32 v128, -1, v130
	s_delay_alu instid0(VALU_DEP_1) | instskip(SKIP_2) | instid1(VALU_DEP_2)
	v_cndmask_b32_e64 v118, 0, v128, s12
	v_lshrrev_b32_e32 v128, 23, v129
	s_mov_b32 s12, exec_lo
	v_add_nc_u32_e32 v118, v118, v129
	s_delay_alu instid0(VALU_DEP_2) | instskip(NEXT) | instid1(VALU_DEP_2)
	v_xor_b32_e32 v128, 1, v128
	v_and_b32_e32 v116, 0x1fffff, v118
	s_delay_alu instid0(VALU_DEP_1) | instskip(NEXT) | instid1(VALU_DEP_3)
	v_add_nc_u32_e32 v118, v116, v129
                                        ; implicit-def: $vgpr116
	v_cmpx_ne_u32_e64 v119, v128
	s_xor_b32 s12, exec_lo, s12
; %bb.1153:                             ;   in Loop: Header=BB4_918 Depth=2
	s_delay_alu instid0(VALU_DEP_2) | instskip(SKIP_1) | instid1(VALU_DEP_2)
	v_cmp_lt_u32_e64 s11, 0xffffff, v118
	v_sub_nc_u32_e32 v116, v119, v128
	v_cndmask_b32_e64 v119, 0, 1, s11
	s_delay_alu instid0(VALU_DEP_2) | instskip(NEXT) | instid1(VALU_DEP_2)
	v_add_co_ci_u32_e64 v116, s11, 0, v116, s11
	v_lshrrev_b32_e32 v118, v119, v118
; %bb.1154:                             ;   in Loop: Header=BB4_918 Depth=2
	s_and_not1_saveexec_b32 s11, s12
; %bb.1155:                             ;   in Loop: Header=BB4_918 Depth=2
	s_delay_alu instid0(VALU_DEP_1)
	v_bfe_u32 v116, v118, 23, 1
; %bb.1156:                             ;   in Loop: Header=BB4_918 Depth=2
	s_or_b32 exec_lo, exec_lo, s11
	v_lshrrev_b32_e32 v118, 21, v118
	s_delay_alu instid0(VALU_DEP_2) | instskip(SKIP_2) | instid1(VALU_DEP_3)
	v_min_i32_e32 v119, 31, v116
	v_cmp_gt_i32_e64 s11, 32, v116
	v_lshrrev_b32_e32 v117, 24, v117
	v_lshlrev_b32_e32 v119, 2, v119
	s_delay_alu instid0(VALU_DEP_3) | instskip(NEXT) | instid1(VALU_DEP_3)
	v_cndmask_b32_e64 v118, 3, v118, s11
	v_and_b32_e32 v117, 0x80, v117
	s_delay_alu instid0(VALU_DEP_3) | instskip(NEXT) | instid1(VALU_DEP_3)
	v_and_b32_e32 v119, 0xfc, v119
	v_and_b32_e32 v128, 3, v118
	v_or_b32_e32 v116, v116, v118
	s_delay_alu instid0(VALU_DEP_2) | instskip(NEXT) | instid1(VALU_DEP_2)
	v_or3_b32 v117, v119, v117, v128
	v_cmp_ne_u32_e64 s11, 0, v116
	s_delay_alu instid0(VALU_DEP_1)
	v_cndmask_b32_e64 v116, 0, v117, s11
.LBB4_1157:                             ;   in Loop: Header=BB4_918 Depth=2
	s_or_b32 exec_lo, exec_lo, s27
.LBB4_1158:                             ;   in Loop: Header=BB4_918 Depth=2
	s_delay_alu instid0(SALU_CYCLE_1) | instskip(SKIP_3) | instid1(VALU_DEP_1)
	s_or_b32 exec_lo, exec_lo, s26
	v_lshrrev_b32_e32 v118, 24, v17
	s_mov_b32 s12, 0
	s_mov_b32 s27, exec_lo
                                        ; implicit-def: $sgpr26
	v_cmpx_lt_i16_e32 0x7f, v118
	s_xor_b32 s27, exec_lo, s27
	s_cbranch_execnz .LBB4_1292
; %bb.1159:                             ;   in Loop: Header=BB4_918 Depth=2
	s_or_saveexec_b32 s27, s27
	v_mov_b32_e32 v117, s26
	s_xor_b32 exec_lo, exec_lo, s27
	s_cbranch_execnz .LBB4_1295
.LBB4_1160:                             ;   in Loop: Header=BB4_918 Depth=2
	s_or_b32 exec_lo, exec_lo, s27
	s_and_saveexec_b32 s26, s12
	s_cbranch_execz .LBB4_1162
.LBB4_1161:                             ;   in Loop: Header=BB4_918 Depth=2
	v_bfe_u32 v117, v17, 24, 2
	s_delay_alu instid0(VALU_DEP_1) | instskip(NEXT) | instid1(VALU_DEP_1)
	v_clz_i32_u32_e32 v119, v117
	v_min_u32_e32 v119, 32, v119
	s_delay_alu instid0(VALU_DEP_1) | instskip(SKIP_1) | instid1(VALU_DEP_2)
	v_subrev_nc_u32_e32 v128, 29, v119
	v_sub_nc_u32_e32 v119, 30, v119
	v_lshlrev_b32_e32 v118, v128, v118
	v_bfe_u32 v128, v17, 26, 5
	v_and_b32_e32 v17, 0x80000000, v17
	s_delay_alu instid0(VALU_DEP_3) | instskip(NEXT) | instid1(VALU_DEP_3)
	v_and_b32_e32 v118, 3, v118
	v_cmp_eq_u32_e64 s11, 0, v128
	s_delay_alu instid0(VALU_DEP_1) | instskip(NEXT) | instid1(VALU_DEP_3)
	v_cndmask_b32_e64 v119, v128, v119, s11
	v_cndmask_b32_e64 v117, v117, v118, s11
	s_delay_alu instid0(VALU_DEP_2) | instskip(NEXT) | instid1(VALU_DEP_2)
	v_lshl_add_u32 v118, v119, 23, 0x37800000
	v_lshlrev_b32_e32 v117, 21, v117
	s_delay_alu instid0(VALU_DEP_1)
	v_or3_b32 v117, v17, v118, v117
.LBB4_1162:                             ;   in Loop: Header=BB4_918 Depth=2
	s_or_b32 exec_lo, exec_lo, s26
	v_lshrrev_b32_e32 v17, 24, v13
	s_mov_b32 s12, 0
	s_mov_b32 s27, exec_lo
                                        ; implicit-def: $sgpr26
	s_delay_alu instid0(VALU_DEP_1)
	v_cmpx_lt_i16_e32 0x7f, v17
	s_xor_b32 s27, exec_lo, s27
	s_cbranch_execnz .LBB4_1296
; %bb.1163:                             ;   in Loop: Header=BB4_918 Depth=2
	s_or_saveexec_b32 s27, s27
	v_mov_b32_e32 v118, s26
	s_xor_b32 exec_lo, exec_lo, s27
	s_cbranch_execnz .LBB4_1299
.LBB4_1164:                             ;   in Loop: Header=BB4_918 Depth=2
	s_or_b32 exec_lo, exec_lo, s27
	s_and_saveexec_b32 s26, s12
	s_cbranch_execz .LBB4_1166
.LBB4_1165:                             ;   in Loop: Header=BB4_918 Depth=2
	v_bfe_u32 v118, v13, 24, 2
	s_delay_alu instid0(VALU_DEP_1) | instskip(NEXT) | instid1(VALU_DEP_1)
	v_clz_i32_u32_e32 v119, v118
	v_min_u32_e32 v119, 32, v119
	s_delay_alu instid0(VALU_DEP_1) | instskip(SKIP_1) | instid1(VALU_DEP_2)
	v_subrev_nc_u32_e32 v128, 29, v119
	v_sub_nc_u32_e32 v119, 30, v119
	v_lshlrev_b32_e32 v17, v128, v17
	v_bfe_u32 v128, v13, 26, 5
	v_and_b32_e32 v13, 0x80000000, v13
	s_delay_alu instid0(VALU_DEP_3) | instskip(NEXT) | instid1(VALU_DEP_3)
	v_and_b32_e32 v17, 3, v17
	v_cmp_eq_u32_e64 s11, 0, v128
	s_delay_alu instid0(VALU_DEP_1) | instskip(NEXT) | instid1(VALU_DEP_3)
	v_cndmask_b32_e64 v119, v128, v119, s11
	v_cndmask_b32_e64 v17, v118, v17, s11
	s_delay_alu instid0(VALU_DEP_2) | instskip(NEXT) | instid1(VALU_DEP_2)
	v_lshl_add_u32 v118, v119, 23, 0x37800000
	v_lshlrev_b32_e32 v17, 21, v17
	s_delay_alu instid0(VALU_DEP_1)
	v_or3_b32 v118, v13, v118, v17
.LBB4_1166:                             ;   in Loop: Header=BB4_918 Depth=2
	s_or_b32 exec_lo, exec_lo, s26
	s_delay_alu instid0(VALU_DEP_1) | instskip(NEXT) | instid1(VALU_DEP_1)
	v_mul_f32_e32 v13, v117, v118
	v_and_b32_e32 v17, 0x7f800000, v13
	s_delay_alu instid0(VALU_DEP_1) | instskip(SKIP_1) | instid1(VALU_DEP_2)
	v_cmp_ne_u32_e64 s11, 0x7f800000, v17
	v_mov_b32_e32 v17, 0x8000
	s_and_saveexec_b32 s26, s11
	s_cbranch_execz .LBB4_917
; %bb.1167:                             ;   in Loop: Header=BB4_918 Depth=2
	v_mov_b32_e32 v17, 0
	s_mov_b32 s27, exec_lo
	v_cmpx_ne_u32_e32 0, v13
	s_cbranch_execz .LBB4_916
; %bb.1168:                             ;   in Loop: Header=BB4_918 Depth=2
	v_bfe_u32 v17, v13, 23, 8
	v_and_b32_e32 v117, 0x7fffff, v13
	s_delay_alu instid0(VALU_DEP_2) | instskip(SKIP_1) | instid1(VALU_DEP_3)
	v_sub_nc_u32_e32 v118, 0x70, v17
	v_cmp_gt_u32_e64 s11, 0x71, v17
	v_or_b32_e32 v119, 0x800000, v117
	s_delay_alu instid0(VALU_DEP_2) | instskip(SKIP_2) | instid1(VALU_DEP_2)
	v_cndmask_b32_e64 v118, 0, v118, s11
	v_cmp_eq_u32_e64 s11, 0, v17
	v_add_nc_u32_e32 v17, 0xffffff91, v17
	v_cndmask_b32_e64 v118, v118, 0x6f, s11
	v_cndmask_b32_e64 v117, v119, v117, s11
	s_delay_alu instid0(VALU_DEP_3) | instskip(NEXT) | instid1(VALU_DEP_3)
	v_cndmask_b32_e64 v17, v17, 0xffffff92, s11
	v_lshl_add_u32 v119, 0x200000, v118, -1
	s_delay_alu instid0(VALU_DEP_3) | instskip(SKIP_1) | instid1(VALU_DEP_4)
	v_lshrrev_b32_e32 v128, v118, v117
	v_lshlrev_b32_e64 v130, v118, 0x100000
	v_add_nc_u32_e32 v118, v118, v17
	s_delay_alu instid0(VALU_DEP_4) | instskip(NEXT) | instid1(VALU_DEP_4)
	v_and_b32_e32 v117, v119, v117
	v_bfe_u32 v129, v128, 21, 1
	s_delay_alu instid0(VALU_DEP_2) | instskip(NEXT) | instid1(VALU_DEP_2)
	v_cmp_eq_u32_e64 s12, v117, v130
	v_add_nc_u32_e32 v119, -1, v129
	s_delay_alu instid0(VALU_DEP_1) | instskip(SKIP_2) | instid1(VALU_DEP_2)
	v_cndmask_b32_e64 v117, 0, v119, s12
	v_lshrrev_b32_e32 v119, 23, v128
	s_mov_b32 s12, exec_lo
	v_add_nc_u32_e32 v117, v117, v128
	s_delay_alu instid0(VALU_DEP_2) | instskip(NEXT) | instid1(VALU_DEP_2)
	v_xor_b32_e32 v119, 1, v119
	v_and_b32_e32 v17, 0x1fffff, v117
	s_delay_alu instid0(VALU_DEP_1) | instskip(NEXT) | instid1(VALU_DEP_3)
	v_add_nc_u32_e32 v117, v17, v128
                                        ; implicit-def: $vgpr17
	v_cmpx_ne_u32_e64 v118, v119
	s_xor_b32 s12, exec_lo, s12
; %bb.1169:                             ;   in Loop: Header=BB4_918 Depth=2
	s_delay_alu instid0(VALU_DEP_2) | instskip(SKIP_1) | instid1(VALU_DEP_2)
	v_cmp_lt_u32_e64 s11, 0xffffff, v117
	v_sub_nc_u32_e32 v17, v118, v119
	v_cndmask_b32_e64 v118, 0, 1, s11
	s_delay_alu instid0(VALU_DEP_2) | instskip(NEXT) | instid1(VALU_DEP_2)
	v_add_co_ci_u32_e64 v17, s11, 0, v17, s11
	v_lshrrev_b32_e32 v117, v118, v117
; %bb.1170:                             ;   in Loop: Header=BB4_918 Depth=2
	s_and_not1_saveexec_b32 s11, s12
	s_cbranch_execz .LBB4_915
; %bb.1171:                             ;   in Loop: Header=BB4_918 Depth=2
	s_delay_alu instid0(VALU_DEP_1)
	v_bfe_u32 v17, v117, 23, 1
	s_branch .LBB4_915
.LBB4_1172:                             ;   in Loop: Header=BB4_918 Depth=2
	s_mov_b32 s12, -1
	s_mov_b32 s28, exec_lo
                                        ; implicit-def: $sgpr26
	v_cmpx_eq_u16_e32 0x80, v69
; %bb.1173:                             ;   in Loop: Header=BB4_918 Depth=2
	s_mov_b32 s26, 0x7f800001
	s_xor_b32 s12, exec_lo, -1
; %bb.1174:                             ;   in Loop: Header=BB4_918 Depth=2
	s_or_b32 exec_lo, exec_lo, s28
	s_delay_alu instid0(SALU_CYCLE_1)
	s_and_b32 s12, s12, exec_lo
                                        ; implicit-def: $vgpr69
	s_or_saveexec_b32 s27, s27
	v_mov_b32_e32 v68, s26
	s_xor_b32 exec_lo, exec_lo, s27
	s_cbranch_execz .LBB4_920
.LBB4_1175:                             ;   in Loop: Header=BB4_918 Depth=2
	v_cmp_ne_u16_e64 s11, 0, v69
	v_mov_b32_e32 v68, 0
	s_and_not1_b32 s12, s12, exec_lo
	s_delay_alu instid0(VALU_DEP_2) | instskip(NEXT) | instid1(SALU_CYCLE_1)
	s_and_b32 s11, s11, exec_lo
	s_or_b32 s12, s12, s11
	s_or_b32 exec_lo, exec_lo, s27
	s_and_saveexec_b32 s26, s12
	s_cbranch_execnz .LBB4_921
	s_branch .LBB4_922
.LBB4_1176:                             ;   in Loop: Header=BB4_918 Depth=2
	s_mov_b32 s12, -1
	s_mov_b32 s28, exec_lo
                                        ; implicit-def: $sgpr26
	v_cmpx_eq_u16_e32 0x80, v70
; %bb.1177:                             ;   in Loop: Header=BB4_918 Depth=2
	s_mov_b32 s26, 0x7f800001
	s_xor_b32 s12, exec_lo, -1
; %bb.1178:                             ;   in Loop: Header=BB4_918 Depth=2
	s_or_b32 exec_lo, exec_lo, s28
	s_delay_alu instid0(SALU_CYCLE_1)
	s_and_b32 s12, s12, exec_lo
                                        ; implicit-def: $vgpr70
	s_or_saveexec_b32 s27, s27
	v_mov_b32_e32 v69, s26
	s_xor_b32 exec_lo, exec_lo, s27
	s_cbranch_execz .LBB4_924
.LBB4_1179:                             ;   in Loop: Header=BB4_918 Depth=2
	v_cmp_ne_u16_e64 s11, 0, v70
	v_mov_b32_e32 v69, 0
	s_and_not1_b32 s12, s12, exec_lo
	s_delay_alu instid0(VALU_DEP_2) | instskip(NEXT) | instid1(SALU_CYCLE_1)
	s_and_b32 s11, s11, exec_lo
	s_or_b32 s12, s12, s11
	s_or_b32 exec_lo, exec_lo, s27
	s_and_saveexec_b32 s26, s12
	s_cbranch_execnz .LBB4_925
	s_branch .LBB4_926
.LBB4_1180:                             ;   in Loop: Header=BB4_918 Depth=2
	s_mov_b32 s12, -1
	s_mov_b32 s28, exec_lo
                                        ; implicit-def: $sgpr26
	v_cmpx_eq_u16_e32 0x80, v70
; %bb.1181:                             ;   in Loop: Header=BB4_918 Depth=2
	s_mov_b32 s26, 0x7f800001
	s_xor_b32 s12, exec_lo, -1
; %bb.1182:                             ;   in Loop: Header=BB4_918 Depth=2
	s_or_b32 exec_lo, exec_lo, s28
	s_delay_alu instid0(SALU_CYCLE_1)
	s_and_b32 s12, s12, exec_lo
	s_or_saveexec_b32 s27, s27
	v_mov_b32_e32 v69, s26
	s_xor_b32 exec_lo, exec_lo, s27
	s_cbranch_execz .LBB4_936
.LBB4_1183:                             ;   in Loop: Header=BB4_918 Depth=2
	v_cmp_ne_u16_e64 s11, 0, v70
	v_mov_b32_e32 v69, 0
	s_and_not1_b32 s12, s12, exec_lo
	s_delay_alu instid0(VALU_DEP_2) | instskip(NEXT) | instid1(SALU_CYCLE_1)
	s_and_b32 s11, s11, exec_lo
	s_or_b32 s12, s12, s11
	s_or_b32 exec_lo, exec_lo, s27
	s_and_saveexec_b32 s26, s12
	s_cbranch_execnz .LBB4_937
	s_branch .LBB4_938
.LBB4_1184:                             ;   in Loop: Header=BB4_918 Depth=2
	s_mov_b32 s12, -1
	s_mov_b32 s28, exec_lo
                                        ; implicit-def: $sgpr26
	v_cmpx_eq_u16_e32 0x80, v70
; %bb.1185:                             ;   in Loop: Header=BB4_918 Depth=2
	s_mov_b32 s26, 0x7f800001
	s_xor_b32 s12, exec_lo, -1
; %bb.1186:                             ;   in Loop: Header=BB4_918 Depth=2
	s_or_b32 exec_lo, exec_lo, s28
	s_delay_alu instid0(SALU_CYCLE_1)
	s_and_b32 s12, s12, exec_lo
	s_or_saveexec_b32 s27, s27
	v_mov_b32_e32 v71, s26
	s_xor_b32 exec_lo, exec_lo, s27
	s_cbranch_execz .LBB4_940
.LBB4_1187:                             ;   in Loop: Header=BB4_918 Depth=2
	v_cmp_ne_u16_e64 s11, 0, v70
	v_mov_b32_e32 v71, 0
	s_and_not1_b32 s12, s12, exec_lo
	s_delay_alu instid0(VALU_DEP_2) | instskip(NEXT) | instid1(SALU_CYCLE_1)
	s_and_b32 s11, s11, exec_lo
	s_or_b32 s12, s12, s11
	s_or_b32 exec_lo, exec_lo, s27
	s_and_saveexec_b32 s26, s12
	s_cbranch_execnz .LBB4_941
	s_branch .LBB4_942
.LBB4_1188:                             ;   in Loop: Header=BB4_918 Depth=2
	s_mov_b32 s12, -1
	s_mov_b32 s28, exec_lo
                                        ; implicit-def: $sgpr26
	v_cmpx_eq_u16_e32 0x80, v112
; %bb.1189:                             ;   in Loop: Header=BB4_918 Depth=2
	s_mov_b32 s26, 0x7f800001
	s_xor_b32 s12, exec_lo, -1
; %bb.1190:                             ;   in Loop: Header=BB4_918 Depth=2
	s_or_b32 exec_lo, exec_lo, s28
	s_delay_alu instid0(SALU_CYCLE_1)
	s_and_b32 s12, s12, exec_lo
                                        ; implicit-def: $vgpr112
	s_or_saveexec_b32 s27, s27
	v_mov_b32_e32 v70, s26
	s_xor_b32 exec_lo, exec_lo, s27
	s_cbranch_execz .LBB4_952
.LBB4_1191:                             ;   in Loop: Header=BB4_918 Depth=2
	v_cmp_ne_u16_e64 s11, 0, v112
	v_mov_b32_e32 v70, 0
	s_and_not1_b32 s12, s12, exec_lo
	s_delay_alu instid0(VALU_DEP_2) | instskip(NEXT) | instid1(SALU_CYCLE_1)
	s_and_b32 s11, s11, exec_lo
	s_or_b32 s12, s12, s11
	s_or_b32 exec_lo, exec_lo, s27
	s_and_saveexec_b32 s26, s12
	s_cbranch_execnz .LBB4_953
	s_branch .LBB4_954
.LBB4_1192:                             ;   in Loop: Header=BB4_918 Depth=2
	s_mov_b32 s12, -1
	s_mov_b32 s28, exec_lo
                                        ; implicit-def: $sgpr26
	v_cmpx_eq_u16_e32 0x80, v113
; %bb.1193:                             ;   in Loop: Header=BB4_918 Depth=2
	s_mov_b32 s26, 0x7f800001
	s_xor_b32 s12, exec_lo, -1
; %bb.1194:                             ;   in Loop: Header=BB4_918 Depth=2
	s_or_b32 exec_lo, exec_lo, s28
	s_delay_alu instid0(SALU_CYCLE_1)
	s_and_b32 s12, s12, exec_lo
                                        ; implicit-def: $vgpr113
	s_or_saveexec_b32 s27, s27
	v_mov_b32_e32 v112, s26
	s_xor_b32 exec_lo, exec_lo, s27
	s_cbranch_execz .LBB4_956
.LBB4_1195:                             ;   in Loop: Header=BB4_918 Depth=2
	v_cmp_ne_u16_e64 s11, 0, v113
	v_mov_b32_e32 v112, 0
	s_and_not1_b32 s12, s12, exec_lo
	s_delay_alu instid0(VALU_DEP_2) | instskip(NEXT) | instid1(SALU_CYCLE_1)
	s_and_b32 s11, s11, exec_lo
	s_or_b32 s12, s12, s11
	s_or_b32 exec_lo, exec_lo, s27
	s_and_saveexec_b32 s26, s12
	s_cbranch_execnz .LBB4_957
	s_branch .LBB4_958
.LBB4_1196:                             ;   in Loop: Header=BB4_918 Depth=2
	s_mov_b32 s12, -1
	s_mov_b32 s28, exec_lo
                                        ; implicit-def: $sgpr26
	v_cmpx_eq_u16_e32 0x80, v112
; %bb.1197:                             ;   in Loop: Header=BB4_918 Depth=2
	s_mov_b32 s26, 0x7f800001
	s_xor_b32 s12, exec_lo, -1
; %bb.1198:                             ;   in Loop: Header=BB4_918 Depth=2
	s_or_b32 exec_lo, exec_lo, s28
	s_delay_alu instid0(SALU_CYCLE_1)
	s_and_b32 s12, s12, exec_lo
	s_or_saveexec_b32 s27, s27
	v_mov_b32_e32 v71, s26
	s_xor_b32 exec_lo, exec_lo, s27
	s_cbranch_execz .LBB4_968
.LBB4_1199:                             ;   in Loop: Header=BB4_918 Depth=2
	v_cmp_ne_u16_e64 s11, 0, v112
	v_mov_b32_e32 v71, 0
	s_and_not1_b32 s12, s12, exec_lo
	s_delay_alu instid0(VALU_DEP_2) | instskip(NEXT) | instid1(SALU_CYCLE_1)
	s_and_b32 s11, s11, exec_lo
	s_or_b32 s12, s12, s11
	s_or_b32 exec_lo, exec_lo, s27
	s_and_saveexec_b32 s26, s12
	s_cbranch_execnz .LBB4_969
	s_branch .LBB4_970
.LBB4_1200:                             ;   in Loop: Header=BB4_918 Depth=2
	s_mov_b32 s12, -1
	s_mov_b32 s28, exec_lo
                                        ; implicit-def: $sgpr26
	v_cmpx_eq_u16_e32 0x80, v14
; %bb.1201:                             ;   in Loop: Header=BB4_918 Depth=2
	s_mov_b32 s26, 0x7f800001
	s_xor_b32 s12, exec_lo, -1
; %bb.1202:                             ;   in Loop: Header=BB4_918 Depth=2
	s_or_b32 exec_lo, exec_lo, s28
	s_delay_alu instid0(SALU_CYCLE_1)
	s_and_b32 s12, s12, exec_lo
	s_or_saveexec_b32 s27, s27
	v_mov_b32_e32 v112, s26
	s_xor_b32 exec_lo, exec_lo, s27
	s_cbranch_execz .LBB4_972
.LBB4_1203:                             ;   in Loop: Header=BB4_918 Depth=2
	v_cmp_ne_u16_e64 s11, 0, v14
	v_mov_b32_e32 v112, 0
	s_and_not1_b32 s12, s12, exec_lo
	s_delay_alu instid0(VALU_DEP_2) | instskip(NEXT) | instid1(SALU_CYCLE_1)
	s_and_b32 s11, s11, exec_lo
	s_or_b32 s12, s12, s11
	s_or_b32 exec_lo, exec_lo, s27
	s_and_saveexec_b32 s26, s12
	s_cbranch_execnz .LBB4_973
	s_branch .LBB4_974
.LBB4_1204:                             ;   in Loop: Header=BB4_918 Depth=2
	s_mov_b32 s12, -1
	s_mov_b32 s28, exec_lo
                                        ; implicit-def: $sgpr26
	v_cmpx_eq_u16_e32 0x80, v71
; %bb.1205:                             ;   in Loop: Header=BB4_918 Depth=2
	s_mov_b32 s26, 0x7f800001
	s_xor_b32 s12, exec_lo, -1
; %bb.1206:                             ;   in Loop: Header=BB4_918 Depth=2
	s_or_b32 exec_lo, exec_lo, s28
	s_delay_alu instid0(SALU_CYCLE_1)
	s_and_b32 s12, s12, exec_lo
                                        ; implicit-def: $vgpr71
	s_or_saveexec_b32 s27, s27
	v_mov_b32_e32 v14, s26
	s_xor_b32 exec_lo, exec_lo, s27
	s_cbranch_execz .LBB4_984
.LBB4_1207:                             ;   in Loop: Header=BB4_918 Depth=2
	v_cmp_ne_u16_e64 s11, 0, v71
	v_mov_b32_e32 v14, 0
	s_and_not1_b32 s12, s12, exec_lo
	s_delay_alu instid0(VALU_DEP_2) | instskip(NEXT) | instid1(SALU_CYCLE_1)
	s_and_b32 s11, s11, exec_lo
	s_or_b32 s12, s12, s11
	s_or_b32 exec_lo, exec_lo, s27
	s_and_saveexec_b32 s26, s12
	s_cbranch_execnz .LBB4_985
	s_branch .LBB4_986
.LBB4_1208:                             ;   in Loop: Header=BB4_918 Depth=2
	s_mov_b32 s12, -1
	s_mov_b32 s28, exec_lo
                                        ; implicit-def: $sgpr26
	v_cmpx_eq_u16_e32 0x80, v112
; %bb.1209:                             ;   in Loop: Header=BB4_918 Depth=2
	s_mov_b32 s26, 0x7f800001
	s_xor_b32 s12, exec_lo, -1
; %bb.1210:                             ;   in Loop: Header=BB4_918 Depth=2
	s_or_b32 exec_lo, exec_lo, s28
	s_delay_alu instid0(SALU_CYCLE_1)
	s_and_b32 s12, s12, exec_lo
                                        ; implicit-def: $vgpr112
	s_or_saveexec_b32 s27, s27
	v_mov_b32_e32 v71, s26
	s_xor_b32 exec_lo, exec_lo, s27
	s_cbranch_execz .LBB4_988
.LBB4_1211:                             ;   in Loop: Header=BB4_918 Depth=2
	v_cmp_ne_u16_e64 s11, 0, v112
	v_mov_b32_e32 v71, 0
	s_and_not1_b32 s12, s12, exec_lo
	s_delay_alu instid0(VALU_DEP_2) | instskip(NEXT) | instid1(SALU_CYCLE_1)
	s_and_b32 s11, s11, exec_lo
	s_or_b32 s12, s12, s11
	s_or_b32 exec_lo, exec_lo, s27
	s_and_saveexec_b32 s26, s12
	s_cbranch_execnz .LBB4_989
	s_branch .LBB4_990
.LBB4_1212:                             ;   in Loop: Header=BB4_918 Depth=2
	s_mov_b32 s12, -1
	s_mov_b32 s28, exec_lo
                                        ; implicit-def: $sgpr26
	v_cmpx_eq_u16_e32 0x80, v112
; %bb.1213:                             ;   in Loop: Header=BB4_918 Depth=2
	s_mov_b32 s26, 0x7f800001
	s_xor_b32 s12, exec_lo, -1
; %bb.1214:                             ;   in Loop: Header=BB4_918 Depth=2
	s_or_b32 exec_lo, exec_lo, s28
	s_delay_alu instid0(SALU_CYCLE_1)
	s_and_b32 s12, s12, exec_lo
	s_or_saveexec_b32 s27, s27
	v_mov_b32_e32 v71, s26
	s_xor_b32 exec_lo, exec_lo, s27
	s_cbranch_execz .LBB4_1000
.LBB4_1215:                             ;   in Loop: Header=BB4_918 Depth=2
	v_cmp_ne_u16_e64 s11, 0, v112
	v_mov_b32_e32 v71, 0
	s_and_not1_b32 s12, s12, exec_lo
	s_delay_alu instid0(VALU_DEP_2) | instskip(NEXT) | instid1(SALU_CYCLE_1)
	s_and_b32 s11, s11, exec_lo
	s_or_b32 s12, s12, s11
	s_or_b32 exec_lo, exec_lo, s27
	s_and_saveexec_b32 s26, s12
	s_cbranch_execnz .LBB4_1001
	s_branch .LBB4_1002
.LBB4_1216:                             ;   in Loop: Header=BB4_918 Depth=2
	s_mov_b32 s12, -1
	s_mov_b32 s28, exec_lo
                                        ; implicit-def: $sgpr26
	v_cmpx_eq_u16_e32 0x80, v112
; %bb.1217:                             ;   in Loop: Header=BB4_918 Depth=2
	s_mov_b32 s26, 0x7f800001
	s_xor_b32 s12, exec_lo, -1
; %bb.1218:                             ;   in Loop: Header=BB4_918 Depth=2
	s_or_b32 exec_lo, exec_lo, s28
	s_delay_alu instid0(SALU_CYCLE_1)
	s_and_b32 s12, s12, exec_lo
	s_or_saveexec_b32 s27, s27
	v_mov_b32_e32 v113, s26
	s_xor_b32 exec_lo, exec_lo, s27
	s_cbranch_execz .LBB4_1004
.LBB4_1219:                             ;   in Loop: Header=BB4_918 Depth=2
	v_cmp_ne_u16_e64 s11, 0, v112
	v_mov_b32_e32 v113, 0
	s_and_not1_b32 s12, s12, exec_lo
	s_delay_alu instid0(VALU_DEP_2) | instskip(NEXT) | instid1(SALU_CYCLE_1)
	s_and_b32 s11, s11, exec_lo
	s_or_b32 s12, s12, s11
	s_or_b32 exec_lo, exec_lo, s27
	s_and_saveexec_b32 s26, s12
	s_cbranch_execnz .LBB4_1005
	s_branch .LBB4_1006
.LBB4_1220:                             ;   in Loop: Header=BB4_918 Depth=2
	s_mov_b32 s12, -1
	s_mov_b32 s28, exec_lo
                                        ; implicit-def: $sgpr26
	v_cmpx_eq_u16_e32 0x80, v114
; %bb.1221:                             ;   in Loop: Header=BB4_918 Depth=2
	s_mov_b32 s26, 0x7f800001
	s_xor_b32 s12, exec_lo, -1
; %bb.1222:                             ;   in Loop: Header=BB4_918 Depth=2
	s_or_b32 exec_lo, exec_lo, s28
	s_delay_alu instid0(SALU_CYCLE_1)
	s_and_b32 s12, s12, exec_lo
                                        ; implicit-def: $vgpr114
	s_or_saveexec_b32 s27, s27
	v_mov_b32_e32 v112, s26
	s_xor_b32 exec_lo, exec_lo, s27
	s_cbranch_execz .LBB4_1016
.LBB4_1223:                             ;   in Loop: Header=BB4_918 Depth=2
	v_cmp_ne_u16_e64 s11, 0, v114
	v_mov_b32_e32 v112, 0
	s_and_not1_b32 s12, s12, exec_lo
	s_delay_alu instid0(VALU_DEP_2) | instskip(NEXT) | instid1(SALU_CYCLE_1)
	s_and_b32 s11, s11, exec_lo
	s_or_b32 s12, s12, s11
	s_or_b32 exec_lo, exec_lo, s27
	s_and_saveexec_b32 s26, s12
	s_cbranch_execnz .LBB4_1017
	s_branch .LBB4_1018
.LBB4_1224:                             ;   in Loop: Header=BB4_918 Depth=2
	s_mov_b32 s12, -1
	s_mov_b32 s28, exec_lo
                                        ; implicit-def: $sgpr26
	v_cmpx_eq_u16_e32 0x80, v115
; %bb.1225:                             ;   in Loop: Header=BB4_918 Depth=2
	s_mov_b32 s26, 0x7f800001
	s_xor_b32 s12, exec_lo, -1
; %bb.1226:                             ;   in Loop: Header=BB4_918 Depth=2
	s_or_b32 exec_lo, exec_lo, s28
	s_delay_alu instid0(SALU_CYCLE_1)
	s_and_b32 s12, s12, exec_lo
                                        ; implicit-def: $vgpr115
	s_or_saveexec_b32 s27, s27
	v_mov_b32_e32 v114, s26
	s_xor_b32 exec_lo, exec_lo, s27
	s_cbranch_execz .LBB4_1020
.LBB4_1227:                             ;   in Loop: Header=BB4_918 Depth=2
	v_cmp_ne_u16_e64 s11, 0, v115
	v_mov_b32_e32 v114, 0
	s_and_not1_b32 s12, s12, exec_lo
	s_delay_alu instid0(VALU_DEP_2) | instskip(NEXT) | instid1(SALU_CYCLE_1)
	s_and_b32 s11, s11, exec_lo
	s_or_b32 s12, s12, s11
	s_or_b32 exec_lo, exec_lo, s27
	s_and_saveexec_b32 s26, s12
	s_cbranch_execnz .LBB4_1021
	s_branch .LBB4_1022
.LBB4_1228:                             ;   in Loop: Header=BB4_918 Depth=2
	s_mov_b32 s12, -1
	s_mov_b32 s28, exec_lo
                                        ; implicit-def: $sgpr26
	v_cmpx_eq_u16_e32 0x80, v114
; %bb.1229:                             ;   in Loop: Header=BB4_918 Depth=2
	s_mov_b32 s26, 0x7f800001
	s_xor_b32 s12, exec_lo, -1
; %bb.1230:                             ;   in Loop: Header=BB4_918 Depth=2
	s_or_b32 exec_lo, exec_lo, s28
	s_delay_alu instid0(SALU_CYCLE_1)
	s_and_b32 s12, s12, exec_lo
	s_or_saveexec_b32 s27, s27
	v_mov_b32_e32 v113, s26
	s_xor_b32 exec_lo, exec_lo, s27
	s_cbranch_execz .LBB4_1032
.LBB4_1231:                             ;   in Loop: Header=BB4_918 Depth=2
	v_cmp_ne_u16_e64 s11, 0, v114
	v_mov_b32_e32 v113, 0
	s_and_not1_b32 s12, s12, exec_lo
	s_delay_alu instid0(VALU_DEP_2) | instskip(NEXT) | instid1(SALU_CYCLE_1)
	s_and_b32 s11, s11, exec_lo
	s_or_b32 s12, s12, s11
	s_or_b32 exec_lo, exec_lo, s27
	s_and_saveexec_b32 s26, s12
	s_cbranch_execnz .LBB4_1033
	s_branch .LBB4_1034
.LBB4_1232:                             ;   in Loop: Header=BB4_918 Depth=2
	s_mov_b32 s12, -1
	s_mov_b32 s28, exec_lo
                                        ; implicit-def: $sgpr26
	v_cmpx_eq_u16_e32 0x80, v15
; %bb.1233:                             ;   in Loop: Header=BB4_918 Depth=2
	s_mov_b32 s26, 0x7f800001
	s_xor_b32 s12, exec_lo, -1
; %bb.1234:                             ;   in Loop: Header=BB4_918 Depth=2
	s_or_b32 exec_lo, exec_lo, s28
	s_delay_alu instid0(SALU_CYCLE_1)
	s_and_b32 s12, s12, exec_lo
	s_or_saveexec_b32 s27, s27
	v_mov_b32_e32 v114, s26
	s_xor_b32 exec_lo, exec_lo, s27
	s_cbranch_execz .LBB4_1036
.LBB4_1235:                             ;   in Loop: Header=BB4_918 Depth=2
	v_cmp_ne_u16_e64 s11, 0, v15
	v_mov_b32_e32 v114, 0
	s_and_not1_b32 s12, s12, exec_lo
	s_delay_alu instid0(VALU_DEP_2) | instskip(NEXT) | instid1(SALU_CYCLE_1)
	s_and_b32 s11, s11, exec_lo
	s_or_b32 s12, s12, s11
	s_or_b32 exec_lo, exec_lo, s27
	s_and_saveexec_b32 s26, s12
	s_cbranch_execnz .LBB4_1037
	s_branch .LBB4_1038
.LBB4_1236:                             ;   in Loop: Header=BB4_918 Depth=2
	s_mov_b32 s12, -1
	s_mov_b32 s28, exec_lo
                                        ; implicit-def: $sgpr26
	v_cmpx_eq_u16_e32 0x80, v113
; %bb.1237:                             ;   in Loop: Header=BB4_918 Depth=2
	s_mov_b32 s26, 0x7f800001
	s_xor_b32 s12, exec_lo, -1
; %bb.1238:                             ;   in Loop: Header=BB4_918 Depth=2
	s_or_b32 exec_lo, exec_lo, s28
	s_delay_alu instid0(SALU_CYCLE_1)
	s_and_b32 s12, s12, exec_lo
                                        ; implicit-def: $vgpr113
	s_or_saveexec_b32 s27, s27
	v_mov_b32_e32 v15, s26
	s_xor_b32 exec_lo, exec_lo, s27
	s_cbranch_execz .LBB4_1048
.LBB4_1239:                             ;   in Loop: Header=BB4_918 Depth=2
	v_cmp_ne_u16_e64 s11, 0, v113
	v_mov_b32_e32 v15, 0
	s_and_not1_b32 s12, s12, exec_lo
	s_delay_alu instid0(VALU_DEP_2) | instskip(NEXT) | instid1(SALU_CYCLE_1)
	s_and_b32 s11, s11, exec_lo
	s_or_b32 s12, s12, s11
	s_or_b32 exec_lo, exec_lo, s27
	s_and_saveexec_b32 s26, s12
	s_cbranch_execnz .LBB4_1049
	s_branch .LBB4_1050
.LBB4_1240:                             ;   in Loop: Header=BB4_918 Depth=2
	s_mov_b32 s12, -1
	s_mov_b32 s28, exec_lo
                                        ; implicit-def: $sgpr26
	v_cmpx_eq_u16_e32 0x80, v114
; %bb.1241:                             ;   in Loop: Header=BB4_918 Depth=2
	s_mov_b32 s26, 0x7f800001
	s_xor_b32 s12, exec_lo, -1
; %bb.1242:                             ;   in Loop: Header=BB4_918 Depth=2
	s_or_b32 exec_lo, exec_lo, s28
	s_delay_alu instid0(SALU_CYCLE_1)
	s_and_b32 s12, s12, exec_lo
                                        ; implicit-def: $vgpr114
	s_or_saveexec_b32 s27, s27
	v_mov_b32_e32 v113, s26
	s_xor_b32 exec_lo, exec_lo, s27
	s_cbranch_execz .LBB4_1052
.LBB4_1243:                             ;   in Loop: Header=BB4_918 Depth=2
	v_cmp_ne_u16_e64 s11, 0, v114
	v_mov_b32_e32 v113, 0
	s_and_not1_b32 s12, s12, exec_lo
	s_delay_alu instid0(VALU_DEP_2) | instskip(NEXT) | instid1(SALU_CYCLE_1)
	s_and_b32 s11, s11, exec_lo
	s_or_b32 s12, s12, s11
	s_or_b32 exec_lo, exec_lo, s27
	s_and_saveexec_b32 s26, s12
	s_cbranch_execnz .LBB4_1053
	s_branch .LBB4_1054
.LBB4_1244:                             ;   in Loop: Header=BB4_918 Depth=2
	s_mov_b32 s12, -1
	s_mov_b32 s28, exec_lo
                                        ; implicit-def: $sgpr26
	v_cmpx_eq_u16_e32 0x80, v114
; %bb.1245:                             ;   in Loop: Header=BB4_918 Depth=2
	s_mov_b32 s26, 0x7f800001
	s_xor_b32 s12, exec_lo, -1
; %bb.1246:                             ;   in Loop: Header=BB4_918 Depth=2
	s_or_b32 exec_lo, exec_lo, s28
	s_delay_alu instid0(SALU_CYCLE_1)
	s_and_b32 s12, s12, exec_lo
	s_or_saveexec_b32 s27, s27
	v_mov_b32_e32 v113, s26
	s_xor_b32 exec_lo, exec_lo, s27
	s_cbranch_execz .LBB4_1064
.LBB4_1247:                             ;   in Loop: Header=BB4_918 Depth=2
	v_cmp_ne_u16_e64 s11, 0, v114
	v_mov_b32_e32 v113, 0
	s_and_not1_b32 s12, s12, exec_lo
	s_delay_alu instid0(VALU_DEP_2) | instskip(NEXT) | instid1(SALU_CYCLE_1)
	s_and_b32 s11, s11, exec_lo
	s_or_b32 s12, s12, s11
	s_or_b32 exec_lo, exec_lo, s27
	s_and_saveexec_b32 s26, s12
	s_cbranch_execnz .LBB4_1065
	s_branch .LBB4_1066
.LBB4_1248:                             ;   in Loop: Header=BB4_918 Depth=2
	s_mov_b32 s12, -1
	s_mov_b32 s28, exec_lo
                                        ; implicit-def: $sgpr26
	v_cmpx_eq_u16_e32 0x80, v114
; %bb.1249:                             ;   in Loop: Header=BB4_918 Depth=2
	s_mov_b32 s26, 0x7f800001
	s_xor_b32 s12, exec_lo, -1
; %bb.1250:                             ;   in Loop: Header=BB4_918 Depth=2
	s_or_b32 exec_lo, exec_lo, s28
	s_delay_alu instid0(SALU_CYCLE_1)
	s_and_b32 s12, s12, exec_lo
	s_or_saveexec_b32 s27, s27
	v_mov_b32_e32 v115, s26
	s_xor_b32 exec_lo, exec_lo, s27
	s_cbranch_execz .LBB4_1068
.LBB4_1251:                             ;   in Loop: Header=BB4_918 Depth=2
	v_cmp_ne_u16_e64 s11, 0, v114
	v_mov_b32_e32 v115, 0
	s_and_not1_b32 s12, s12, exec_lo
	s_delay_alu instid0(VALU_DEP_2) | instskip(NEXT) | instid1(SALU_CYCLE_1)
	s_and_b32 s11, s11, exec_lo
	s_or_b32 s12, s12, s11
	s_or_b32 exec_lo, exec_lo, s27
	s_and_saveexec_b32 s26, s12
	s_cbranch_execnz .LBB4_1069
	s_branch .LBB4_1070
.LBB4_1252:                             ;   in Loop: Header=BB4_918 Depth=2
	s_mov_b32 s12, -1
	s_mov_b32 s28, exec_lo
                                        ; implicit-def: $sgpr26
	v_cmpx_eq_u16_e32 0x80, v116
; %bb.1253:                             ;   in Loop: Header=BB4_918 Depth=2
	s_mov_b32 s26, 0x7f800001
	s_xor_b32 s12, exec_lo, -1
; %bb.1254:                             ;   in Loop: Header=BB4_918 Depth=2
	s_or_b32 exec_lo, exec_lo, s28
	s_delay_alu instid0(SALU_CYCLE_1)
	s_and_b32 s12, s12, exec_lo
                                        ; implicit-def: $vgpr116
	s_or_saveexec_b32 s27, s27
	v_mov_b32_e32 v114, s26
	s_xor_b32 exec_lo, exec_lo, s27
	s_cbranch_execz .LBB4_1080
.LBB4_1255:                             ;   in Loop: Header=BB4_918 Depth=2
	v_cmp_ne_u16_e64 s11, 0, v116
	v_mov_b32_e32 v114, 0
	s_and_not1_b32 s12, s12, exec_lo
	s_delay_alu instid0(VALU_DEP_2) | instskip(NEXT) | instid1(SALU_CYCLE_1)
	s_and_b32 s11, s11, exec_lo
	s_or_b32 s12, s12, s11
	s_or_b32 exec_lo, exec_lo, s27
	s_and_saveexec_b32 s26, s12
	s_cbranch_execnz .LBB4_1081
	s_branch .LBB4_1082
.LBB4_1256:                             ;   in Loop: Header=BB4_918 Depth=2
	s_mov_b32 s12, -1
	s_mov_b32 s28, exec_lo
                                        ; implicit-def: $sgpr26
	v_cmpx_eq_u16_e32 0x80, v117
; %bb.1257:                             ;   in Loop: Header=BB4_918 Depth=2
	s_mov_b32 s26, 0x7f800001
	s_xor_b32 s12, exec_lo, -1
; %bb.1258:                             ;   in Loop: Header=BB4_918 Depth=2
	s_or_b32 exec_lo, exec_lo, s28
	s_delay_alu instid0(SALU_CYCLE_1)
	s_and_b32 s12, s12, exec_lo
                                        ; implicit-def: $vgpr117
	s_or_saveexec_b32 s27, s27
	v_mov_b32_e32 v116, s26
	s_xor_b32 exec_lo, exec_lo, s27
	s_cbranch_execz .LBB4_1084
.LBB4_1259:                             ;   in Loop: Header=BB4_918 Depth=2
	v_cmp_ne_u16_e64 s11, 0, v117
	v_mov_b32_e32 v116, 0
	s_and_not1_b32 s12, s12, exec_lo
	s_delay_alu instid0(VALU_DEP_2) | instskip(NEXT) | instid1(SALU_CYCLE_1)
	s_and_b32 s11, s11, exec_lo
	s_or_b32 s12, s12, s11
	s_or_b32 exec_lo, exec_lo, s27
	s_and_saveexec_b32 s26, s12
	s_cbranch_execnz .LBB4_1085
	s_branch .LBB4_1086
.LBB4_1260:                             ;   in Loop: Header=BB4_918 Depth=2
	s_mov_b32 s12, -1
	s_mov_b32 s28, exec_lo
                                        ; implicit-def: $sgpr26
	v_cmpx_eq_u16_e32 0x80, v116
; %bb.1261:                             ;   in Loop: Header=BB4_918 Depth=2
	s_mov_b32 s26, 0x7f800001
	s_xor_b32 s12, exec_lo, -1
; %bb.1262:                             ;   in Loop: Header=BB4_918 Depth=2
	s_or_b32 exec_lo, exec_lo, s28
	s_delay_alu instid0(SALU_CYCLE_1)
	s_and_b32 s12, s12, exec_lo
	s_or_saveexec_b32 s27, s27
	v_mov_b32_e32 v115, s26
	s_xor_b32 exec_lo, exec_lo, s27
	s_cbranch_execz .LBB4_1096
.LBB4_1263:                             ;   in Loop: Header=BB4_918 Depth=2
	v_cmp_ne_u16_e64 s11, 0, v116
	v_mov_b32_e32 v115, 0
	s_and_not1_b32 s12, s12, exec_lo
	s_delay_alu instid0(VALU_DEP_2) | instskip(NEXT) | instid1(SALU_CYCLE_1)
	s_and_b32 s11, s11, exec_lo
	s_or_b32 s12, s12, s11
	s_or_b32 exec_lo, exec_lo, s27
	s_and_saveexec_b32 s26, s12
	s_cbranch_execnz .LBB4_1097
	s_branch .LBB4_1098
.LBB4_1264:                             ;   in Loop: Header=BB4_918 Depth=2
	s_mov_b32 s12, -1
	s_mov_b32 s28, exec_lo
                                        ; implicit-def: $sgpr26
	v_cmpx_eq_u16_e32 0x80, v16
; %bb.1265:                             ;   in Loop: Header=BB4_918 Depth=2
	s_mov_b32 s26, 0x7f800001
	s_xor_b32 s12, exec_lo, -1
; %bb.1266:                             ;   in Loop: Header=BB4_918 Depth=2
	s_or_b32 exec_lo, exec_lo, s28
	s_delay_alu instid0(SALU_CYCLE_1)
	s_and_b32 s12, s12, exec_lo
	s_or_saveexec_b32 s27, s27
	v_mov_b32_e32 v116, s26
	s_xor_b32 exec_lo, exec_lo, s27
	s_cbranch_execz .LBB4_1100
.LBB4_1267:                             ;   in Loop: Header=BB4_918 Depth=2
	v_cmp_ne_u16_e64 s11, 0, v16
	v_mov_b32_e32 v116, 0
	s_and_not1_b32 s12, s12, exec_lo
	s_delay_alu instid0(VALU_DEP_2) | instskip(NEXT) | instid1(SALU_CYCLE_1)
	s_and_b32 s11, s11, exec_lo
	s_or_b32 s12, s12, s11
	s_or_b32 exec_lo, exec_lo, s27
	s_and_saveexec_b32 s26, s12
	s_cbranch_execnz .LBB4_1101
	s_branch .LBB4_1102
.LBB4_1268:                             ;   in Loop: Header=BB4_918 Depth=2
	s_mov_b32 s12, -1
	s_mov_b32 s28, exec_lo
                                        ; implicit-def: $sgpr26
	v_cmpx_eq_u16_e32 0x80, v115
; %bb.1269:                             ;   in Loop: Header=BB4_918 Depth=2
	s_mov_b32 s26, 0x7f800001
	s_xor_b32 s12, exec_lo, -1
; %bb.1270:                             ;   in Loop: Header=BB4_918 Depth=2
	s_or_b32 exec_lo, exec_lo, s28
	s_delay_alu instid0(SALU_CYCLE_1)
	s_and_b32 s12, s12, exec_lo
                                        ; implicit-def: $vgpr115
	s_or_saveexec_b32 s27, s27
	v_mov_b32_e32 v16, s26
	s_xor_b32 exec_lo, exec_lo, s27
	s_cbranch_execz .LBB4_1112
.LBB4_1271:                             ;   in Loop: Header=BB4_918 Depth=2
	v_cmp_ne_u16_e64 s11, 0, v115
	v_mov_b32_e32 v16, 0
	s_and_not1_b32 s12, s12, exec_lo
	s_delay_alu instid0(VALU_DEP_2) | instskip(NEXT) | instid1(SALU_CYCLE_1)
	s_and_b32 s11, s11, exec_lo
	s_or_b32 s12, s12, s11
	s_or_b32 exec_lo, exec_lo, s27
	s_and_saveexec_b32 s26, s12
	s_cbranch_execnz .LBB4_1113
	s_branch .LBB4_1114
.LBB4_1272:                             ;   in Loop: Header=BB4_918 Depth=2
	s_mov_b32 s12, -1
	s_mov_b32 s28, exec_lo
                                        ; implicit-def: $sgpr26
	v_cmpx_eq_u16_e32 0x80, v116
; %bb.1273:                             ;   in Loop: Header=BB4_918 Depth=2
	s_mov_b32 s26, 0x7f800001
	s_xor_b32 s12, exec_lo, -1
; %bb.1274:                             ;   in Loop: Header=BB4_918 Depth=2
	s_or_b32 exec_lo, exec_lo, s28
	s_delay_alu instid0(SALU_CYCLE_1)
	s_and_b32 s12, s12, exec_lo
                                        ; implicit-def: $vgpr116
	s_or_saveexec_b32 s27, s27
	v_mov_b32_e32 v115, s26
	s_xor_b32 exec_lo, exec_lo, s27
	s_cbranch_execz .LBB4_1116
.LBB4_1275:                             ;   in Loop: Header=BB4_918 Depth=2
	v_cmp_ne_u16_e64 s11, 0, v116
	v_mov_b32_e32 v115, 0
	s_and_not1_b32 s12, s12, exec_lo
	s_delay_alu instid0(VALU_DEP_2) | instskip(NEXT) | instid1(SALU_CYCLE_1)
	s_and_b32 s11, s11, exec_lo
	s_or_b32 s12, s12, s11
	s_or_b32 exec_lo, exec_lo, s27
	s_and_saveexec_b32 s26, s12
	s_cbranch_execnz .LBB4_1117
	s_branch .LBB4_1118
.LBB4_1276:                             ;   in Loop: Header=BB4_918 Depth=2
	s_mov_b32 s12, -1
	s_mov_b32 s28, exec_lo
                                        ; implicit-def: $sgpr26
	v_cmpx_eq_u16_e32 0x80, v116
; %bb.1277:                             ;   in Loop: Header=BB4_918 Depth=2
	s_mov_b32 s26, 0x7f800001
	s_xor_b32 s12, exec_lo, -1
; %bb.1278:                             ;   in Loop: Header=BB4_918 Depth=2
	s_or_b32 exec_lo, exec_lo, s28
	s_delay_alu instid0(SALU_CYCLE_1)
	s_and_b32 s12, s12, exec_lo
	s_or_saveexec_b32 s27, s27
	v_mov_b32_e32 v115, s26
	s_xor_b32 exec_lo, exec_lo, s27
	s_cbranch_execz .LBB4_1128
.LBB4_1279:                             ;   in Loop: Header=BB4_918 Depth=2
	v_cmp_ne_u16_e64 s11, 0, v116
	v_mov_b32_e32 v115, 0
	s_and_not1_b32 s12, s12, exec_lo
	s_delay_alu instid0(VALU_DEP_2) | instskip(NEXT) | instid1(SALU_CYCLE_1)
	s_and_b32 s11, s11, exec_lo
	s_or_b32 s12, s12, s11
	s_or_b32 exec_lo, exec_lo, s27
	s_and_saveexec_b32 s26, s12
	s_cbranch_execnz .LBB4_1129
	s_branch .LBB4_1130
.LBB4_1280:                             ;   in Loop: Header=BB4_918 Depth=2
	s_mov_b32 s12, -1
	s_mov_b32 s28, exec_lo
                                        ; implicit-def: $sgpr26
	v_cmpx_eq_u16_e32 0x80, v116
; %bb.1281:                             ;   in Loop: Header=BB4_918 Depth=2
	s_mov_b32 s26, 0x7f800001
	s_xor_b32 s12, exec_lo, -1
; %bb.1282:                             ;   in Loop: Header=BB4_918 Depth=2
	s_or_b32 exec_lo, exec_lo, s28
	s_delay_alu instid0(SALU_CYCLE_1)
	s_and_b32 s12, s12, exec_lo
	s_or_saveexec_b32 s27, s27
	v_mov_b32_e32 v117, s26
	s_xor_b32 exec_lo, exec_lo, s27
	s_cbranch_execz .LBB4_1132
.LBB4_1283:                             ;   in Loop: Header=BB4_918 Depth=2
	v_cmp_ne_u16_e64 s11, 0, v116
	v_mov_b32_e32 v117, 0
	s_and_not1_b32 s12, s12, exec_lo
	s_delay_alu instid0(VALU_DEP_2) | instskip(NEXT) | instid1(SALU_CYCLE_1)
	s_and_b32 s11, s11, exec_lo
	s_or_b32 s12, s12, s11
	s_or_b32 exec_lo, exec_lo, s27
	s_and_saveexec_b32 s26, s12
	s_cbranch_execnz .LBB4_1133
	s_branch .LBB4_1134
.LBB4_1284:                             ;   in Loop: Header=BB4_918 Depth=2
	s_mov_b32 s12, -1
	s_mov_b32 s28, exec_lo
                                        ; implicit-def: $sgpr26
	v_cmpx_eq_u16_e32 0x80, v118
; %bb.1285:                             ;   in Loop: Header=BB4_918 Depth=2
	s_mov_b32 s26, 0x7f800001
	s_xor_b32 s12, exec_lo, -1
; %bb.1286:                             ;   in Loop: Header=BB4_918 Depth=2
	s_or_b32 exec_lo, exec_lo, s28
	s_delay_alu instid0(SALU_CYCLE_1)
	s_and_b32 s12, s12, exec_lo
                                        ; implicit-def: $vgpr118
	s_or_saveexec_b32 s27, s27
	v_mov_b32_e32 v116, s26
	s_xor_b32 exec_lo, exec_lo, s27
	s_cbranch_execz .LBB4_1144
.LBB4_1287:                             ;   in Loop: Header=BB4_918 Depth=2
	v_cmp_ne_u16_e64 s11, 0, v118
	v_mov_b32_e32 v116, 0
	s_and_not1_b32 s12, s12, exec_lo
	s_delay_alu instid0(VALU_DEP_2) | instskip(NEXT) | instid1(SALU_CYCLE_1)
	s_and_b32 s11, s11, exec_lo
	s_or_b32 s12, s12, s11
	s_or_b32 exec_lo, exec_lo, s27
	s_and_saveexec_b32 s26, s12
	s_cbranch_execnz .LBB4_1145
	s_branch .LBB4_1146
.LBB4_1288:                             ;   in Loop: Header=BB4_918 Depth=2
	s_mov_b32 s12, -1
	s_mov_b32 s28, exec_lo
                                        ; implicit-def: $sgpr26
	v_cmpx_eq_u16_e32 0x80, v119
; %bb.1289:                             ;   in Loop: Header=BB4_918 Depth=2
	s_mov_b32 s26, 0x7f800001
	s_xor_b32 s12, exec_lo, -1
; %bb.1290:                             ;   in Loop: Header=BB4_918 Depth=2
	s_or_b32 exec_lo, exec_lo, s28
	s_delay_alu instid0(SALU_CYCLE_1)
	s_and_b32 s12, s12, exec_lo
                                        ; implicit-def: $vgpr119
	s_or_saveexec_b32 s27, s27
	v_mov_b32_e32 v118, s26
	s_xor_b32 exec_lo, exec_lo, s27
	s_cbranch_execz .LBB4_1148
.LBB4_1291:                             ;   in Loop: Header=BB4_918 Depth=2
	v_cmp_ne_u16_e64 s11, 0, v119
	v_mov_b32_e32 v118, 0
	s_and_not1_b32 s12, s12, exec_lo
	s_delay_alu instid0(VALU_DEP_2) | instskip(NEXT) | instid1(SALU_CYCLE_1)
	s_and_b32 s11, s11, exec_lo
	s_or_b32 s12, s12, s11
	s_or_b32 exec_lo, exec_lo, s27
	s_and_saveexec_b32 s26, s12
	s_cbranch_execnz .LBB4_1149
	s_branch .LBB4_1150
.LBB4_1292:                             ;   in Loop: Header=BB4_918 Depth=2
	s_mov_b32 s12, -1
	s_mov_b32 s28, exec_lo
                                        ; implicit-def: $sgpr26
	v_cmpx_eq_u16_e32 0x80, v118
; %bb.1293:                             ;   in Loop: Header=BB4_918 Depth=2
	s_mov_b32 s26, 0x7f800001
	s_xor_b32 s12, exec_lo, -1
; %bb.1294:                             ;   in Loop: Header=BB4_918 Depth=2
	s_or_b32 exec_lo, exec_lo, s28
	s_delay_alu instid0(SALU_CYCLE_1)
	s_and_b32 s12, s12, exec_lo
	s_or_saveexec_b32 s27, s27
	v_mov_b32_e32 v117, s26
	s_xor_b32 exec_lo, exec_lo, s27
	s_cbranch_execz .LBB4_1160
.LBB4_1295:                             ;   in Loop: Header=BB4_918 Depth=2
	v_cmp_ne_u16_e64 s11, 0, v118
	v_mov_b32_e32 v117, 0
	s_and_not1_b32 s12, s12, exec_lo
	s_delay_alu instid0(VALU_DEP_2) | instskip(NEXT) | instid1(SALU_CYCLE_1)
	s_and_b32 s11, s11, exec_lo
	s_or_b32 s12, s12, s11
	s_or_b32 exec_lo, exec_lo, s27
	s_and_saveexec_b32 s26, s12
	s_cbranch_execnz .LBB4_1161
	s_branch .LBB4_1162
.LBB4_1296:                             ;   in Loop: Header=BB4_918 Depth=2
	s_mov_b32 s12, -1
	s_mov_b32 s28, exec_lo
                                        ; implicit-def: $sgpr26
	v_cmpx_eq_u16_e32 0x80, v17
; %bb.1297:                             ;   in Loop: Header=BB4_918 Depth=2
	s_mov_b32 s26, 0x7f800001
	s_xor_b32 s12, exec_lo, -1
; %bb.1298:                             ;   in Loop: Header=BB4_918 Depth=2
	s_or_b32 exec_lo, exec_lo, s28
	s_delay_alu instid0(SALU_CYCLE_1)
	s_and_b32 s12, s12, exec_lo
	s_or_saveexec_b32 s27, s27
	v_mov_b32_e32 v118, s26
	s_xor_b32 exec_lo, exec_lo, s27
	s_cbranch_execz .LBB4_1164
.LBB4_1299:                             ;   in Loop: Header=BB4_918 Depth=2
	v_cmp_ne_u16_e64 s11, 0, v17
	v_mov_b32_e32 v118, 0
	s_and_not1_b32 s12, s12, exec_lo
	s_delay_alu instid0(VALU_DEP_2) | instskip(NEXT) | instid1(SALU_CYCLE_1)
	s_and_b32 s11, s11, exec_lo
	s_or_b32 s12, s12, s11
	s_or_b32 exec_lo, exec_lo, s27
	s_and_saveexec_b32 s26, s12
	s_cbranch_execnz .LBB4_1165
	s_branch .LBB4_1166
.LBB4_1300:                             ;   in Loop: Header=BB4_53 Depth=1
	s_or_b32 exec_lo, exec_lo, s25
.LBB4_1301:                             ;   in Loop: Header=BB4_53 Depth=1
	s_delay_alu instid0(SALU_CYCLE_1) | instskip(SKIP_3) | instid1(VALU_DEP_1)
	s_or_b32 exec_lo, exec_lo, s24
	v_dual_mov_b32 v16, 0 :: v_dual_and_b32 v11, 15, v52
	s_mov_b32 s12, 0
	s_mov_b32 s24, exec_lo
                                        ; implicit-def: $vgpr18
                                        ; implicit-def: $vgpr10
	v_cndmask_b32_e32 v17, v25, v11, vcc_lo
	s_delay_alu instid0(VALU_DEP_1)
	v_cmpx_ne_u32_e32 0, v17
	s_cbranch_execz .LBB4_1303
; %bb.1302:                             ;   in Loop: Header=BB4_53 Depth=1
	v_cmp_lt_i32_e64 s11, 0, v66
	v_sub_nc_u32_e32 v11, v25, v11
	v_and_b32_e32 v12, 0x3ffffe00, v52
	s_mov_b32 s12, exec_lo
	s_delay_alu instid0(VALU_DEP_3) | instskip(NEXT) | instid1(VALU_DEP_3)
	v_cndmask_b32_e64 v10, 0, v83, s11
	v_cndmask_b32_e32 v11, 0, v11, vcc_lo
	s_delay_alu instid0(VALU_DEP_2) | instskip(NEXT) | instid1(VALU_DEP_2)
	v_sub_nc_u32_e32 v10, v10, v66
	v_add_nc_u32_e32 v16, v11, v12
	s_delay_alu instid0(VALU_DEP_2) | instskip(NEXT) | instid1(VALU_DEP_1)
	v_lshl_add_u32 v18, v10, 5, v24
	v_ashrrev_i32_e32 v10, 31, v18
	s_delay_alu instid0(VALU_DEP_1) | instskip(NEXT) | instid1(VALU_DEP_1)
	v_lshrrev_b32_e32 v10, 27, v10
	v_add_nc_u32_e32 v10, v18, v10
	s_delay_alu instid0(VALU_DEP_1)
	v_ashrrev_i32_e32 v10, 5, v10
.LBB4_1303:                             ;   in Loop: Header=BB4_53 Depth=1
	s_or_b32 exec_lo, exec_lo, s24
	s_delay_alu instid0(SALU_CYCLE_1)
	s_and_b32 s11, s12, exec_lo
.LBB4_1304:                             ;   in Loop: Header=BB4_53 Depth=1
	s_or_b32 exec_lo, exec_lo, s23
.LBB4_1305:                             ;   in Loop: Header=BB4_53 Depth=1
	s_and_saveexec_b32 s12, s11
	s_cbranch_execz .LBB4_1724
; %bb.1306:                             ;   in Loop: Header=BB4_53 Depth=1
	s_delay_alu instid0(VALU_DEP_1) | instskip(SKIP_1) | instid1(VALU_DEP_1)
	v_ashrrev_i32_e32 v11, 31, v17
	s_mov_b32 s23, exec_lo
	v_lshrrev_b32_e32 v11, 23, v11
	s_delay_alu instid0(VALU_DEP_1) | instskip(NEXT) | instid1(VALU_DEP_1)
	v_add_nc_u32_e32 v11, v17, v11
	v_ashrrev_i32_e32 v20, 9, v11
	s_delay_alu instid0(VALU_DEP_1) | instskip(NEXT) | instid1(VALU_DEP_1)
	v_sub_nc_u32_e32 v19, v20, v10
	v_cmpx_lt_i32_e32 0, v19
	s_cbranch_execz .LBB4_1695
; %bb.1307:                             ;   in Loop: Header=BB4_53 Depth=1
	s_cbranch_execnz .LBB4_3965
; %bb.1308:                             ;   in Loop: Header=BB4_53 Depth=1
	v_ashrrev_i32_e32 v11, 31, v18
	ds_load_b64 v[21:22], v0
	v_lshlrev_b32_e32 v10, 9, v10
	s_mov_b32 s24, 0
	v_lshrrev_b32_e32 v11, 27, v11
	s_delay_alu instid0(VALU_DEP_1) | instskip(NEXT) | instid1(VALU_DEP_1)
	v_add_nc_u32_e32 v11, v18, v11
	v_and_b32_e32 v15, 0xffffffe0, v11
	ds_load_b128 v[11:14], v0
	v_sub_nc_u32_e32 v15, v18, v15
	s_waitcnt lgkmcnt(1)
	v_add_co_u32 v21, vcc_lo, 0x1e0, v21
	v_add_co_ci_u32_e32 v22, vcc_lo, 0, v22, vcc_lo
	s_delay_alu instid0(VALU_DEP_3) | instskip(NEXT) | instid1(VALU_DEP_1)
	v_add3_u32 v15, v16, v15, v10
	v_ashrrev_i32_e32 v23, 31, v15
	s_waitcnt lgkmcnt(0)
	v_add_co_u32 v10, vcc_lo, v11, v15
	s_delay_alu instid0(VALU_DEP_2)
	v_add_co_ci_u32_e32 v11, vcc_lo, v12, v23, vcc_lo
	v_add_co_u32 v12, vcc_lo, v13, v15
	v_add_co_ci_u32_e32 v13, vcc_lo, v14, v23, vcc_lo
	v_add_co_u32 v14, vcc_lo, v21, v15
	v_add_co_ci_u32_e32 v15, vcc_lo, v22, v23, vcc_lo
	s_branch .LBB4_1312
.LBB4_1309:                             ;   in Loop: Header=BB4_1312 Depth=2
	s_or_b32 exec_lo, exec_lo, s11
	s_delay_alu instid0(VALU_DEP_1) | instskip(NEXT) | instid1(VALU_DEP_2)
	v_lshrrev_b32_e32 v25, 21, v25
	v_cmp_gt_i32_e32 vcc_lo, 32, v21
	v_lshrrev_b32_e32 v22, 24, v22
	v_min_i32_e32 v68, 31, v21
	s_delay_alu instid0(VALU_DEP_2) | instskip(NEXT) | instid1(VALU_DEP_1)
	v_dual_cndmask_b32 v25, 3, v25 :: v_dual_and_b32 v22, 0x80, v22
	v_or_b32_e32 v21, v21, v25
	v_and_b32_e32 v71, 3, v25
	s_delay_alu instid0(VALU_DEP_2) | instskip(SKIP_1) | instid1(VALU_DEP_1)
	v_cmp_ne_u32_e32 vcc_lo, 0, v21
	v_lshlrev_b32_e32 v68, 2, v68
	v_or3_b32 v22, v68, v22, v71
	s_delay_alu instid0(VALU_DEP_1)
	v_cndmask_b32_e32 v21, 0, v22, vcc_lo
.LBB4_1310:                             ;   in Loop: Header=BB4_1312 Depth=2
	s_or_b32 exec_lo, exec_lo, s26
.LBB4_1311:                             ;   in Loop: Header=BB4_1312 Depth=2
	s_delay_alu instid0(SALU_CYCLE_1)
	s_or_b32 exec_lo, exec_lo, s25
	v_add_co_u32 v133, vcc_lo, 0xfffffe20, v14
	v_add_co_ci_u32_e32 v134, vcc_lo, -1, v15, vcc_lo
	v_add_co_u32 v144, vcc_lo, 0xfffffe40, v14
	v_add_co_ci_u32_e32 v145, vcc_lo, -1, v15, vcc_lo
	;; [unrolled: 2-line block ×5, first 2 shown]
	v_add_co_u32 v22, vcc_lo, 0xfffffec0, v14
	flat_store_b8 v[133:134], v23 glc slc dlc
	flat_store_b8 v[144:145], v66 glc slc dlc
	;; [unrolled: 1-line block ×5, first 2 shown]
	v_add_co_ci_u32_e32 v23, vcc_lo, -1, v15, vcc_lo
	v_add_co_u32 v68, vcc_lo, 0xfffffee0, v14
	v_add_co_ci_u32_e32 v69, vcc_lo, -1, v15, vcc_lo
	v_add_co_u32 v114, vcc_lo, 0xffffff00, v14
	;; [unrolled: 2-line block ×4, first 2 shown]
	v_add_co_ci_u32_e32 v145, vcc_lo, -1, v15, vcc_lo
	flat_store_b8 v[22:23], v118 glc slc dlc
	flat_store_b8 v[68:69], v129 glc slc dlc
	;; [unrolled: 1-line block ×5, first 2 shown]
	v_add_co_u32 v22, vcc_lo, 0xffffff60, v14
	v_add_co_ci_u32_e32 v23, vcc_lo, -1, v15, vcc_lo
	v_add_co_u32 v68, vcc_lo, 0xffffff80, v14
	v_add_co_ci_u32_e32 v69, vcc_lo, -1, v15, vcc_lo
	;; [unrolled: 2-line block ×5, first 2 shown]
	v_add_co_u32 v10, vcc_lo, v10, v100
	v_sub_nc_u32_e32 v19, v19, v83
	v_add_co_ci_u32_e32 v11, vcc_lo, v11, v101, vcc_lo
	v_add_co_u32 v12, vcc_lo, v12, v100
	v_add_co_ci_u32_e32 v13, vcc_lo, v13, v101, vcc_lo
	flat_store_b8 v[22:23], v116 glc slc dlc
	flat_store_b8 v[68:69], v113 glc slc dlc
	;; [unrolled: 1-line block ×6, first 2 shown]
	v_cmp_gt_i32_e32 vcc_lo, 1, v19
	v_add_co_u32 v14, s11, v14, v100
	s_delay_alu instid0(VALU_DEP_1) | instskip(SKIP_1) | instid1(SALU_CYCLE_1)
	v_add_co_ci_u32_e64 v15, s11, v15, v101, s11
	s_or_b32 s24, vcc_lo, s24
	s_and_not1_b32 exec_lo, exec_lo, s24
	s_cbranch_execz .LBB4_1694
.LBB4_1312:                             ;   Parent Loop BB4_53 Depth=1
                                        ; =>  This Inner Loop Header: Depth=2
	s_clause 0xf
	flat_load_u8 v149, v[10:11] slc dlc
	flat_load_u8 v147, v[10:11] offset:32 slc dlc
	flat_load_u8 v146, v[10:11] offset:64 slc dlc
	;; [unrolled: 1-line block ×15, first 2 shown]
	s_clause 0xf
	flat_load_u8 v23, v[12:13] slc dlc
	flat_load_u8 v66, v[12:13] offset:32 slc dlc
	flat_load_u8 v69, v[12:13] offset:64 slc dlc
	;; [unrolled: 1-line block ×15, first 2 shown]
	s_mov_b32 s11, 0
	s_mov_b32 s26, exec_lo
                                        ; implicit-def: $sgpr25
	s_waitcnt vmcnt(31) lgkmcnt(31)
	v_cmpx_lt_i16_e64 0x7f, v149
	s_xor_b32 s26, exec_lo, s26
	s_cbranch_execnz .LBB4_1566
; %bb.1313:                             ;   in Loop: Header=BB4_1312 Depth=2
	s_or_saveexec_b32 s26, s26
	v_mov_b32_e32 v148, s25
	s_xor_b32 exec_lo, exec_lo, s26
	s_cbranch_execnz .LBB4_1569
.LBB4_1314:                             ;   in Loop: Header=BB4_1312 Depth=2
	s_or_b32 exec_lo, exec_lo, s26
	s_and_saveexec_b32 s25, s11
	s_cbranch_execz .LBB4_1316
.LBB4_1315:                             ;   in Loop: Header=BB4_1312 Depth=2
	v_and_b32_e32 v148, 0xffff, v149
	s_delay_alu instid0(VALU_DEP_1) | instskip(NEXT) | instid1(VALU_DEP_1)
	v_and_b32_e32 v150, 3, v148
	v_clz_i32_u32_e32 v151, v150
	s_delay_alu instid0(VALU_DEP_1) | instskip(NEXT) | instid1(VALU_DEP_1)
	v_min_u32_e32 v151, 32, v151
	v_subrev_nc_u32_e32 v160, 29, v151
	v_sub_nc_u32_e32 v151, 30, v151
	s_delay_alu instid0(VALU_DEP_2) | instskip(SKIP_1) | instid1(VALU_DEP_2)
	v_lshlrev_b32_e32 v160, v160, v148
	v_bfe_u32 v148, v148, 2, 5
	v_and_b32_e32 v160, 3, v160
	s_delay_alu instid0(VALU_DEP_2) | instskip(SKIP_1) | instid1(VALU_DEP_1)
	v_cmp_eq_u32_e32 vcc_lo, 0, v148
	v_dual_cndmask_b32 v148, v148, v151 :: v_dual_lshlrev_b32 v149, 24, v149
	v_dual_cndmask_b32 v150, v150, v160 :: v_dual_and_b32 v149, 0x80000000, v149
	s_delay_alu instid0(VALU_DEP_2) | instskip(NEXT) | instid1(VALU_DEP_2)
	v_lshl_add_u32 v148, v148, 23, 0x37800000
	v_lshlrev_b32_e32 v150, 21, v150
	s_delay_alu instid0(VALU_DEP_1)
	v_or3_b32 v148, v149, v148, v150
.LBB4_1316:                             ;   in Loop: Header=BB4_1312 Depth=2
	s_or_b32 exec_lo, exec_lo, s25
	s_waitcnt vmcnt(15) lgkmcnt(15)
	v_and_b32_e32 v150, 0xff, v23
	s_mov_b32 s11, 0
	s_mov_b32 s26, exec_lo
                                        ; implicit-def: $sgpr25
	s_delay_alu instid0(VALU_DEP_1)
	v_cmpx_lt_i16_e64 0x7f, v150
	s_xor_b32 s26, exec_lo, s26
	s_cbranch_execnz .LBB4_1570
; %bb.1317:                             ;   in Loop: Header=BB4_1312 Depth=2
	s_or_saveexec_b32 s26, s26
	v_mov_b32_e32 v149, s25
	s_xor_b32 exec_lo, exec_lo, s26
	s_cbranch_execnz .LBB4_1573
.LBB4_1318:                             ;   in Loop: Header=BB4_1312 Depth=2
	s_or_b32 exec_lo, exec_lo, s26
	s_and_saveexec_b32 s25, s11
	s_cbranch_execz .LBB4_1320
.LBB4_1319:                             ;   in Loop: Header=BB4_1312 Depth=2
	v_lshrrev_b16 v160, 2, v23
	s_delay_alu instid0(VALU_DEP_1) | instskip(NEXT) | instid1(VALU_DEP_1)
	v_and_b32_e32 v160, 31, v160
	v_cmp_eq_u32_e32 vcc_lo, 0, v160
	v_and_b32_e32 v149, 3, v23
	s_delay_alu instid0(VALU_DEP_1) | instskip(NEXT) | instid1(VALU_DEP_1)
	v_clz_i32_u32_e32 v150, v149
	v_min_u32_e32 v150, 32, v150
	s_delay_alu instid0(VALU_DEP_1) | instskip(SKIP_1) | instid1(VALU_DEP_1)
	v_subrev_nc_u32_e32 v151, 29, v150
	v_sub_nc_u32_e32 v150, 30, v150
	v_dual_cndmask_b32 v150, v160, v150 :: v_dual_lshlrev_b32 v151, v151, v23
	v_lshlrev_b32_e32 v23, 24, v23
	s_delay_alu instid0(VALU_DEP_2) | instskip(NEXT) | instid1(VALU_DEP_3)
	v_and_b32_e32 v151, 3, v151
	v_lshl_add_u32 v150, v150, 23, 0x37800000
	s_delay_alu instid0(VALU_DEP_3) | instskip(NEXT) | instid1(VALU_DEP_3)
	v_and_b32_e32 v23, 0x80000000, v23
	v_cndmask_b32_e32 v149, v149, v151, vcc_lo
	s_delay_alu instid0(VALU_DEP_1) | instskip(NEXT) | instid1(VALU_DEP_1)
	v_lshlrev_b32_e32 v149, 21, v149
	v_or3_b32 v149, v23, v150, v149
.LBB4_1320:                             ;   in Loop: Header=BB4_1312 Depth=2
	s_or_b32 exec_lo, exec_lo, s25
	s_delay_alu instid0(VALU_DEP_1) | instskip(NEXT) | instid1(VALU_DEP_1)
	v_mul_f32_e32 v148, v148, v149
	v_and_b32_e32 v23, 0x7f800000, v148
	s_delay_alu instid0(VALU_DEP_1)
	v_cmp_ne_u32_e32 vcc_lo, 0x7f800000, v23
	v_mov_b32_e32 v23, 0x80
	s_and_saveexec_b32 s25, vcc_lo
	s_cbranch_execz .LBB4_1328
; %bb.1321:                             ;   in Loop: Header=BB4_1312 Depth=2
	v_mov_b32_e32 v23, 0
	s_mov_b32 s26, exec_lo
	v_cmpx_ne_u32_e32 0, v148
	s_cbranch_execz .LBB4_1327
; %bb.1322:                             ;   in Loop: Header=BB4_1312 Depth=2
	v_bfe_u32 v23, v148, 23, 8
	s_delay_alu instid0(VALU_DEP_1) | instskip(SKIP_1) | instid1(VALU_DEP_2)
	v_sub_nc_u32_e32 v150, 0x70, v23
	v_cmp_gt_u32_e32 vcc_lo, 0x71, v23
	v_dual_cndmask_b32 v150, 0, v150 :: v_dual_and_b32 v149, 0x7fffff, v148
	s_delay_alu instid0(VALU_DEP_1) | instskip(SKIP_2) | instid1(VALU_DEP_4)
	v_or_b32_e32 v151, 0x800000, v149
	v_cmp_eq_u32_e32 vcc_lo, 0, v23
	v_add_nc_u32_e32 v23, 0xffffff91, v23
	v_cndmask_b32_e64 v150, v150, 0x6f, vcc_lo
	s_delay_alu instid0(VALU_DEP_2) | instskip(SKIP_1) | instid1(VALU_DEP_3)
	v_cndmask_b32_e64 v23, v23, 0xffffff92, vcc_lo
	v_cndmask_b32_e32 v149, v151, v149, vcc_lo
	v_lshl_add_u32 v151, 0x200000, v150, -1
	v_lshlrev_b32_e64 v162, v150, 0x100000
	s_delay_alu instid0(VALU_DEP_3) | instskip(SKIP_1) | instid1(VALU_DEP_4)
	v_lshrrev_b32_e32 v160, v150, v149
	v_add_nc_u32_e32 v150, v150, v23
	v_and_b32_e32 v149, v151, v149
	s_delay_alu instid0(VALU_DEP_3) | instskip(NEXT) | instid1(VALU_DEP_2)
	v_bfe_u32 v161, v160, 21, 1
	v_cmp_eq_u32_e64 s11, v149, v162
	s_delay_alu instid0(VALU_DEP_2) | instskip(NEXT) | instid1(VALU_DEP_1)
	v_add_nc_u32_e32 v151, -1, v161
	v_cndmask_b32_e64 v149, 0, v151, s11
	v_lshrrev_b32_e32 v151, 23, v160
	s_mov_b32 s11, exec_lo
	s_delay_alu instid0(VALU_DEP_2) | instskip(NEXT) | instid1(VALU_DEP_2)
	v_add_nc_u32_e32 v149, v149, v160
	v_xor_b32_e32 v151, 1, v151
	s_delay_alu instid0(VALU_DEP_2) | instskip(NEXT) | instid1(VALU_DEP_1)
	v_and_b32_e32 v23, 0x1fffff, v149
	v_add_nc_u32_e32 v149, v23, v160
                                        ; implicit-def: $vgpr23
	s_delay_alu instid0(VALU_DEP_3)
	v_cmpx_ne_u32_e64 v150, v151
	s_xor_b32 s11, exec_lo, s11
; %bb.1323:                             ;   in Loop: Header=BB4_1312 Depth=2
	s_delay_alu instid0(VALU_DEP_2) | instskip(SKIP_2) | instid1(VALU_DEP_2)
	v_cmp_lt_u32_e32 vcc_lo, 0xffffff, v149
	v_sub_nc_u32_e32 v23, v150, v151
	v_cndmask_b32_e64 v150, 0, 1, vcc_lo
	v_add_co_ci_u32_e32 v23, vcc_lo, 0, v23, vcc_lo
	s_delay_alu instid0(VALU_DEP_2)
	v_lshrrev_b32_e32 v149, v150, v149
; %bb.1324:                             ;   in Loop: Header=BB4_1312 Depth=2
	s_and_not1_saveexec_b32 s11, s11
; %bb.1325:                             ;   in Loop: Header=BB4_1312 Depth=2
	s_delay_alu instid0(VALU_DEP_1)
	v_bfe_u32 v23, v149, 23, 1
; %bb.1326:                             ;   in Loop: Header=BB4_1312 Depth=2
	s_or_b32 exec_lo, exec_lo, s11
	v_lshrrev_b32_e32 v149, 21, v149
	s_delay_alu instid0(VALU_DEP_2) | instskip(SKIP_2) | instid1(VALU_DEP_2)
	v_cmp_gt_i32_e32 vcc_lo, 32, v23
	v_lshrrev_b32_e32 v148, 24, v148
	v_min_i32_e32 v150, 31, v23
	v_dual_cndmask_b32 v149, 3, v149 :: v_dual_and_b32 v148, 0x80, v148
	s_delay_alu instid0(VALU_DEP_1) | instskip(SKIP_1) | instid1(VALU_DEP_2)
	v_or_b32_e32 v23, v23, v149
	v_and_b32_e32 v151, 3, v149
	v_cmp_ne_u32_e32 vcc_lo, 0, v23
	v_lshlrev_b32_e32 v150, 2, v150
	s_delay_alu instid0(VALU_DEP_1) | instskip(NEXT) | instid1(VALU_DEP_1)
	v_or3_b32 v148, v150, v148, v151
	v_cndmask_b32_e32 v23, 0, v148, vcc_lo
.LBB4_1327:                             ;   in Loop: Header=BB4_1312 Depth=2
	s_or_b32 exec_lo, exec_lo, s26
.LBB4_1328:                             ;   in Loop: Header=BB4_1312 Depth=2
	s_delay_alu instid0(SALU_CYCLE_1) | instskip(SKIP_3) | instid1(VALU_DEP_1)
	s_or_b32 exec_lo, exec_lo, s25
	v_and_b32_e32 v149, 0xff, v147
	s_mov_b32 s11, 0
	s_mov_b32 s26, exec_lo
                                        ; implicit-def: $sgpr25
	v_cmpx_lt_i16_e64 0x7f, v149
	s_xor_b32 s26, exec_lo, s26
	s_cbranch_execnz .LBB4_1574
; %bb.1329:                             ;   in Loop: Header=BB4_1312 Depth=2
	s_or_saveexec_b32 s26, s26
	v_mov_b32_e32 v148, s25
	s_xor_b32 exec_lo, exec_lo, s26
	s_cbranch_execnz .LBB4_1577
.LBB4_1330:                             ;   in Loop: Header=BB4_1312 Depth=2
	s_or_b32 exec_lo, exec_lo, s26
	s_and_saveexec_b32 s25, s11
	s_cbranch_execz .LBB4_1332
.LBB4_1331:                             ;   in Loop: Header=BB4_1312 Depth=2
	v_lshrrev_b16 v151, 2, v147
	s_delay_alu instid0(VALU_DEP_1) | instskip(NEXT) | instid1(VALU_DEP_1)
	v_and_b32_e32 v151, 31, v151
	v_cmp_eq_u32_e32 vcc_lo, 0, v151
	v_and_b32_e32 v148, 3, v147
	s_delay_alu instid0(VALU_DEP_1) | instskip(NEXT) | instid1(VALU_DEP_1)
	v_clz_i32_u32_e32 v149, v148
	v_min_u32_e32 v149, 32, v149
	s_delay_alu instid0(VALU_DEP_1) | instskip(SKIP_1) | instid1(VALU_DEP_1)
	v_subrev_nc_u32_e32 v150, 29, v149
	v_sub_nc_u32_e32 v149, 30, v149
	v_dual_cndmask_b32 v149, v151, v149 :: v_dual_lshlrev_b32 v150, v150, v147
	v_lshlrev_b32_e32 v147, 24, v147
	s_delay_alu instid0(VALU_DEP_2) | instskip(NEXT) | instid1(VALU_DEP_3)
	v_and_b32_e32 v150, 3, v150
	v_lshl_add_u32 v149, v149, 23, 0x37800000
	s_delay_alu instid0(VALU_DEP_2) | instskip(NEXT) | instid1(VALU_DEP_1)
	v_dual_cndmask_b32 v148, v148, v150 :: v_dual_and_b32 v147, 0x80000000, v147
	v_lshlrev_b32_e32 v148, 21, v148
	s_delay_alu instid0(VALU_DEP_1)
	v_or3_b32 v148, v147, v149, v148
.LBB4_1332:                             ;   in Loop: Header=BB4_1312 Depth=2
	s_or_b32 exec_lo, exec_lo, s25
	s_waitcnt vmcnt(14) lgkmcnt(14)
	v_and_b32_e32 v149, 0xff, v66
	s_mov_b32 s11, 0
	s_mov_b32 s26, exec_lo
                                        ; implicit-def: $sgpr25
	s_delay_alu instid0(VALU_DEP_1)
	v_cmpx_lt_i16_e64 0x7f, v149
	s_xor_b32 s26, exec_lo, s26
	s_cbranch_execnz .LBB4_1578
; %bb.1333:                             ;   in Loop: Header=BB4_1312 Depth=2
	s_or_saveexec_b32 s26, s26
	v_mov_b32_e32 v147, s25
	s_xor_b32 exec_lo, exec_lo, s26
	s_cbranch_execnz .LBB4_1581
.LBB4_1334:                             ;   in Loop: Header=BB4_1312 Depth=2
	s_or_b32 exec_lo, exec_lo, s26
	s_and_saveexec_b32 s25, s11
	s_cbranch_execz .LBB4_1336
.LBB4_1335:                             ;   in Loop: Header=BB4_1312 Depth=2
	v_and_b32_e32 v147, 3, v66
	v_lshrrev_b16 v151, 2, v66
	s_delay_alu instid0(VALU_DEP_2) | instskip(NEXT) | instid1(VALU_DEP_2)
	v_clz_i32_u32_e32 v149, v147
	v_and_b32_e32 v151, 31, v151
	s_delay_alu instid0(VALU_DEP_2) | instskip(NEXT) | instid1(VALU_DEP_2)
	v_min_u32_e32 v149, 32, v149
	v_cmp_eq_u32_e32 vcc_lo, 0, v151
	s_delay_alu instid0(VALU_DEP_2) | instskip(SKIP_1) | instid1(VALU_DEP_1)
	v_subrev_nc_u32_e32 v150, 29, v149
	v_sub_nc_u32_e32 v149, 30, v149
	v_dual_cndmask_b32 v149, v151, v149 :: v_dual_lshlrev_b32 v150, v150, v66
	v_lshlrev_b32_e32 v66, 24, v66
	s_delay_alu instid0(VALU_DEP_2) | instskip(NEXT) | instid1(VALU_DEP_3)
	v_and_b32_e32 v150, 3, v150
	v_lshl_add_u32 v149, v149, 23, 0x37800000
	s_delay_alu instid0(VALU_DEP_3) | instskip(NEXT) | instid1(VALU_DEP_3)
	v_and_b32_e32 v66, 0x80000000, v66
	v_cndmask_b32_e32 v147, v147, v150, vcc_lo
	s_delay_alu instid0(VALU_DEP_1) | instskip(NEXT) | instid1(VALU_DEP_1)
	v_lshlrev_b32_e32 v147, 21, v147
	v_or3_b32 v147, v66, v149, v147
.LBB4_1336:                             ;   in Loop: Header=BB4_1312 Depth=2
	s_or_b32 exec_lo, exec_lo, s25
	s_delay_alu instid0(VALU_DEP_1) | instskip(NEXT) | instid1(VALU_DEP_1)
	v_mul_f32_e32 v147, v148, v147
	v_and_b32_e32 v66, 0x7f800000, v147
	s_delay_alu instid0(VALU_DEP_1)
	v_cmp_ne_u32_e32 vcc_lo, 0x7f800000, v66
	v_mov_b32_e32 v66, 0x80
	s_and_saveexec_b32 s25, vcc_lo
	s_cbranch_execz .LBB4_1344
; %bb.1337:                             ;   in Loop: Header=BB4_1312 Depth=2
	v_mov_b32_e32 v66, 0
	s_mov_b32 s26, exec_lo
	v_cmpx_ne_u32_e32 0, v147
	s_cbranch_execz .LBB4_1343
; %bb.1338:                             ;   in Loop: Header=BB4_1312 Depth=2
	v_bfe_u32 v66, v147, 23, 8
	s_delay_alu instid0(VALU_DEP_1) | instskip(SKIP_1) | instid1(VALU_DEP_2)
	v_sub_nc_u32_e32 v149, 0x70, v66
	v_cmp_gt_u32_e32 vcc_lo, 0x71, v66
	v_dual_cndmask_b32 v149, 0, v149 :: v_dual_and_b32 v148, 0x7fffff, v147
	s_delay_alu instid0(VALU_DEP_1) | instskip(SKIP_2) | instid1(VALU_DEP_4)
	v_or_b32_e32 v150, 0x800000, v148
	v_cmp_eq_u32_e32 vcc_lo, 0, v66
	v_add_nc_u32_e32 v66, 0xffffff91, v66
	v_cndmask_b32_e64 v149, v149, 0x6f, vcc_lo
	s_delay_alu instid0(VALU_DEP_2) | instskip(SKIP_1) | instid1(VALU_DEP_3)
	v_cndmask_b32_e64 v66, v66, 0xffffff92, vcc_lo
	v_cndmask_b32_e32 v148, v150, v148, vcc_lo
	v_lshl_add_u32 v150, 0x200000, v149, -1
	v_lshlrev_b32_e64 v161, v149, 0x100000
	s_delay_alu instid0(VALU_DEP_3) | instskip(SKIP_1) | instid1(VALU_DEP_4)
	v_lshrrev_b32_e32 v151, v149, v148
	v_add_nc_u32_e32 v149, v149, v66
	v_and_b32_e32 v148, v150, v148
	s_delay_alu instid0(VALU_DEP_3) | instskip(NEXT) | instid1(VALU_DEP_2)
	v_bfe_u32 v160, v151, 21, 1
	v_cmp_eq_u32_e64 s11, v148, v161
	s_delay_alu instid0(VALU_DEP_2) | instskip(NEXT) | instid1(VALU_DEP_1)
	v_add_nc_u32_e32 v150, -1, v160
	v_cndmask_b32_e64 v148, 0, v150, s11
	v_lshrrev_b32_e32 v150, 23, v151
	s_mov_b32 s11, exec_lo
	s_delay_alu instid0(VALU_DEP_2) | instskip(NEXT) | instid1(VALU_DEP_2)
	v_add_nc_u32_e32 v148, v148, v151
	v_xor_b32_e32 v150, 1, v150
	s_delay_alu instid0(VALU_DEP_2) | instskip(NEXT) | instid1(VALU_DEP_1)
	v_and_b32_e32 v66, 0x1fffff, v148
	v_add_nc_u32_e32 v148, v66, v151
                                        ; implicit-def: $vgpr66
	s_delay_alu instid0(VALU_DEP_3)
	v_cmpx_ne_u32_e64 v149, v150
	s_xor_b32 s11, exec_lo, s11
; %bb.1339:                             ;   in Loop: Header=BB4_1312 Depth=2
	s_delay_alu instid0(VALU_DEP_2) | instskip(SKIP_2) | instid1(VALU_DEP_2)
	v_cmp_lt_u32_e32 vcc_lo, 0xffffff, v148
	v_sub_nc_u32_e32 v66, v149, v150
	v_cndmask_b32_e64 v149, 0, 1, vcc_lo
	v_add_co_ci_u32_e32 v66, vcc_lo, 0, v66, vcc_lo
	s_delay_alu instid0(VALU_DEP_2)
	v_lshrrev_b32_e32 v148, v149, v148
; %bb.1340:                             ;   in Loop: Header=BB4_1312 Depth=2
	s_and_not1_saveexec_b32 s11, s11
; %bb.1341:                             ;   in Loop: Header=BB4_1312 Depth=2
	s_delay_alu instid0(VALU_DEP_1)
	v_bfe_u32 v66, v148, 23, 1
; %bb.1342:                             ;   in Loop: Header=BB4_1312 Depth=2
	s_or_b32 exec_lo, exec_lo, s11
	v_lshrrev_b32_e32 v148, 21, v148
	s_delay_alu instid0(VALU_DEP_2) | instskip(SKIP_2) | instid1(VALU_DEP_2)
	v_cmp_gt_i32_e32 vcc_lo, 32, v66
	v_lshrrev_b32_e32 v147, 24, v147
	v_min_i32_e32 v149, 31, v66
	v_dual_cndmask_b32 v148, 3, v148 :: v_dual_and_b32 v147, 0x80, v147
	s_delay_alu instid0(VALU_DEP_1) | instskip(SKIP_1) | instid1(VALU_DEP_2)
	v_or_b32_e32 v66, v66, v148
	v_and_b32_e32 v150, 3, v148
	v_cmp_ne_u32_e32 vcc_lo, 0, v66
	v_lshlrev_b32_e32 v149, 2, v149
	s_delay_alu instid0(VALU_DEP_1) | instskip(NEXT) | instid1(VALU_DEP_1)
	v_or3_b32 v147, v149, v147, v150
	v_cndmask_b32_e32 v66, 0, v147, vcc_lo
.LBB4_1343:                             ;   in Loop: Header=BB4_1312 Depth=2
	s_or_b32 exec_lo, exec_lo, s26
.LBB4_1344:                             ;   in Loop: Header=BB4_1312 Depth=2
	s_delay_alu instid0(SALU_CYCLE_1) | instskip(SKIP_3) | instid1(VALU_DEP_1)
	s_or_b32 exec_lo, exec_lo, s25
	v_and_b32_e32 v148, 0xff, v146
	s_mov_b32 s11, 0
	s_mov_b32 s26, exec_lo
                                        ; implicit-def: $sgpr25
	v_cmpx_lt_i16_e64 0x7f, v148
	s_xor_b32 s26, exec_lo, s26
	s_cbranch_execnz .LBB4_1582
; %bb.1345:                             ;   in Loop: Header=BB4_1312 Depth=2
	s_or_saveexec_b32 s26, s26
	v_mov_b32_e32 v147, s25
	s_xor_b32 exec_lo, exec_lo, s26
	s_cbranch_execnz .LBB4_1585
.LBB4_1346:                             ;   in Loop: Header=BB4_1312 Depth=2
	s_or_b32 exec_lo, exec_lo, s26
	s_and_saveexec_b32 s25, s11
	s_cbranch_execz .LBB4_1348
.LBB4_1347:                             ;   in Loop: Header=BB4_1312 Depth=2
	v_lshrrev_b16 v150, 2, v146
	s_delay_alu instid0(VALU_DEP_1) | instskip(NEXT) | instid1(VALU_DEP_1)
	v_and_b32_e32 v150, 31, v150
	v_cmp_eq_u32_e32 vcc_lo, 0, v150
	v_and_b32_e32 v147, 3, v146
	s_delay_alu instid0(VALU_DEP_1) | instskip(NEXT) | instid1(VALU_DEP_1)
	v_clz_i32_u32_e32 v148, v147
	v_min_u32_e32 v148, 32, v148
	s_delay_alu instid0(VALU_DEP_1) | instskip(SKIP_1) | instid1(VALU_DEP_1)
	v_subrev_nc_u32_e32 v149, 29, v148
	v_sub_nc_u32_e32 v148, 30, v148
	v_dual_cndmask_b32 v148, v150, v148 :: v_dual_lshlrev_b32 v149, v149, v146
	v_lshlrev_b32_e32 v146, 24, v146
	s_delay_alu instid0(VALU_DEP_2) | instskip(NEXT) | instid1(VALU_DEP_3)
	v_and_b32_e32 v149, 3, v149
	v_lshl_add_u32 v148, v148, 23, 0x37800000
	s_delay_alu instid0(VALU_DEP_2) | instskip(NEXT) | instid1(VALU_DEP_1)
	v_dual_cndmask_b32 v147, v147, v149 :: v_dual_and_b32 v146, 0x80000000, v146
	v_lshlrev_b32_e32 v147, 21, v147
	s_delay_alu instid0(VALU_DEP_1)
	v_or3_b32 v147, v146, v148, v147
.LBB4_1348:                             ;   in Loop: Header=BB4_1312 Depth=2
	s_or_b32 exec_lo, exec_lo, s25
	s_waitcnt vmcnt(13) lgkmcnt(13)
	v_and_b32_e32 v148, 0xff, v69
	s_mov_b32 s11, 0
	s_mov_b32 s26, exec_lo
                                        ; implicit-def: $sgpr25
	s_delay_alu instid0(VALU_DEP_1)
	v_cmpx_lt_i16_e64 0x7f, v148
	s_xor_b32 s26, exec_lo, s26
	s_cbranch_execnz .LBB4_1586
; %bb.1349:                             ;   in Loop: Header=BB4_1312 Depth=2
	s_or_saveexec_b32 s26, s26
	v_mov_b32_e32 v146, s25
	s_xor_b32 exec_lo, exec_lo, s26
	s_cbranch_execnz .LBB4_1589
.LBB4_1350:                             ;   in Loop: Header=BB4_1312 Depth=2
	s_or_b32 exec_lo, exec_lo, s26
	s_and_saveexec_b32 s25, s11
	s_cbranch_execz .LBB4_1352
.LBB4_1351:                             ;   in Loop: Header=BB4_1312 Depth=2
	v_and_b32_e32 v146, 3, v69
	v_lshrrev_b16 v150, 2, v69
	s_delay_alu instid0(VALU_DEP_2) | instskip(NEXT) | instid1(VALU_DEP_2)
	v_clz_i32_u32_e32 v148, v146
	v_and_b32_e32 v150, 31, v150
	s_delay_alu instid0(VALU_DEP_2) | instskip(NEXT) | instid1(VALU_DEP_2)
	v_min_u32_e32 v148, 32, v148
	v_cmp_eq_u32_e32 vcc_lo, 0, v150
	s_delay_alu instid0(VALU_DEP_2) | instskip(SKIP_1) | instid1(VALU_DEP_1)
	v_subrev_nc_u32_e32 v149, 29, v148
	v_sub_nc_u32_e32 v148, 30, v148
	v_dual_cndmask_b32 v148, v150, v148 :: v_dual_lshlrev_b32 v149, v149, v69
	v_lshlrev_b32_e32 v69, 24, v69
	s_delay_alu instid0(VALU_DEP_2) | instskip(NEXT) | instid1(VALU_DEP_3)
	v_and_b32_e32 v149, 3, v149
	v_lshl_add_u32 v148, v148, 23, 0x37800000
	s_delay_alu instid0(VALU_DEP_3) | instskip(NEXT) | instid1(VALU_DEP_3)
	v_and_b32_e32 v69, 0x80000000, v69
	v_cndmask_b32_e32 v146, v146, v149, vcc_lo
	s_delay_alu instid0(VALU_DEP_1) | instskip(NEXT) | instid1(VALU_DEP_1)
	v_lshlrev_b32_e32 v146, 21, v146
	v_or3_b32 v146, v69, v148, v146
.LBB4_1352:                             ;   in Loop: Header=BB4_1312 Depth=2
	s_or_b32 exec_lo, exec_lo, s25
	s_delay_alu instid0(VALU_DEP_1) | instskip(NEXT) | instid1(VALU_DEP_1)
	v_mul_f32_e32 v146, v147, v146
	v_and_b32_e32 v69, 0x7f800000, v146
	s_delay_alu instid0(VALU_DEP_1)
	v_cmp_ne_u32_e32 vcc_lo, 0x7f800000, v69
	v_mov_b32_e32 v69, 0x80
	s_and_saveexec_b32 s25, vcc_lo
	s_cbranch_execz .LBB4_1360
; %bb.1353:                             ;   in Loop: Header=BB4_1312 Depth=2
	v_mov_b32_e32 v69, 0
	s_mov_b32 s26, exec_lo
	v_cmpx_ne_u32_e32 0, v146
	s_cbranch_execz .LBB4_1359
; %bb.1354:                             ;   in Loop: Header=BB4_1312 Depth=2
	v_bfe_u32 v69, v146, 23, 8
	s_delay_alu instid0(VALU_DEP_1) | instskip(SKIP_1) | instid1(VALU_DEP_2)
	v_sub_nc_u32_e32 v148, 0x70, v69
	v_cmp_gt_u32_e32 vcc_lo, 0x71, v69
	v_dual_cndmask_b32 v148, 0, v148 :: v_dual_and_b32 v147, 0x7fffff, v146
	s_delay_alu instid0(VALU_DEP_1) | instskip(SKIP_2) | instid1(VALU_DEP_4)
	v_or_b32_e32 v149, 0x800000, v147
	v_cmp_eq_u32_e32 vcc_lo, 0, v69
	v_add_nc_u32_e32 v69, 0xffffff91, v69
	v_cndmask_b32_e64 v148, v148, 0x6f, vcc_lo
	s_delay_alu instid0(VALU_DEP_2) | instskip(SKIP_1) | instid1(VALU_DEP_3)
	v_cndmask_b32_e64 v69, v69, 0xffffff92, vcc_lo
	v_cndmask_b32_e32 v147, v149, v147, vcc_lo
	v_lshl_add_u32 v149, 0x200000, v148, -1
	v_lshlrev_b32_e64 v160, v148, 0x100000
	s_delay_alu instid0(VALU_DEP_3) | instskip(SKIP_1) | instid1(VALU_DEP_4)
	v_lshrrev_b32_e32 v150, v148, v147
	v_add_nc_u32_e32 v148, v148, v69
	v_and_b32_e32 v147, v149, v147
	s_delay_alu instid0(VALU_DEP_3) | instskip(NEXT) | instid1(VALU_DEP_2)
	v_bfe_u32 v151, v150, 21, 1
	v_cmp_eq_u32_e64 s11, v147, v160
	s_delay_alu instid0(VALU_DEP_2) | instskip(NEXT) | instid1(VALU_DEP_1)
	v_add_nc_u32_e32 v149, -1, v151
	v_cndmask_b32_e64 v147, 0, v149, s11
	v_lshrrev_b32_e32 v149, 23, v150
	s_mov_b32 s11, exec_lo
	s_delay_alu instid0(VALU_DEP_2) | instskip(NEXT) | instid1(VALU_DEP_2)
	v_add_nc_u32_e32 v147, v147, v150
	v_xor_b32_e32 v149, 1, v149
	s_delay_alu instid0(VALU_DEP_2) | instskip(NEXT) | instid1(VALU_DEP_1)
	v_and_b32_e32 v69, 0x1fffff, v147
	v_add_nc_u32_e32 v147, v69, v150
                                        ; implicit-def: $vgpr69
	s_delay_alu instid0(VALU_DEP_3)
	v_cmpx_ne_u32_e64 v148, v149
	s_xor_b32 s11, exec_lo, s11
; %bb.1355:                             ;   in Loop: Header=BB4_1312 Depth=2
	s_delay_alu instid0(VALU_DEP_2) | instskip(SKIP_2) | instid1(VALU_DEP_2)
	v_cmp_lt_u32_e32 vcc_lo, 0xffffff, v147
	v_sub_nc_u32_e32 v69, v148, v149
	v_cndmask_b32_e64 v148, 0, 1, vcc_lo
	v_add_co_ci_u32_e32 v69, vcc_lo, 0, v69, vcc_lo
	s_delay_alu instid0(VALU_DEP_2)
	v_lshrrev_b32_e32 v147, v148, v147
; %bb.1356:                             ;   in Loop: Header=BB4_1312 Depth=2
	s_and_not1_saveexec_b32 s11, s11
; %bb.1357:                             ;   in Loop: Header=BB4_1312 Depth=2
	s_delay_alu instid0(VALU_DEP_1)
	v_bfe_u32 v69, v147, 23, 1
; %bb.1358:                             ;   in Loop: Header=BB4_1312 Depth=2
	s_or_b32 exec_lo, exec_lo, s11
	v_lshrrev_b32_e32 v147, 21, v147
	s_delay_alu instid0(VALU_DEP_2) | instskip(SKIP_2) | instid1(VALU_DEP_2)
	v_cmp_gt_i32_e32 vcc_lo, 32, v69
	v_lshrrev_b32_e32 v146, 24, v146
	v_min_i32_e32 v148, 31, v69
	v_dual_cndmask_b32 v147, 3, v147 :: v_dual_and_b32 v146, 0x80, v146
	s_delay_alu instid0(VALU_DEP_1) | instskip(SKIP_1) | instid1(VALU_DEP_2)
	v_or_b32_e32 v69, v69, v147
	v_and_b32_e32 v149, 3, v147
	v_cmp_ne_u32_e32 vcc_lo, 0, v69
	v_lshlrev_b32_e32 v148, 2, v148
	s_delay_alu instid0(VALU_DEP_1) | instskip(NEXT) | instid1(VALU_DEP_1)
	v_or3_b32 v146, v148, v146, v149
	v_cndmask_b32_e32 v69, 0, v146, vcc_lo
.LBB4_1359:                             ;   in Loop: Header=BB4_1312 Depth=2
	s_or_b32 exec_lo, exec_lo, s26
.LBB4_1360:                             ;   in Loop: Header=BB4_1312 Depth=2
	s_delay_alu instid0(SALU_CYCLE_1) | instskip(SKIP_3) | instid1(VALU_DEP_1)
	s_or_b32 exec_lo, exec_lo, s25
	v_and_b32_e32 v147, 0xff, v145
	s_mov_b32 s11, 0
	s_mov_b32 s26, exec_lo
                                        ; implicit-def: $sgpr25
	v_cmpx_lt_i16_e64 0x7f, v147
	s_xor_b32 s26, exec_lo, s26
	s_cbranch_execnz .LBB4_1590
; %bb.1361:                             ;   in Loop: Header=BB4_1312 Depth=2
	s_or_saveexec_b32 s26, s26
	v_mov_b32_e32 v146, s25
	s_xor_b32 exec_lo, exec_lo, s26
	s_cbranch_execnz .LBB4_1593
.LBB4_1362:                             ;   in Loop: Header=BB4_1312 Depth=2
	s_or_b32 exec_lo, exec_lo, s26
	s_and_saveexec_b32 s25, s11
	s_cbranch_execz .LBB4_1364
.LBB4_1363:                             ;   in Loop: Header=BB4_1312 Depth=2
	v_lshrrev_b16 v149, 2, v145
	s_delay_alu instid0(VALU_DEP_1) | instskip(NEXT) | instid1(VALU_DEP_1)
	v_and_b32_e32 v149, 31, v149
	v_cmp_eq_u32_e32 vcc_lo, 0, v149
	v_and_b32_e32 v146, 3, v145
	s_delay_alu instid0(VALU_DEP_1) | instskip(NEXT) | instid1(VALU_DEP_1)
	v_clz_i32_u32_e32 v147, v146
	v_min_u32_e32 v147, 32, v147
	s_delay_alu instid0(VALU_DEP_1) | instskip(SKIP_1) | instid1(VALU_DEP_1)
	v_subrev_nc_u32_e32 v148, 29, v147
	v_sub_nc_u32_e32 v147, 30, v147
	v_dual_cndmask_b32 v147, v149, v147 :: v_dual_lshlrev_b32 v148, v148, v145
	v_lshlrev_b32_e32 v145, 24, v145
	s_delay_alu instid0(VALU_DEP_2) | instskip(NEXT) | instid1(VALU_DEP_3)
	v_and_b32_e32 v148, 3, v148
	v_lshl_add_u32 v147, v147, 23, 0x37800000
	s_delay_alu instid0(VALU_DEP_2) | instskip(NEXT) | instid1(VALU_DEP_1)
	v_dual_cndmask_b32 v146, v146, v148 :: v_dual_and_b32 v145, 0x80000000, v145
	v_lshlrev_b32_e32 v146, 21, v146
	s_delay_alu instid0(VALU_DEP_1)
	v_or3_b32 v146, v145, v147, v146
.LBB4_1364:                             ;   in Loop: Header=BB4_1312 Depth=2
	s_or_b32 exec_lo, exec_lo, s25
	s_waitcnt vmcnt(12) lgkmcnt(12)
	v_and_b32_e32 v147, 0xff, v112
	s_mov_b32 s11, 0
	s_mov_b32 s26, exec_lo
                                        ; implicit-def: $sgpr25
	s_delay_alu instid0(VALU_DEP_1)
	v_cmpx_lt_i16_e64 0x7f, v147
	s_xor_b32 s26, exec_lo, s26
	s_cbranch_execnz .LBB4_1594
; %bb.1365:                             ;   in Loop: Header=BB4_1312 Depth=2
	s_or_saveexec_b32 s26, s26
	v_mov_b32_e32 v145, s25
	s_xor_b32 exec_lo, exec_lo, s26
	s_cbranch_execnz .LBB4_1597
.LBB4_1366:                             ;   in Loop: Header=BB4_1312 Depth=2
	s_or_b32 exec_lo, exec_lo, s26
	s_and_saveexec_b32 s25, s11
	s_cbranch_execz .LBB4_1368
.LBB4_1367:                             ;   in Loop: Header=BB4_1312 Depth=2
	v_and_b32_e32 v145, 3, v112
	v_lshrrev_b16 v149, 2, v112
	s_delay_alu instid0(VALU_DEP_2) | instskip(NEXT) | instid1(VALU_DEP_2)
	v_clz_i32_u32_e32 v147, v145
	v_and_b32_e32 v149, 31, v149
	s_delay_alu instid0(VALU_DEP_2) | instskip(NEXT) | instid1(VALU_DEP_2)
	v_min_u32_e32 v147, 32, v147
	v_cmp_eq_u32_e32 vcc_lo, 0, v149
	s_delay_alu instid0(VALU_DEP_2) | instskip(SKIP_1) | instid1(VALU_DEP_1)
	v_subrev_nc_u32_e32 v148, 29, v147
	v_sub_nc_u32_e32 v147, 30, v147
	v_dual_cndmask_b32 v147, v149, v147 :: v_dual_lshlrev_b32 v148, v148, v112
	v_lshlrev_b32_e32 v112, 24, v112
	s_delay_alu instid0(VALU_DEP_2) | instskip(NEXT) | instid1(VALU_DEP_3)
	v_and_b32_e32 v148, 3, v148
	v_lshl_add_u32 v147, v147, 23, 0x37800000
	s_delay_alu instid0(VALU_DEP_3) | instskip(NEXT) | instid1(VALU_DEP_3)
	v_and_b32_e32 v112, 0x80000000, v112
	v_cndmask_b32_e32 v145, v145, v148, vcc_lo
	s_delay_alu instid0(VALU_DEP_1) | instskip(NEXT) | instid1(VALU_DEP_1)
	v_lshlrev_b32_e32 v145, 21, v145
	v_or3_b32 v145, v112, v147, v145
.LBB4_1368:                             ;   in Loop: Header=BB4_1312 Depth=2
	s_or_b32 exec_lo, exec_lo, s25
	s_delay_alu instid0(VALU_DEP_1) | instskip(NEXT) | instid1(VALU_DEP_1)
	v_mul_f32_e32 v145, v146, v145
	v_and_b32_e32 v112, 0x7f800000, v145
	s_delay_alu instid0(VALU_DEP_1)
	v_cmp_ne_u32_e32 vcc_lo, 0x7f800000, v112
	v_mov_b32_e32 v112, 0x80
	s_and_saveexec_b32 s25, vcc_lo
	s_cbranch_execz .LBB4_1376
; %bb.1369:                             ;   in Loop: Header=BB4_1312 Depth=2
	v_mov_b32_e32 v112, 0
	s_mov_b32 s26, exec_lo
	v_cmpx_ne_u32_e32 0, v145
	s_cbranch_execz .LBB4_1375
; %bb.1370:                             ;   in Loop: Header=BB4_1312 Depth=2
	v_bfe_u32 v112, v145, 23, 8
	s_delay_alu instid0(VALU_DEP_1) | instskip(SKIP_1) | instid1(VALU_DEP_2)
	v_sub_nc_u32_e32 v147, 0x70, v112
	v_cmp_gt_u32_e32 vcc_lo, 0x71, v112
	v_dual_cndmask_b32 v147, 0, v147 :: v_dual_and_b32 v146, 0x7fffff, v145
	s_delay_alu instid0(VALU_DEP_1) | instskip(SKIP_2) | instid1(VALU_DEP_4)
	v_or_b32_e32 v148, 0x800000, v146
	v_cmp_eq_u32_e32 vcc_lo, 0, v112
	v_add_nc_u32_e32 v112, 0xffffff91, v112
	v_cndmask_b32_e64 v147, v147, 0x6f, vcc_lo
	s_delay_alu instid0(VALU_DEP_2) | instskip(SKIP_1) | instid1(VALU_DEP_3)
	v_cndmask_b32_e64 v112, v112, 0xffffff92, vcc_lo
	v_cndmask_b32_e32 v146, v148, v146, vcc_lo
	v_lshl_add_u32 v148, 0x200000, v147, -1
	v_lshlrev_b32_e64 v151, v147, 0x100000
	s_delay_alu instid0(VALU_DEP_3) | instskip(SKIP_1) | instid1(VALU_DEP_4)
	v_lshrrev_b32_e32 v149, v147, v146
	v_add_nc_u32_e32 v147, v147, v112
	v_and_b32_e32 v146, v148, v146
	s_delay_alu instid0(VALU_DEP_3) | instskip(NEXT) | instid1(VALU_DEP_2)
	v_bfe_u32 v150, v149, 21, 1
	v_cmp_eq_u32_e64 s11, v146, v151
	s_delay_alu instid0(VALU_DEP_2) | instskip(NEXT) | instid1(VALU_DEP_1)
	v_add_nc_u32_e32 v148, -1, v150
	v_cndmask_b32_e64 v146, 0, v148, s11
	v_lshrrev_b32_e32 v148, 23, v149
	s_mov_b32 s11, exec_lo
	s_delay_alu instid0(VALU_DEP_2) | instskip(NEXT) | instid1(VALU_DEP_2)
	v_add_nc_u32_e32 v146, v146, v149
	v_xor_b32_e32 v148, 1, v148
	s_delay_alu instid0(VALU_DEP_2) | instskip(NEXT) | instid1(VALU_DEP_1)
	v_and_b32_e32 v112, 0x1fffff, v146
	v_add_nc_u32_e32 v146, v112, v149
                                        ; implicit-def: $vgpr112
	s_delay_alu instid0(VALU_DEP_3)
	v_cmpx_ne_u32_e64 v147, v148
	s_xor_b32 s11, exec_lo, s11
; %bb.1371:                             ;   in Loop: Header=BB4_1312 Depth=2
	s_delay_alu instid0(VALU_DEP_2) | instskip(SKIP_2) | instid1(VALU_DEP_2)
	v_cmp_lt_u32_e32 vcc_lo, 0xffffff, v146
	v_sub_nc_u32_e32 v112, v147, v148
	v_cndmask_b32_e64 v147, 0, 1, vcc_lo
	v_add_co_ci_u32_e32 v112, vcc_lo, 0, v112, vcc_lo
	s_delay_alu instid0(VALU_DEP_2)
	v_lshrrev_b32_e32 v146, v147, v146
; %bb.1372:                             ;   in Loop: Header=BB4_1312 Depth=2
	s_and_not1_saveexec_b32 s11, s11
; %bb.1373:                             ;   in Loop: Header=BB4_1312 Depth=2
	s_delay_alu instid0(VALU_DEP_1)
	v_bfe_u32 v112, v146, 23, 1
; %bb.1374:                             ;   in Loop: Header=BB4_1312 Depth=2
	s_or_b32 exec_lo, exec_lo, s11
	v_lshrrev_b32_e32 v146, 21, v146
	s_delay_alu instid0(VALU_DEP_2) | instskip(SKIP_2) | instid1(VALU_DEP_2)
	v_cmp_gt_i32_e32 vcc_lo, 32, v112
	v_lshrrev_b32_e32 v145, 24, v145
	v_min_i32_e32 v147, 31, v112
	v_dual_cndmask_b32 v146, 3, v146 :: v_dual_and_b32 v145, 0x80, v145
	s_delay_alu instid0(VALU_DEP_1) | instskip(SKIP_1) | instid1(VALU_DEP_2)
	v_or_b32_e32 v112, v112, v146
	v_and_b32_e32 v148, 3, v146
	v_cmp_ne_u32_e32 vcc_lo, 0, v112
	v_lshlrev_b32_e32 v147, 2, v147
	s_delay_alu instid0(VALU_DEP_1) | instskip(NEXT) | instid1(VALU_DEP_1)
	v_or3_b32 v145, v147, v145, v148
	v_cndmask_b32_e32 v112, 0, v145, vcc_lo
.LBB4_1375:                             ;   in Loop: Header=BB4_1312 Depth=2
	s_or_b32 exec_lo, exec_lo, s26
.LBB4_1376:                             ;   in Loop: Header=BB4_1312 Depth=2
	s_delay_alu instid0(SALU_CYCLE_1) | instskip(SKIP_3) | instid1(VALU_DEP_1)
	s_or_b32 exec_lo, exec_lo, s25
	v_and_b32_e32 v146, 0xff, v144
	s_mov_b32 s11, 0
	s_mov_b32 s26, exec_lo
                                        ; implicit-def: $sgpr25
	v_cmpx_lt_i16_e64 0x7f, v146
	s_xor_b32 s26, exec_lo, s26
	s_cbranch_execnz .LBB4_1598
; %bb.1377:                             ;   in Loop: Header=BB4_1312 Depth=2
	s_or_saveexec_b32 s26, s26
	v_mov_b32_e32 v145, s25
	s_xor_b32 exec_lo, exec_lo, s26
	s_cbranch_execnz .LBB4_1601
.LBB4_1378:                             ;   in Loop: Header=BB4_1312 Depth=2
	s_or_b32 exec_lo, exec_lo, s26
	s_and_saveexec_b32 s25, s11
	s_cbranch_execz .LBB4_1380
.LBB4_1379:                             ;   in Loop: Header=BB4_1312 Depth=2
	v_lshrrev_b16 v148, 2, v144
	s_delay_alu instid0(VALU_DEP_1) | instskip(NEXT) | instid1(VALU_DEP_1)
	v_and_b32_e32 v148, 31, v148
	v_cmp_eq_u32_e32 vcc_lo, 0, v148
	v_and_b32_e32 v145, 3, v144
	s_delay_alu instid0(VALU_DEP_1) | instskip(NEXT) | instid1(VALU_DEP_1)
	v_clz_i32_u32_e32 v146, v145
	v_min_u32_e32 v146, 32, v146
	s_delay_alu instid0(VALU_DEP_1) | instskip(SKIP_1) | instid1(VALU_DEP_1)
	v_subrev_nc_u32_e32 v147, 29, v146
	v_sub_nc_u32_e32 v146, 30, v146
	v_dual_cndmask_b32 v146, v148, v146 :: v_dual_lshlrev_b32 v147, v147, v144
	v_lshlrev_b32_e32 v144, 24, v144
	s_delay_alu instid0(VALU_DEP_2) | instskip(NEXT) | instid1(VALU_DEP_3)
	v_and_b32_e32 v147, 3, v147
	v_lshl_add_u32 v146, v146, 23, 0x37800000
	s_delay_alu instid0(VALU_DEP_2) | instskip(NEXT) | instid1(VALU_DEP_1)
	v_dual_cndmask_b32 v145, v145, v147 :: v_dual_and_b32 v144, 0x80000000, v144
	v_lshlrev_b32_e32 v145, 21, v145
	s_delay_alu instid0(VALU_DEP_1)
	v_or3_b32 v145, v144, v146, v145
.LBB4_1380:                             ;   in Loop: Header=BB4_1312 Depth=2
	s_or_b32 exec_lo, exec_lo, s25
	s_waitcnt vmcnt(11) lgkmcnt(11)
	v_and_b32_e32 v146, 0xff, v115
	s_mov_b32 s11, 0
	s_mov_b32 s26, exec_lo
                                        ; implicit-def: $sgpr25
	s_delay_alu instid0(VALU_DEP_1)
	v_cmpx_lt_i16_e64 0x7f, v146
	s_xor_b32 s26, exec_lo, s26
	s_cbranch_execnz .LBB4_1602
; %bb.1381:                             ;   in Loop: Header=BB4_1312 Depth=2
	s_or_saveexec_b32 s26, s26
	v_mov_b32_e32 v144, s25
	s_xor_b32 exec_lo, exec_lo, s26
	s_cbranch_execnz .LBB4_1605
.LBB4_1382:                             ;   in Loop: Header=BB4_1312 Depth=2
	s_or_b32 exec_lo, exec_lo, s26
	s_and_saveexec_b32 s25, s11
	s_cbranch_execz .LBB4_1384
.LBB4_1383:                             ;   in Loop: Header=BB4_1312 Depth=2
	v_and_b32_e32 v144, 3, v115
	v_lshrrev_b16 v148, 2, v115
	s_delay_alu instid0(VALU_DEP_2) | instskip(NEXT) | instid1(VALU_DEP_2)
	v_clz_i32_u32_e32 v146, v144
	v_and_b32_e32 v148, 31, v148
	s_delay_alu instid0(VALU_DEP_2) | instskip(NEXT) | instid1(VALU_DEP_2)
	v_min_u32_e32 v146, 32, v146
	v_cmp_eq_u32_e32 vcc_lo, 0, v148
	s_delay_alu instid0(VALU_DEP_2) | instskip(SKIP_1) | instid1(VALU_DEP_1)
	v_subrev_nc_u32_e32 v147, 29, v146
	v_sub_nc_u32_e32 v146, 30, v146
	v_dual_cndmask_b32 v146, v148, v146 :: v_dual_lshlrev_b32 v147, v147, v115
	v_lshlrev_b32_e32 v115, 24, v115
	s_delay_alu instid0(VALU_DEP_2) | instskip(NEXT) | instid1(VALU_DEP_3)
	v_and_b32_e32 v147, 3, v147
	v_lshl_add_u32 v146, v146, 23, 0x37800000
	s_delay_alu instid0(VALU_DEP_3) | instskip(NEXT) | instid1(VALU_DEP_3)
	v_and_b32_e32 v115, 0x80000000, v115
	v_cndmask_b32_e32 v144, v144, v147, vcc_lo
	s_delay_alu instid0(VALU_DEP_1) | instskip(NEXT) | instid1(VALU_DEP_1)
	v_lshlrev_b32_e32 v144, 21, v144
	v_or3_b32 v144, v115, v146, v144
.LBB4_1384:                             ;   in Loop: Header=BB4_1312 Depth=2
	s_or_b32 exec_lo, exec_lo, s25
	s_delay_alu instid0(VALU_DEP_1) | instskip(NEXT) | instid1(VALU_DEP_1)
	v_mul_f32_e32 v144, v145, v144
	v_and_b32_e32 v115, 0x7f800000, v144
	s_delay_alu instid0(VALU_DEP_1)
	v_cmp_ne_u32_e32 vcc_lo, 0x7f800000, v115
	v_mov_b32_e32 v115, 0x80
	s_and_saveexec_b32 s25, vcc_lo
	s_cbranch_execz .LBB4_1392
; %bb.1385:                             ;   in Loop: Header=BB4_1312 Depth=2
	v_mov_b32_e32 v115, 0
	s_mov_b32 s26, exec_lo
	v_cmpx_ne_u32_e32 0, v144
	s_cbranch_execz .LBB4_1391
; %bb.1386:                             ;   in Loop: Header=BB4_1312 Depth=2
	v_bfe_u32 v115, v144, 23, 8
	s_delay_alu instid0(VALU_DEP_1) | instskip(SKIP_1) | instid1(VALU_DEP_2)
	v_sub_nc_u32_e32 v146, 0x70, v115
	v_cmp_gt_u32_e32 vcc_lo, 0x71, v115
	v_dual_cndmask_b32 v146, 0, v146 :: v_dual_and_b32 v145, 0x7fffff, v144
	s_delay_alu instid0(VALU_DEP_1) | instskip(SKIP_2) | instid1(VALU_DEP_4)
	v_or_b32_e32 v147, 0x800000, v145
	v_cmp_eq_u32_e32 vcc_lo, 0, v115
	v_add_nc_u32_e32 v115, 0xffffff91, v115
	v_cndmask_b32_e64 v146, v146, 0x6f, vcc_lo
	s_delay_alu instid0(VALU_DEP_2) | instskip(SKIP_1) | instid1(VALU_DEP_3)
	v_cndmask_b32_e64 v115, v115, 0xffffff92, vcc_lo
	v_cndmask_b32_e32 v145, v147, v145, vcc_lo
	v_lshl_add_u32 v147, 0x200000, v146, -1
	v_lshlrev_b32_e64 v150, v146, 0x100000
	s_delay_alu instid0(VALU_DEP_3) | instskip(SKIP_1) | instid1(VALU_DEP_4)
	v_lshrrev_b32_e32 v148, v146, v145
	v_add_nc_u32_e32 v146, v146, v115
	v_and_b32_e32 v145, v147, v145
	s_delay_alu instid0(VALU_DEP_3) | instskip(NEXT) | instid1(VALU_DEP_2)
	v_bfe_u32 v149, v148, 21, 1
	v_cmp_eq_u32_e64 s11, v145, v150
	s_delay_alu instid0(VALU_DEP_2) | instskip(NEXT) | instid1(VALU_DEP_1)
	v_add_nc_u32_e32 v147, -1, v149
	v_cndmask_b32_e64 v145, 0, v147, s11
	v_lshrrev_b32_e32 v147, 23, v148
	s_mov_b32 s11, exec_lo
	s_delay_alu instid0(VALU_DEP_2) | instskip(NEXT) | instid1(VALU_DEP_2)
	v_add_nc_u32_e32 v145, v145, v148
	v_xor_b32_e32 v147, 1, v147
	s_delay_alu instid0(VALU_DEP_2) | instskip(NEXT) | instid1(VALU_DEP_1)
	v_and_b32_e32 v115, 0x1fffff, v145
	v_add_nc_u32_e32 v145, v115, v148
                                        ; implicit-def: $vgpr115
	s_delay_alu instid0(VALU_DEP_3)
	v_cmpx_ne_u32_e64 v146, v147
	s_xor_b32 s11, exec_lo, s11
; %bb.1387:                             ;   in Loop: Header=BB4_1312 Depth=2
	s_delay_alu instid0(VALU_DEP_2) | instskip(SKIP_2) | instid1(VALU_DEP_2)
	v_cmp_lt_u32_e32 vcc_lo, 0xffffff, v145
	v_sub_nc_u32_e32 v115, v146, v147
	v_cndmask_b32_e64 v146, 0, 1, vcc_lo
	v_add_co_ci_u32_e32 v115, vcc_lo, 0, v115, vcc_lo
	s_delay_alu instid0(VALU_DEP_2)
	v_lshrrev_b32_e32 v145, v146, v145
; %bb.1388:                             ;   in Loop: Header=BB4_1312 Depth=2
	s_and_not1_saveexec_b32 s11, s11
; %bb.1389:                             ;   in Loop: Header=BB4_1312 Depth=2
	s_delay_alu instid0(VALU_DEP_1)
	v_bfe_u32 v115, v145, 23, 1
; %bb.1390:                             ;   in Loop: Header=BB4_1312 Depth=2
	s_or_b32 exec_lo, exec_lo, s11
	v_lshrrev_b32_e32 v145, 21, v145
	s_delay_alu instid0(VALU_DEP_2) | instskip(SKIP_2) | instid1(VALU_DEP_2)
	v_cmp_gt_i32_e32 vcc_lo, 32, v115
	v_lshrrev_b32_e32 v144, 24, v144
	v_min_i32_e32 v146, 31, v115
	v_dual_cndmask_b32 v145, 3, v145 :: v_dual_and_b32 v144, 0x80, v144
	s_delay_alu instid0(VALU_DEP_1) | instskip(SKIP_1) | instid1(VALU_DEP_2)
	v_or_b32_e32 v115, v115, v145
	v_and_b32_e32 v147, 3, v145
	v_cmp_ne_u32_e32 vcc_lo, 0, v115
	v_lshlrev_b32_e32 v146, 2, v146
	s_delay_alu instid0(VALU_DEP_1) | instskip(NEXT) | instid1(VALU_DEP_1)
	v_or3_b32 v144, v146, v144, v147
	v_cndmask_b32_e32 v115, 0, v144, vcc_lo
.LBB4_1391:                             ;   in Loop: Header=BB4_1312 Depth=2
	s_or_b32 exec_lo, exec_lo, s26
.LBB4_1392:                             ;   in Loop: Header=BB4_1312 Depth=2
	s_delay_alu instid0(SALU_CYCLE_1) | instskip(SKIP_3) | instid1(VALU_DEP_1)
	s_or_b32 exec_lo, exec_lo, s25
	v_and_b32_e32 v145, 0xff, v135
	s_mov_b32 s11, 0
	s_mov_b32 s26, exec_lo
                                        ; implicit-def: $sgpr25
	v_cmpx_lt_i16_e64 0x7f, v145
	s_xor_b32 s26, exec_lo, s26
	s_cbranch_execnz .LBB4_1606
; %bb.1393:                             ;   in Loop: Header=BB4_1312 Depth=2
	s_or_saveexec_b32 s26, s26
	v_mov_b32_e32 v144, s25
	s_xor_b32 exec_lo, exec_lo, s26
	s_cbranch_execnz .LBB4_1609
.LBB4_1394:                             ;   in Loop: Header=BB4_1312 Depth=2
	s_or_b32 exec_lo, exec_lo, s26
	s_and_saveexec_b32 s25, s11
	s_cbranch_execz .LBB4_1396
.LBB4_1395:                             ;   in Loop: Header=BB4_1312 Depth=2
	v_lshrrev_b16 v147, 2, v135
	s_delay_alu instid0(VALU_DEP_1) | instskip(NEXT) | instid1(VALU_DEP_1)
	v_and_b32_e32 v147, 31, v147
	v_cmp_eq_u32_e32 vcc_lo, 0, v147
	v_and_b32_e32 v144, 3, v135
	s_delay_alu instid0(VALU_DEP_1) | instskip(NEXT) | instid1(VALU_DEP_1)
	v_clz_i32_u32_e32 v145, v144
	v_min_u32_e32 v145, 32, v145
	s_delay_alu instid0(VALU_DEP_1) | instskip(SKIP_1) | instid1(VALU_DEP_1)
	v_subrev_nc_u32_e32 v146, 29, v145
	v_sub_nc_u32_e32 v145, 30, v145
	v_dual_cndmask_b32 v145, v147, v145 :: v_dual_lshlrev_b32 v146, v146, v135
	v_lshlrev_b32_e32 v135, 24, v135
	s_delay_alu instid0(VALU_DEP_2) | instskip(NEXT) | instid1(VALU_DEP_3)
	v_and_b32_e32 v146, 3, v146
	v_lshl_add_u32 v145, v145, 23, 0x37800000
	s_delay_alu instid0(VALU_DEP_2) | instskip(NEXT) | instid1(VALU_DEP_1)
	v_dual_cndmask_b32 v144, v144, v146 :: v_dual_and_b32 v135, 0x80000000, v135
	v_lshlrev_b32_e32 v144, 21, v144
	s_delay_alu instid0(VALU_DEP_1)
	v_or3_b32 v144, v135, v145, v144
.LBB4_1396:                             ;   in Loop: Header=BB4_1312 Depth=2
	s_or_b32 exec_lo, exec_lo, s25
	s_waitcnt vmcnt(10) lgkmcnt(10)
	v_and_b32_e32 v145, 0xff, v118
	s_mov_b32 s11, 0
	s_mov_b32 s26, exec_lo
                                        ; implicit-def: $sgpr25
	s_delay_alu instid0(VALU_DEP_1)
	v_cmpx_lt_i16_e64 0x7f, v145
	s_xor_b32 s26, exec_lo, s26
	s_cbranch_execnz .LBB4_1610
; %bb.1397:                             ;   in Loop: Header=BB4_1312 Depth=2
	s_or_saveexec_b32 s26, s26
	v_mov_b32_e32 v135, s25
	s_xor_b32 exec_lo, exec_lo, s26
	s_cbranch_execnz .LBB4_1613
.LBB4_1398:                             ;   in Loop: Header=BB4_1312 Depth=2
	s_or_b32 exec_lo, exec_lo, s26
	s_and_saveexec_b32 s25, s11
	s_cbranch_execz .LBB4_1400
.LBB4_1399:                             ;   in Loop: Header=BB4_1312 Depth=2
	v_and_b32_e32 v135, 3, v118
	v_lshrrev_b16 v147, 2, v118
	s_delay_alu instid0(VALU_DEP_2) | instskip(NEXT) | instid1(VALU_DEP_2)
	v_clz_i32_u32_e32 v145, v135
	v_and_b32_e32 v147, 31, v147
	s_delay_alu instid0(VALU_DEP_2) | instskip(NEXT) | instid1(VALU_DEP_2)
	v_min_u32_e32 v145, 32, v145
	v_cmp_eq_u32_e32 vcc_lo, 0, v147
	s_delay_alu instid0(VALU_DEP_2) | instskip(SKIP_1) | instid1(VALU_DEP_1)
	v_subrev_nc_u32_e32 v146, 29, v145
	v_sub_nc_u32_e32 v145, 30, v145
	v_dual_cndmask_b32 v145, v147, v145 :: v_dual_lshlrev_b32 v146, v146, v118
	v_lshlrev_b32_e32 v118, 24, v118
	s_delay_alu instid0(VALU_DEP_2) | instskip(NEXT) | instid1(VALU_DEP_3)
	v_and_b32_e32 v146, 3, v146
	v_lshl_add_u32 v145, v145, 23, 0x37800000
	s_delay_alu instid0(VALU_DEP_3) | instskip(NEXT) | instid1(VALU_DEP_3)
	v_and_b32_e32 v118, 0x80000000, v118
	v_cndmask_b32_e32 v135, v135, v146, vcc_lo
	s_delay_alu instid0(VALU_DEP_1) | instskip(NEXT) | instid1(VALU_DEP_1)
	v_lshlrev_b32_e32 v135, 21, v135
	v_or3_b32 v135, v118, v145, v135
.LBB4_1400:                             ;   in Loop: Header=BB4_1312 Depth=2
	s_or_b32 exec_lo, exec_lo, s25
	s_delay_alu instid0(VALU_DEP_1) | instskip(NEXT) | instid1(VALU_DEP_1)
	v_mul_f32_e32 v135, v144, v135
	v_and_b32_e32 v118, 0x7f800000, v135
	s_delay_alu instid0(VALU_DEP_1)
	v_cmp_ne_u32_e32 vcc_lo, 0x7f800000, v118
	v_mov_b32_e32 v118, 0x80
	s_and_saveexec_b32 s25, vcc_lo
	s_cbranch_execz .LBB4_1408
; %bb.1401:                             ;   in Loop: Header=BB4_1312 Depth=2
	v_mov_b32_e32 v118, 0
	s_mov_b32 s26, exec_lo
	v_cmpx_ne_u32_e32 0, v135
	s_cbranch_execz .LBB4_1407
; %bb.1402:                             ;   in Loop: Header=BB4_1312 Depth=2
	v_bfe_u32 v118, v135, 23, 8
	s_delay_alu instid0(VALU_DEP_1) | instskip(SKIP_1) | instid1(VALU_DEP_2)
	v_sub_nc_u32_e32 v145, 0x70, v118
	v_cmp_gt_u32_e32 vcc_lo, 0x71, v118
	v_dual_cndmask_b32 v145, 0, v145 :: v_dual_and_b32 v144, 0x7fffff, v135
	s_delay_alu instid0(VALU_DEP_1) | instskip(SKIP_2) | instid1(VALU_DEP_4)
	v_or_b32_e32 v146, 0x800000, v144
	v_cmp_eq_u32_e32 vcc_lo, 0, v118
	v_add_nc_u32_e32 v118, 0xffffff91, v118
	v_cndmask_b32_e64 v145, v145, 0x6f, vcc_lo
	s_delay_alu instid0(VALU_DEP_2) | instskip(SKIP_1) | instid1(VALU_DEP_3)
	v_cndmask_b32_e64 v118, v118, 0xffffff92, vcc_lo
	v_cndmask_b32_e32 v144, v146, v144, vcc_lo
	v_lshl_add_u32 v146, 0x200000, v145, -1
	v_lshlrev_b32_e64 v149, v145, 0x100000
	s_delay_alu instid0(VALU_DEP_3) | instskip(SKIP_1) | instid1(VALU_DEP_4)
	v_lshrrev_b32_e32 v147, v145, v144
	v_add_nc_u32_e32 v145, v145, v118
	v_and_b32_e32 v144, v146, v144
	s_delay_alu instid0(VALU_DEP_3) | instskip(NEXT) | instid1(VALU_DEP_2)
	v_bfe_u32 v148, v147, 21, 1
	v_cmp_eq_u32_e64 s11, v144, v149
	s_delay_alu instid0(VALU_DEP_2) | instskip(NEXT) | instid1(VALU_DEP_1)
	v_add_nc_u32_e32 v146, -1, v148
	v_cndmask_b32_e64 v144, 0, v146, s11
	v_lshrrev_b32_e32 v146, 23, v147
	s_mov_b32 s11, exec_lo
	s_delay_alu instid0(VALU_DEP_2) | instskip(NEXT) | instid1(VALU_DEP_2)
	v_add_nc_u32_e32 v144, v144, v147
	v_xor_b32_e32 v146, 1, v146
	s_delay_alu instid0(VALU_DEP_2) | instskip(NEXT) | instid1(VALU_DEP_1)
	v_and_b32_e32 v118, 0x1fffff, v144
	v_add_nc_u32_e32 v144, v118, v147
                                        ; implicit-def: $vgpr118
	s_delay_alu instid0(VALU_DEP_3)
	v_cmpx_ne_u32_e64 v145, v146
	s_xor_b32 s11, exec_lo, s11
; %bb.1403:                             ;   in Loop: Header=BB4_1312 Depth=2
	s_delay_alu instid0(VALU_DEP_2) | instskip(SKIP_2) | instid1(VALU_DEP_2)
	v_cmp_lt_u32_e32 vcc_lo, 0xffffff, v144
	v_sub_nc_u32_e32 v118, v145, v146
	v_cndmask_b32_e64 v145, 0, 1, vcc_lo
	v_add_co_ci_u32_e32 v118, vcc_lo, 0, v118, vcc_lo
	s_delay_alu instid0(VALU_DEP_2)
	v_lshrrev_b32_e32 v144, v145, v144
; %bb.1404:                             ;   in Loop: Header=BB4_1312 Depth=2
	s_and_not1_saveexec_b32 s11, s11
; %bb.1405:                             ;   in Loop: Header=BB4_1312 Depth=2
	s_delay_alu instid0(VALU_DEP_1)
	v_bfe_u32 v118, v144, 23, 1
; %bb.1406:                             ;   in Loop: Header=BB4_1312 Depth=2
	s_or_b32 exec_lo, exec_lo, s11
	v_lshrrev_b32_e32 v144, 21, v144
	s_delay_alu instid0(VALU_DEP_2) | instskip(SKIP_2) | instid1(VALU_DEP_2)
	v_cmp_gt_i32_e32 vcc_lo, 32, v118
	v_lshrrev_b32_e32 v135, 24, v135
	v_min_i32_e32 v145, 31, v118
	v_dual_cndmask_b32 v144, 3, v144 :: v_dual_and_b32 v135, 0x80, v135
	s_delay_alu instid0(VALU_DEP_1) | instskip(SKIP_1) | instid1(VALU_DEP_2)
	v_or_b32_e32 v118, v118, v144
	v_and_b32_e32 v146, 3, v144
	v_cmp_ne_u32_e32 vcc_lo, 0, v118
	v_lshlrev_b32_e32 v145, 2, v145
	s_delay_alu instid0(VALU_DEP_1) | instskip(NEXT) | instid1(VALU_DEP_1)
	v_or3_b32 v135, v145, v135, v146
	v_cndmask_b32_e32 v118, 0, v135, vcc_lo
.LBB4_1407:                             ;   in Loop: Header=BB4_1312 Depth=2
	s_or_b32 exec_lo, exec_lo, s26
.LBB4_1408:                             ;   in Loop: Header=BB4_1312 Depth=2
	s_delay_alu instid0(SALU_CYCLE_1) | instskip(SKIP_3) | instid1(VALU_DEP_1)
	s_or_b32 exec_lo, exec_lo, s25
	v_and_b32_e32 v144, 0xff, v134
	s_mov_b32 s11, 0
	s_mov_b32 s26, exec_lo
                                        ; implicit-def: $sgpr25
	v_cmpx_lt_i16_e64 0x7f, v144
	s_xor_b32 s26, exec_lo, s26
	s_cbranch_execnz .LBB4_1614
; %bb.1409:                             ;   in Loop: Header=BB4_1312 Depth=2
	s_or_saveexec_b32 s26, s26
	v_mov_b32_e32 v135, s25
	s_xor_b32 exec_lo, exec_lo, s26
	s_cbranch_execnz .LBB4_1617
.LBB4_1410:                             ;   in Loop: Header=BB4_1312 Depth=2
	s_or_b32 exec_lo, exec_lo, s26
	s_and_saveexec_b32 s25, s11
	s_cbranch_execz .LBB4_1412
.LBB4_1411:                             ;   in Loop: Header=BB4_1312 Depth=2
	v_lshrrev_b16 v146, 2, v134
	s_delay_alu instid0(VALU_DEP_1) | instskip(NEXT) | instid1(VALU_DEP_1)
	v_and_b32_e32 v146, 31, v146
	v_cmp_eq_u32_e32 vcc_lo, 0, v146
	v_and_b32_e32 v135, 3, v134
	s_delay_alu instid0(VALU_DEP_1) | instskip(NEXT) | instid1(VALU_DEP_1)
	v_clz_i32_u32_e32 v144, v135
	v_min_u32_e32 v144, 32, v144
	s_delay_alu instid0(VALU_DEP_1) | instskip(SKIP_1) | instid1(VALU_DEP_1)
	v_subrev_nc_u32_e32 v145, 29, v144
	v_sub_nc_u32_e32 v144, 30, v144
	v_dual_cndmask_b32 v144, v146, v144 :: v_dual_lshlrev_b32 v145, v145, v134
	v_lshlrev_b32_e32 v134, 24, v134
	s_delay_alu instid0(VALU_DEP_2) | instskip(NEXT) | instid1(VALU_DEP_3)
	v_and_b32_e32 v145, 3, v145
	v_lshl_add_u32 v144, v144, 23, 0x37800000
	s_delay_alu instid0(VALU_DEP_2) | instskip(NEXT) | instid1(VALU_DEP_1)
	v_dual_cndmask_b32 v135, v135, v145 :: v_dual_and_b32 v134, 0x80000000, v134
	v_lshlrev_b32_e32 v135, 21, v135
	s_delay_alu instid0(VALU_DEP_1)
	v_or3_b32 v135, v134, v144, v135
.LBB4_1412:                             ;   in Loop: Header=BB4_1312 Depth=2
	s_or_b32 exec_lo, exec_lo, s25
	s_waitcnt vmcnt(9) lgkmcnt(9)
	v_and_b32_e32 v144, 0xff, v129
	s_mov_b32 s11, 0
	s_mov_b32 s26, exec_lo
                                        ; implicit-def: $sgpr25
	s_delay_alu instid0(VALU_DEP_1)
	v_cmpx_lt_i16_e64 0x7f, v144
	s_xor_b32 s26, exec_lo, s26
	s_cbranch_execnz .LBB4_1618
; %bb.1413:                             ;   in Loop: Header=BB4_1312 Depth=2
	s_or_saveexec_b32 s26, s26
	v_mov_b32_e32 v134, s25
	s_xor_b32 exec_lo, exec_lo, s26
	s_cbranch_execnz .LBB4_1621
.LBB4_1414:                             ;   in Loop: Header=BB4_1312 Depth=2
	s_or_b32 exec_lo, exec_lo, s26
	s_and_saveexec_b32 s25, s11
	s_cbranch_execz .LBB4_1416
.LBB4_1415:                             ;   in Loop: Header=BB4_1312 Depth=2
	v_and_b32_e32 v134, 3, v129
	v_lshrrev_b16 v146, 2, v129
	s_delay_alu instid0(VALU_DEP_2) | instskip(NEXT) | instid1(VALU_DEP_2)
	v_clz_i32_u32_e32 v144, v134
	v_and_b32_e32 v146, 31, v146
	s_delay_alu instid0(VALU_DEP_2) | instskip(NEXT) | instid1(VALU_DEP_2)
	v_min_u32_e32 v144, 32, v144
	v_cmp_eq_u32_e32 vcc_lo, 0, v146
	s_delay_alu instid0(VALU_DEP_2) | instskip(SKIP_1) | instid1(VALU_DEP_1)
	v_subrev_nc_u32_e32 v145, 29, v144
	v_sub_nc_u32_e32 v144, 30, v144
	v_dual_cndmask_b32 v144, v146, v144 :: v_dual_lshlrev_b32 v145, v145, v129
	v_lshlrev_b32_e32 v129, 24, v129
	s_delay_alu instid0(VALU_DEP_2) | instskip(NEXT) | instid1(VALU_DEP_3)
	v_and_b32_e32 v145, 3, v145
	v_lshl_add_u32 v144, v144, 23, 0x37800000
	s_delay_alu instid0(VALU_DEP_3) | instskip(NEXT) | instid1(VALU_DEP_3)
	v_and_b32_e32 v129, 0x80000000, v129
	v_cndmask_b32_e32 v134, v134, v145, vcc_lo
	s_delay_alu instid0(VALU_DEP_1) | instskip(NEXT) | instid1(VALU_DEP_1)
	v_lshlrev_b32_e32 v134, 21, v134
	v_or3_b32 v134, v129, v144, v134
.LBB4_1416:                             ;   in Loop: Header=BB4_1312 Depth=2
	s_or_b32 exec_lo, exec_lo, s25
	s_delay_alu instid0(VALU_DEP_1) | instskip(NEXT) | instid1(VALU_DEP_1)
	v_mul_f32_e32 v134, v135, v134
	v_and_b32_e32 v129, 0x7f800000, v134
	s_delay_alu instid0(VALU_DEP_1)
	v_cmp_ne_u32_e32 vcc_lo, 0x7f800000, v129
	v_mov_b32_e32 v129, 0x80
	s_and_saveexec_b32 s25, vcc_lo
	s_cbranch_execz .LBB4_1424
; %bb.1417:                             ;   in Loop: Header=BB4_1312 Depth=2
	v_mov_b32_e32 v129, 0
	s_mov_b32 s26, exec_lo
	v_cmpx_ne_u32_e32 0, v134
	s_cbranch_execz .LBB4_1423
; %bb.1418:                             ;   in Loop: Header=BB4_1312 Depth=2
	v_bfe_u32 v129, v134, 23, 8
	s_delay_alu instid0(VALU_DEP_1) | instskip(SKIP_1) | instid1(VALU_DEP_2)
	v_sub_nc_u32_e32 v144, 0x70, v129
	v_cmp_gt_u32_e32 vcc_lo, 0x71, v129
	v_dual_cndmask_b32 v144, 0, v144 :: v_dual_and_b32 v135, 0x7fffff, v134
	s_delay_alu instid0(VALU_DEP_1) | instskip(SKIP_2) | instid1(VALU_DEP_4)
	v_or_b32_e32 v145, 0x800000, v135
	v_cmp_eq_u32_e32 vcc_lo, 0, v129
	v_add_nc_u32_e32 v129, 0xffffff91, v129
	v_cndmask_b32_e64 v144, v144, 0x6f, vcc_lo
	s_delay_alu instid0(VALU_DEP_2) | instskip(SKIP_1) | instid1(VALU_DEP_3)
	v_cndmask_b32_e64 v129, v129, 0xffffff92, vcc_lo
	v_cndmask_b32_e32 v135, v145, v135, vcc_lo
	v_lshl_add_u32 v145, 0x200000, v144, -1
	v_lshlrev_b32_e64 v148, v144, 0x100000
	s_delay_alu instid0(VALU_DEP_3) | instskip(SKIP_1) | instid1(VALU_DEP_4)
	v_lshrrev_b32_e32 v146, v144, v135
	v_add_nc_u32_e32 v144, v144, v129
	v_and_b32_e32 v135, v145, v135
	s_delay_alu instid0(VALU_DEP_3) | instskip(NEXT) | instid1(VALU_DEP_2)
	v_bfe_u32 v147, v146, 21, 1
	v_cmp_eq_u32_e64 s11, v135, v148
	s_delay_alu instid0(VALU_DEP_2) | instskip(NEXT) | instid1(VALU_DEP_1)
	v_add_nc_u32_e32 v145, -1, v147
	v_cndmask_b32_e64 v135, 0, v145, s11
	v_lshrrev_b32_e32 v145, 23, v146
	s_mov_b32 s11, exec_lo
	s_delay_alu instid0(VALU_DEP_2) | instskip(NEXT) | instid1(VALU_DEP_2)
	v_add_nc_u32_e32 v135, v135, v146
	v_xor_b32_e32 v145, 1, v145
	s_delay_alu instid0(VALU_DEP_2) | instskip(NEXT) | instid1(VALU_DEP_1)
	v_and_b32_e32 v129, 0x1fffff, v135
	v_add_nc_u32_e32 v135, v129, v146
                                        ; implicit-def: $vgpr129
	s_delay_alu instid0(VALU_DEP_3)
	v_cmpx_ne_u32_e64 v144, v145
	s_xor_b32 s11, exec_lo, s11
; %bb.1419:                             ;   in Loop: Header=BB4_1312 Depth=2
	s_delay_alu instid0(VALU_DEP_2) | instskip(SKIP_2) | instid1(VALU_DEP_2)
	v_cmp_lt_u32_e32 vcc_lo, 0xffffff, v135
	v_sub_nc_u32_e32 v129, v144, v145
	v_cndmask_b32_e64 v144, 0, 1, vcc_lo
	v_add_co_ci_u32_e32 v129, vcc_lo, 0, v129, vcc_lo
	s_delay_alu instid0(VALU_DEP_2)
	v_lshrrev_b32_e32 v135, v144, v135
; %bb.1420:                             ;   in Loop: Header=BB4_1312 Depth=2
	s_and_not1_saveexec_b32 s11, s11
; %bb.1421:                             ;   in Loop: Header=BB4_1312 Depth=2
	s_delay_alu instid0(VALU_DEP_1)
	v_bfe_u32 v129, v135, 23, 1
; %bb.1422:                             ;   in Loop: Header=BB4_1312 Depth=2
	s_or_b32 exec_lo, exec_lo, s11
	v_lshrrev_b32_e32 v135, 21, v135
	s_delay_alu instid0(VALU_DEP_2) | instskip(SKIP_2) | instid1(VALU_DEP_2)
	v_cmp_gt_i32_e32 vcc_lo, 32, v129
	v_lshrrev_b32_e32 v134, 24, v134
	v_min_i32_e32 v144, 31, v129
	v_dual_cndmask_b32 v135, 3, v135 :: v_dual_and_b32 v134, 0x80, v134
	s_delay_alu instid0(VALU_DEP_1) | instskip(SKIP_1) | instid1(VALU_DEP_2)
	v_or_b32_e32 v129, v129, v135
	v_and_b32_e32 v145, 3, v135
	v_cmp_ne_u32_e32 vcc_lo, 0, v129
	v_lshlrev_b32_e32 v144, 2, v144
	s_delay_alu instid0(VALU_DEP_1) | instskip(NEXT) | instid1(VALU_DEP_1)
	v_or3_b32 v134, v144, v134, v145
	v_cndmask_b32_e32 v129, 0, v134, vcc_lo
.LBB4_1423:                             ;   in Loop: Header=BB4_1312 Depth=2
	s_or_b32 exec_lo, exec_lo, s26
.LBB4_1424:                             ;   in Loop: Header=BB4_1312 Depth=2
	s_delay_alu instid0(SALU_CYCLE_1) | instskip(SKIP_3) | instid1(VALU_DEP_1)
	s_or_b32 exec_lo, exec_lo, s25
	v_and_b32_e32 v135, 0xff, v133
	s_mov_b32 s11, 0
	s_mov_b32 s26, exec_lo
                                        ; implicit-def: $sgpr25
	v_cmpx_lt_i16_e64 0x7f, v135
	s_xor_b32 s26, exec_lo, s26
	s_cbranch_execnz .LBB4_1622
; %bb.1425:                             ;   in Loop: Header=BB4_1312 Depth=2
	s_or_saveexec_b32 s26, s26
	v_mov_b32_e32 v134, s25
	s_xor_b32 exec_lo, exec_lo, s26
	s_cbranch_execnz .LBB4_1625
.LBB4_1426:                             ;   in Loop: Header=BB4_1312 Depth=2
	s_or_b32 exec_lo, exec_lo, s26
	s_and_saveexec_b32 s25, s11
	s_cbranch_execz .LBB4_1428
.LBB4_1427:                             ;   in Loop: Header=BB4_1312 Depth=2
	v_lshrrev_b16 v145, 2, v133
	s_delay_alu instid0(VALU_DEP_1) | instskip(NEXT) | instid1(VALU_DEP_1)
	v_and_b32_e32 v145, 31, v145
	v_cmp_eq_u32_e32 vcc_lo, 0, v145
	v_and_b32_e32 v134, 3, v133
	s_delay_alu instid0(VALU_DEP_1) | instskip(NEXT) | instid1(VALU_DEP_1)
	v_clz_i32_u32_e32 v135, v134
	v_min_u32_e32 v135, 32, v135
	s_delay_alu instid0(VALU_DEP_1) | instskip(SKIP_1) | instid1(VALU_DEP_1)
	v_subrev_nc_u32_e32 v144, 29, v135
	v_sub_nc_u32_e32 v135, 30, v135
	v_dual_cndmask_b32 v135, v145, v135 :: v_dual_lshlrev_b32 v144, v144, v133
	v_lshlrev_b32_e32 v133, 24, v133
	s_delay_alu instid0(VALU_DEP_2) | instskip(NEXT) | instid1(VALU_DEP_3)
	v_and_b32_e32 v144, 3, v144
	v_lshl_add_u32 v135, v135, 23, 0x37800000
	s_delay_alu instid0(VALU_DEP_2) | instskip(NEXT) | instid1(VALU_DEP_1)
	v_dual_cndmask_b32 v134, v134, v144 :: v_dual_and_b32 v133, 0x80000000, v133
	v_lshlrev_b32_e32 v134, 21, v134
	s_delay_alu instid0(VALU_DEP_1)
	v_or3_b32 v134, v133, v135, v134
.LBB4_1428:                             ;   in Loop: Header=BB4_1312 Depth=2
	s_or_b32 exec_lo, exec_lo, s25
	s_waitcnt vmcnt(8) lgkmcnt(8)
	v_and_b32_e32 v135, 0xff, v132
	s_mov_b32 s11, 0
	s_mov_b32 s26, exec_lo
                                        ; implicit-def: $sgpr25
	s_delay_alu instid0(VALU_DEP_1)
	v_cmpx_lt_i16_e64 0x7f, v135
	s_xor_b32 s26, exec_lo, s26
	s_cbranch_execnz .LBB4_1626
; %bb.1429:                             ;   in Loop: Header=BB4_1312 Depth=2
	s_or_saveexec_b32 s26, s26
	v_mov_b32_e32 v133, s25
	s_xor_b32 exec_lo, exec_lo, s26
	s_cbranch_execnz .LBB4_1629
.LBB4_1430:                             ;   in Loop: Header=BB4_1312 Depth=2
	s_or_b32 exec_lo, exec_lo, s26
	s_and_saveexec_b32 s25, s11
	s_cbranch_execz .LBB4_1432
.LBB4_1431:                             ;   in Loop: Header=BB4_1312 Depth=2
	v_and_b32_e32 v133, 3, v132
	v_lshrrev_b16 v145, 2, v132
	s_delay_alu instid0(VALU_DEP_2) | instskip(NEXT) | instid1(VALU_DEP_2)
	v_clz_i32_u32_e32 v135, v133
	v_and_b32_e32 v145, 31, v145
	s_delay_alu instid0(VALU_DEP_2) | instskip(NEXT) | instid1(VALU_DEP_2)
	v_min_u32_e32 v135, 32, v135
	v_cmp_eq_u32_e32 vcc_lo, 0, v145
	s_delay_alu instid0(VALU_DEP_2) | instskip(SKIP_1) | instid1(VALU_DEP_1)
	v_subrev_nc_u32_e32 v144, 29, v135
	v_sub_nc_u32_e32 v135, 30, v135
	v_dual_cndmask_b32 v135, v145, v135 :: v_dual_lshlrev_b32 v144, v144, v132
	v_lshlrev_b32_e32 v132, 24, v132
	s_delay_alu instid0(VALU_DEP_2) | instskip(NEXT) | instid1(VALU_DEP_3)
	v_and_b32_e32 v144, 3, v144
	v_lshl_add_u32 v135, v135, 23, 0x37800000
	s_delay_alu instid0(VALU_DEP_3) | instskip(NEXT) | instid1(VALU_DEP_3)
	v_and_b32_e32 v132, 0x80000000, v132
	v_cndmask_b32_e32 v133, v133, v144, vcc_lo
	s_delay_alu instid0(VALU_DEP_1) | instskip(NEXT) | instid1(VALU_DEP_1)
	v_lshlrev_b32_e32 v133, 21, v133
	v_or3_b32 v133, v132, v135, v133
.LBB4_1432:                             ;   in Loop: Header=BB4_1312 Depth=2
	s_or_b32 exec_lo, exec_lo, s25
	s_delay_alu instid0(VALU_DEP_1) | instskip(NEXT) | instid1(VALU_DEP_1)
	v_mul_f32_e32 v133, v134, v133
	v_and_b32_e32 v132, 0x7f800000, v133
	s_delay_alu instid0(VALU_DEP_1)
	v_cmp_ne_u32_e32 vcc_lo, 0x7f800000, v132
	v_mov_b32_e32 v132, 0x80
	s_and_saveexec_b32 s25, vcc_lo
	s_cbranch_execz .LBB4_1440
; %bb.1433:                             ;   in Loop: Header=BB4_1312 Depth=2
	v_mov_b32_e32 v132, 0
	s_mov_b32 s26, exec_lo
	v_cmpx_ne_u32_e32 0, v133
	s_cbranch_execz .LBB4_1439
; %bb.1434:                             ;   in Loop: Header=BB4_1312 Depth=2
	v_bfe_u32 v132, v133, 23, 8
	s_delay_alu instid0(VALU_DEP_1) | instskip(SKIP_1) | instid1(VALU_DEP_2)
	v_sub_nc_u32_e32 v135, 0x70, v132
	v_cmp_gt_u32_e32 vcc_lo, 0x71, v132
	v_dual_cndmask_b32 v135, 0, v135 :: v_dual_and_b32 v134, 0x7fffff, v133
	s_delay_alu instid0(VALU_DEP_1) | instskip(SKIP_2) | instid1(VALU_DEP_4)
	v_or_b32_e32 v144, 0x800000, v134
	v_cmp_eq_u32_e32 vcc_lo, 0, v132
	v_add_nc_u32_e32 v132, 0xffffff91, v132
	v_cndmask_b32_e64 v135, v135, 0x6f, vcc_lo
	s_delay_alu instid0(VALU_DEP_2) | instskip(SKIP_1) | instid1(VALU_DEP_3)
	v_cndmask_b32_e64 v132, v132, 0xffffff92, vcc_lo
	v_cndmask_b32_e32 v134, v144, v134, vcc_lo
	v_lshl_add_u32 v144, 0x200000, v135, -1
	v_lshlrev_b32_e64 v147, v135, 0x100000
	s_delay_alu instid0(VALU_DEP_3) | instskip(SKIP_1) | instid1(VALU_DEP_4)
	v_lshrrev_b32_e32 v145, v135, v134
	v_add_nc_u32_e32 v135, v135, v132
	v_and_b32_e32 v134, v144, v134
	s_delay_alu instid0(VALU_DEP_3) | instskip(NEXT) | instid1(VALU_DEP_2)
	v_bfe_u32 v146, v145, 21, 1
	v_cmp_eq_u32_e64 s11, v134, v147
	s_delay_alu instid0(VALU_DEP_2) | instskip(NEXT) | instid1(VALU_DEP_1)
	v_add_nc_u32_e32 v144, -1, v146
	v_cndmask_b32_e64 v134, 0, v144, s11
	v_lshrrev_b32_e32 v144, 23, v145
	s_mov_b32 s11, exec_lo
	s_delay_alu instid0(VALU_DEP_2) | instskip(NEXT) | instid1(VALU_DEP_2)
	v_add_nc_u32_e32 v134, v134, v145
	v_xor_b32_e32 v144, 1, v144
	s_delay_alu instid0(VALU_DEP_2) | instskip(NEXT) | instid1(VALU_DEP_1)
	v_and_b32_e32 v132, 0x1fffff, v134
	v_add_nc_u32_e32 v134, v132, v145
                                        ; implicit-def: $vgpr132
	s_delay_alu instid0(VALU_DEP_3)
	v_cmpx_ne_u32_e64 v135, v144
	s_xor_b32 s11, exec_lo, s11
; %bb.1435:                             ;   in Loop: Header=BB4_1312 Depth=2
	s_delay_alu instid0(VALU_DEP_2) | instskip(SKIP_2) | instid1(VALU_DEP_2)
	v_cmp_lt_u32_e32 vcc_lo, 0xffffff, v134
	v_sub_nc_u32_e32 v132, v135, v144
	v_cndmask_b32_e64 v135, 0, 1, vcc_lo
	v_add_co_ci_u32_e32 v132, vcc_lo, 0, v132, vcc_lo
	s_delay_alu instid0(VALU_DEP_2)
	v_lshrrev_b32_e32 v134, v135, v134
; %bb.1436:                             ;   in Loop: Header=BB4_1312 Depth=2
	s_and_not1_saveexec_b32 s11, s11
; %bb.1437:                             ;   in Loop: Header=BB4_1312 Depth=2
	s_delay_alu instid0(VALU_DEP_1)
	v_bfe_u32 v132, v134, 23, 1
; %bb.1438:                             ;   in Loop: Header=BB4_1312 Depth=2
	s_or_b32 exec_lo, exec_lo, s11
	v_lshrrev_b32_e32 v134, 21, v134
	s_delay_alu instid0(VALU_DEP_2) | instskip(SKIP_2) | instid1(VALU_DEP_2)
	v_cmp_gt_i32_e32 vcc_lo, 32, v132
	v_lshrrev_b32_e32 v133, 24, v133
	v_min_i32_e32 v135, 31, v132
	v_dual_cndmask_b32 v134, 3, v134 :: v_dual_and_b32 v133, 0x80, v133
	s_delay_alu instid0(VALU_DEP_1) | instskip(SKIP_1) | instid1(VALU_DEP_2)
	v_or_b32_e32 v132, v132, v134
	v_and_b32_e32 v144, 3, v134
	v_cmp_ne_u32_e32 vcc_lo, 0, v132
	v_lshlrev_b32_e32 v135, 2, v135
	s_delay_alu instid0(VALU_DEP_1) | instskip(NEXT) | instid1(VALU_DEP_1)
	v_or3_b32 v133, v135, v133, v144
	v_cndmask_b32_e32 v132, 0, v133, vcc_lo
.LBB4_1439:                             ;   in Loop: Header=BB4_1312 Depth=2
	s_or_b32 exec_lo, exec_lo, s26
.LBB4_1440:                             ;   in Loop: Header=BB4_1312 Depth=2
	s_delay_alu instid0(SALU_CYCLE_1) | instskip(SKIP_3) | instid1(VALU_DEP_1)
	s_or_b32 exec_lo, exec_lo, s25
	v_and_b32_e32 v134, 0xff, v131
	s_mov_b32 s11, 0
	s_mov_b32 s26, exec_lo
                                        ; implicit-def: $sgpr25
	v_cmpx_lt_i16_e64 0x7f, v134
	s_xor_b32 s26, exec_lo, s26
	s_cbranch_execnz .LBB4_1630
; %bb.1441:                             ;   in Loop: Header=BB4_1312 Depth=2
	s_or_saveexec_b32 s26, s26
	v_mov_b32_e32 v133, s25
	s_xor_b32 exec_lo, exec_lo, s26
	s_cbranch_execnz .LBB4_1633
.LBB4_1442:                             ;   in Loop: Header=BB4_1312 Depth=2
	s_or_b32 exec_lo, exec_lo, s26
	s_and_saveexec_b32 s25, s11
	s_cbranch_execz .LBB4_1444
.LBB4_1443:                             ;   in Loop: Header=BB4_1312 Depth=2
	v_lshrrev_b16 v144, 2, v131
	s_delay_alu instid0(VALU_DEP_1) | instskip(NEXT) | instid1(VALU_DEP_1)
	v_and_b32_e32 v144, 31, v144
	v_cmp_eq_u32_e32 vcc_lo, 0, v144
	v_and_b32_e32 v133, 3, v131
	s_delay_alu instid0(VALU_DEP_1) | instskip(NEXT) | instid1(VALU_DEP_1)
	v_clz_i32_u32_e32 v134, v133
	v_min_u32_e32 v134, 32, v134
	s_delay_alu instid0(VALU_DEP_1) | instskip(SKIP_1) | instid1(VALU_DEP_1)
	v_subrev_nc_u32_e32 v135, 29, v134
	v_sub_nc_u32_e32 v134, 30, v134
	v_dual_cndmask_b32 v134, v144, v134 :: v_dual_lshlrev_b32 v135, v135, v131
	v_lshlrev_b32_e32 v131, 24, v131
	s_delay_alu instid0(VALU_DEP_2) | instskip(NEXT) | instid1(VALU_DEP_3)
	v_and_b32_e32 v135, 3, v135
	v_lshl_add_u32 v134, v134, 23, 0x37800000
	s_delay_alu instid0(VALU_DEP_3) | instskip(NEXT) | instid1(VALU_DEP_3)
	v_and_b32_e32 v131, 0x80000000, v131
	v_cndmask_b32_e32 v133, v133, v135, vcc_lo
	s_delay_alu instid0(VALU_DEP_1) | instskip(NEXT) | instid1(VALU_DEP_1)
	v_lshlrev_b32_e32 v133, 21, v133
	v_or3_b32 v133, v131, v134, v133
.LBB4_1444:                             ;   in Loop: Header=BB4_1312 Depth=2
	s_or_b32 exec_lo, exec_lo, s25
	s_waitcnt vmcnt(7) lgkmcnt(7)
	v_and_b32_e32 v134, 0xff, v130
	s_mov_b32 s11, 0
	s_mov_b32 s26, exec_lo
                                        ; implicit-def: $sgpr25
	s_delay_alu instid0(VALU_DEP_1)
	v_cmpx_lt_i16_e64 0x7f, v134
	s_xor_b32 s26, exec_lo, s26
	s_cbranch_execnz .LBB4_1634
; %bb.1445:                             ;   in Loop: Header=BB4_1312 Depth=2
	s_or_saveexec_b32 s26, s26
	v_mov_b32_e32 v131, s25
	s_xor_b32 exec_lo, exec_lo, s26
	s_cbranch_execnz .LBB4_1637
.LBB4_1446:                             ;   in Loop: Header=BB4_1312 Depth=2
	s_or_b32 exec_lo, exec_lo, s26
	s_and_saveexec_b32 s25, s11
	s_cbranch_execz .LBB4_1448
.LBB4_1447:                             ;   in Loop: Header=BB4_1312 Depth=2
	v_and_b32_e32 v131, 3, v130
	v_lshrrev_b16 v144, 2, v130
	s_delay_alu instid0(VALU_DEP_2) | instskip(NEXT) | instid1(VALU_DEP_1)
	v_clz_i32_u32_e32 v134, v131
	v_min_u32_e32 v134, 32, v134
	s_delay_alu instid0(VALU_DEP_1) | instskip(SKIP_1) | instid1(VALU_DEP_2)
	v_subrev_nc_u32_e32 v135, 29, v134
	v_sub_nc_u32_e32 v134, 30, v134
	v_lshlrev_b32_e32 v135, v135, v130
	v_lshlrev_b32_e32 v130, 24, v130
	s_delay_alu instid0(VALU_DEP_2) | instskip(SKIP_1) | instid1(VALU_DEP_3)
	v_and_b32_e32 v135, 3, v135
	v_and_b32_e32 v144, 31, v144
	;; [unrolled: 1-line block ×3, first 2 shown]
	s_delay_alu instid0(VALU_DEP_2) | instskip(NEXT) | instid1(VALU_DEP_4)
	v_cmp_eq_u32_e32 vcc_lo, 0, v144
	v_dual_cndmask_b32 v131, v131, v135 :: v_dual_cndmask_b32 v134, v144, v134
	s_delay_alu instid0(VALU_DEP_1) | instskip(NEXT) | instid1(VALU_DEP_2)
	v_lshlrev_b32_e32 v131, 21, v131
	v_lshl_add_u32 v134, v134, 23, 0x37800000
	s_delay_alu instid0(VALU_DEP_1)
	v_or3_b32 v131, v130, v134, v131
.LBB4_1448:                             ;   in Loop: Header=BB4_1312 Depth=2
	s_or_b32 exec_lo, exec_lo, s25
	s_delay_alu instid0(VALU_DEP_1) | instskip(NEXT) | instid1(VALU_DEP_1)
	v_mul_f32_e32 v131, v133, v131
	v_and_b32_e32 v130, 0x7f800000, v131
	s_delay_alu instid0(VALU_DEP_1)
	v_cmp_ne_u32_e32 vcc_lo, 0x7f800000, v130
	v_mov_b32_e32 v130, 0x80
	s_and_saveexec_b32 s25, vcc_lo
	s_cbranch_execz .LBB4_1456
; %bb.1449:                             ;   in Loop: Header=BB4_1312 Depth=2
	v_mov_b32_e32 v130, 0
	s_mov_b32 s26, exec_lo
	v_cmpx_ne_u32_e32 0, v131
	s_cbranch_execz .LBB4_1455
; %bb.1450:                             ;   in Loop: Header=BB4_1312 Depth=2
	v_bfe_u32 v130, v131, 23, 8
	s_delay_alu instid0(VALU_DEP_1) | instskip(SKIP_1) | instid1(VALU_DEP_2)
	v_sub_nc_u32_e32 v134, 0x70, v130
	v_cmp_gt_u32_e32 vcc_lo, 0x71, v130
	v_dual_cndmask_b32 v134, 0, v134 :: v_dual_and_b32 v133, 0x7fffff, v131
	s_delay_alu instid0(VALU_DEP_1) | instskip(SKIP_2) | instid1(VALU_DEP_4)
	v_or_b32_e32 v135, 0x800000, v133
	v_cmp_eq_u32_e32 vcc_lo, 0, v130
	v_add_nc_u32_e32 v130, 0xffffff91, v130
	v_cndmask_b32_e64 v134, v134, 0x6f, vcc_lo
	s_delay_alu instid0(VALU_DEP_4) | instskip(NEXT) | instid1(VALU_DEP_3)
	v_cndmask_b32_e32 v133, v135, v133, vcc_lo
	v_cndmask_b32_e64 v130, v130, 0xffffff92, vcc_lo
	s_delay_alu instid0(VALU_DEP_3) | instskip(NEXT) | instid1(VALU_DEP_3)
	v_lshl_add_u32 v135, 0x200000, v134, -1
	v_lshrrev_b32_e32 v144, v134, v133
	v_lshlrev_b32_e64 v146, v134, 0x100000
	s_delay_alu instid0(VALU_DEP_4) | instskip(NEXT) | instid1(VALU_DEP_4)
	v_add_nc_u32_e32 v134, v134, v130
	v_and_b32_e32 v133, v135, v133
	s_delay_alu instid0(VALU_DEP_4) | instskip(NEXT) | instid1(VALU_DEP_2)
	v_bfe_u32 v145, v144, 21, 1
	v_cmp_eq_u32_e64 s11, v133, v146
	s_delay_alu instid0(VALU_DEP_2) | instskip(NEXT) | instid1(VALU_DEP_1)
	v_add_nc_u32_e32 v135, -1, v145
	v_cndmask_b32_e64 v133, 0, v135, s11
	v_lshrrev_b32_e32 v135, 23, v144
	s_mov_b32 s11, exec_lo
	s_delay_alu instid0(VALU_DEP_2) | instskip(NEXT) | instid1(VALU_DEP_2)
	v_add_nc_u32_e32 v133, v133, v144
	v_xor_b32_e32 v135, 1, v135
	s_delay_alu instid0(VALU_DEP_2) | instskip(NEXT) | instid1(VALU_DEP_1)
	v_and_b32_e32 v130, 0x1fffff, v133
	v_add_nc_u32_e32 v133, v130, v144
                                        ; implicit-def: $vgpr130
	s_delay_alu instid0(VALU_DEP_3)
	v_cmpx_ne_u32_e64 v134, v135
	s_xor_b32 s11, exec_lo, s11
; %bb.1451:                             ;   in Loop: Header=BB4_1312 Depth=2
	s_delay_alu instid0(VALU_DEP_2) | instskip(SKIP_2) | instid1(VALU_DEP_2)
	v_cmp_lt_u32_e32 vcc_lo, 0xffffff, v133
	v_sub_nc_u32_e32 v130, v134, v135
	v_cndmask_b32_e64 v134, 0, 1, vcc_lo
	v_add_co_ci_u32_e32 v130, vcc_lo, 0, v130, vcc_lo
	s_delay_alu instid0(VALU_DEP_2)
	v_lshrrev_b32_e32 v133, v134, v133
; %bb.1452:                             ;   in Loop: Header=BB4_1312 Depth=2
	s_and_not1_saveexec_b32 s11, s11
; %bb.1453:                             ;   in Loop: Header=BB4_1312 Depth=2
	s_delay_alu instid0(VALU_DEP_1)
	v_bfe_u32 v130, v133, 23, 1
; %bb.1454:                             ;   in Loop: Header=BB4_1312 Depth=2
	s_or_b32 exec_lo, exec_lo, s11
	v_lshrrev_b32_e32 v133, 21, v133
	s_delay_alu instid0(VALU_DEP_2) | instskip(SKIP_2) | instid1(VALU_DEP_2)
	v_cmp_gt_i32_e32 vcc_lo, 32, v130
	v_min_i32_e32 v134, 31, v130
	v_lshrrev_b32_e32 v131, 24, v131
	v_dual_cndmask_b32 v133, 3, v133 :: v_dual_lshlrev_b32 v134, 2, v134
	s_delay_alu instid0(VALU_DEP_2) | instskip(NEXT) | instid1(VALU_DEP_2)
	v_and_b32_e32 v131, 0x80, v131
	v_or_b32_e32 v130, v130, v133
	s_delay_alu instid0(VALU_DEP_1) | instskip(SKIP_1) | instid1(VALU_DEP_1)
	v_cmp_ne_u32_e32 vcc_lo, 0, v130
	v_and_b32_e32 v135, 3, v133
	v_or3_b32 v131, v134, v131, v135
	s_delay_alu instid0(VALU_DEP_1)
	v_cndmask_b32_e32 v130, 0, v131, vcc_lo
.LBB4_1455:                             ;   in Loop: Header=BB4_1312 Depth=2
	s_or_b32 exec_lo, exec_lo, s26
.LBB4_1456:                             ;   in Loop: Header=BB4_1312 Depth=2
	s_delay_alu instid0(SALU_CYCLE_1) | instskip(SKIP_3) | instid1(VALU_DEP_1)
	s_or_b32 exec_lo, exec_lo, s25
	v_and_b32_e32 v133, 0xff, v128
	s_mov_b32 s11, 0
	s_mov_b32 s26, exec_lo
                                        ; implicit-def: $sgpr25
	v_cmpx_lt_i16_e64 0x7f, v133
	s_xor_b32 s26, exec_lo, s26
	s_cbranch_execnz .LBB4_1638
; %bb.1457:                             ;   in Loop: Header=BB4_1312 Depth=2
	s_or_saveexec_b32 s26, s26
	v_mov_b32_e32 v131, s25
	s_xor_b32 exec_lo, exec_lo, s26
	s_cbranch_execnz .LBB4_1641
.LBB4_1458:                             ;   in Loop: Header=BB4_1312 Depth=2
	s_or_b32 exec_lo, exec_lo, s26
	s_and_saveexec_b32 s25, s11
	s_cbranch_execz .LBB4_1460
.LBB4_1459:                             ;   in Loop: Header=BB4_1312 Depth=2
	v_and_b32_e32 v131, 3, v128
	v_lshrrev_b16 v135, 2, v128
	s_delay_alu instid0(VALU_DEP_2) | instskip(NEXT) | instid1(VALU_DEP_2)
	v_clz_i32_u32_e32 v133, v131
	v_and_b32_e32 v135, 31, v135
	s_delay_alu instid0(VALU_DEP_2) | instskip(NEXT) | instid1(VALU_DEP_2)
	v_min_u32_e32 v133, 32, v133
	v_cmp_eq_u32_e32 vcc_lo, 0, v135
	s_delay_alu instid0(VALU_DEP_2) | instskip(SKIP_1) | instid1(VALU_DEP_1)
	v_subrev_nc_u32_e32 v134, 29, v133
	v_sub_nc_u32_e32 v133, 30, v133
	v_dual_cndmask_b32 v133, v135, v133 :: v_dual_lshlrev_b32 v134, v134, v128
	s_delay_alu instid0(VALU_DEP_1) | instskip(SKIP_1) | instid1(VALU_DEP_3)
	v_and_b32_e32 v134, 3, v134
	v_lshlrev_b32_e32 v128, 24, v128
	v_lshl_add_u32 v133, v133, 23, 0x37800000
	s_delay_alu instid0(VALU_DEP_2) | instskip(NEXT) | instid1(VALU_DEP_1)
	v_dual_cndmask_b32 v131, v131, v134 :: v_dual_and_b32 v128, 0x80000000, v128
	v_lshlrev_b32_e32 v131, 21, v131
	s_delay_alu instid0(VALU_DEP_1)
	v_or3_b32 v131, v128, v133, v131
.LBB4_1460:                             ;   in Loop: Header=BB4_1312 Depth=2
	s_or_b32 exec_lo, exec_lo, s25
	s_waitcnt vmcnt(6) lgkmcnt(6)
	v_and_b32_e32 v133, 0xff, v119
	s_mov_b32 s11, 0
	s_mov_b32 s26, exec_lo
                                        ; implicit-def: $sgpr25
	s_delay_alu instid0(VALU_DEP_1)
	v_cmpx_lt_i16_e64 0x7f, v133
	s_xor_b32 s26, exec_lo, s26
	s_cbranch_execnz .LBB4_1642
; %bb.1461:                             ;   in Loop: Header=BB4_1312 Depth=2
	s_or_saveexec_b32 s26, s26
	v_mov_b32_e32 v128, s25
	s_xor_b32 exec_lo, exec_lo, s26
	s_cbranch_execnz .LBB4_1645
.LBB4_1462:                             ;   in Loop: Header=BB4_1312 Depth=2
	s_or_b32 exec_lo, exec_lo, s26
	s_and_saveexec_b32 s25, s11
	s_cbranch_execz .LBB4_1464
.LBB4_1463:                             ;   in Loop: Header=BB4_1312 Depth=2
	v_lshrrev_b16 v135, 2, v119
	s_delay_alu instid0(VALU_DEP_1) | instskip(NEXT) | instid1(VALU_DEP_1)
	v_and_b32_e32 v135, 31, v135
	v_cmp_eq_u32_e32 vcc_lo, 0, v135
	v_and_b32_e32 v128, 3, v119
	s_delay_alu instid0(VALU_DEP_1) | instskip(NEXT) | instid1(VALU_DEP_1)
	v_clz_i32_u32_e32 v133, v128
	v_min_u32_e32 v133, 32, v133
	s_delay_alu instid0(VALU_DEP_1) | instskip(SKIP_1) | instid1(VALU_DEP_1)
	v_subrev_nc_u32_e32 v134, 29, v133
	v_sub_nc_u32_e32 v133, 30, v133
	v_dual_cndmask_b32 v133, v135, v133 :: v_dual_lshlrev_b32 v134, v134, v119
	v_lshlrev_b32_e32 v119, 24, v119
	s_delay_alu instid0(VALU_DEP_2) | instskip(NEXT) | instid1(VALU_DEP_3)
	v_and_b32_e32 v134, 3, v134
	v_lshl_add_u32 v133, v133, 23, 0x37800000
	s_delay_alu instid0(VALU_DEP_2) | instskip(NEXT) | instid1(VALU_DEP_1)
	v_dual_cndmask_b32 v128, v128, v134 :: v_dual_and_b32 v119, 0x80000000, v119
	v_lshlrev_b32_e32 v128, 21, v128
	s_delay_alu instid0(VALU_DEP_1)
	v_or3_b32 v128, v119, v133, v128
.LBB4_1464:                             ;   in Loop: Header=BB4_1312 Depth=2
	s_or_b32 exec_lo, exec_lo, s25
	s_delay_alu instid0(VALU_DEP_1) | instskip(NEXT) | instid1(VALU_DEP_1)
	v_mul_f32_e32 v128, v131, v128
	v_and_b32_e32 v119, 0x7f800000, v128
	s_delay_alu instid0(VALU_DEP_1)
	v_cmp_ne_u32_e32 vcc_lo, 0x7f800000, v119
	v_mov_b32_e32 v119, 0x80
	s_and_saveexec_b32 s25, vcc_lo
	s_cbranch_execz .LBB4_1472
; %bb.1465:                             ;   in Loop: Header=BB4_1312 Depth=2
	v_mov_b32_e32 v119, 0
	s_mov_b32 s26, exec_lo
	v_cmpx_ne_u32_e32 0, v128
	s_cbranch_execz .LBB4_1471
; %bb.1466:                             ;   in Loop: Header=BB4_1312 Depth=2
	v_bfe_u32 v119, v128, 23, 8
	v_and_b32_e32 v131, 0x7fffff, v128
	s_delay_alu instid0(VALU_DEP_2) | instskip(SKIP_1) | instid1(VALU_DEP_3)
	v_sub_nc_u32_e32 v133, 0x70, v119
	v_cmp_gt_u32_e32 vcc_lo, 0x71, v119
	v_or_b32_e32 v134, 0x800000, v131
	s_delay_alu instid0(VALU_DEP_3) | instskip(SKIP_2) | instid1(VALU_DEP_3)
	v_cndmask_b32_e32 v133, 0, v133, vcc_lo
	v_cmp_eq_u32_e32 vcc_lo, 0, v119
	v_add_nc_u32_e32 v119, 0xffffff91, v119
	v_cndmask_b32_e64 v133, v133, 0x6f, vcc_lo
	v_cndmask_b32_e32 v131, v134, v131, vcc_lo
	s_delay_alu instid0(VALU_DEP_3) | instskip(NEXT) | instid1(VALU_DEP_3)
	v_cndmask_b32_e64 v119, v119, 0xffffff92, vcc_lo
	v_lshl_add_u32 v134, 0x200000, v133, -1
	s_delay_alu instid0(VALU_DEP_3) | instskip(SKIP_1) | instid1(VALU_DEP_4)
	v_lshrrev_b32_e32 v135, v133, v131
	v_lshlrev_b32_e64 v145, v133, 0x100000
	v_add_nc_u32_e32 v133, v133, v119
	s_delay_alu instid0(VALU_DEP_4) | instskip(NEXT) | instid1(VALU_DEP_4)
	v_and_b32_e32 v131, v134, v131
	v_bfe_u32 v144, v135, 21, 1
	s_delay_alu instid0(VALU_DEP_2) | instskip(NEXT) | instid1(VALU_DEP_2)
	v_cmp_eq_u32_e64 s11, v131, v145
	v_add_nc_u32_e32 v134, -1, v144
	s_delay_alu instid0(VALU_DEP_1) | instskip(SKIP_2) | instid1(VALU_DEP_2)
	v_cndmask_b32_e64 v131, 0, v134, s11
	v_lshrrev_b32_e32 v134, 23, v135
	s_mov_b32 s11, exec_lo
	v_add_nc_u32_e32 v131, v131, v135
	s_delay_alu instid0(VALU_DEP_2) | instskip(NEXT) | instid1(VALU_DEP_2)
	v_xor_b32_e32 v134, 1, v134
	v_and_b32_e32 v119, 0x1fffff, v131
	s_delay_alu instid0(VALU_DEP_1) | instskip(NEXT) | instid1(VALU_DEP_3)
	v_add_nc_u32_e32 v131, v119, v135
                                        ; implicit-def: $vgpr119
	v_cmpx_ne_u32_e64 v133, v134
	s_xor_b32 s11, exec_lo, s11
; %bb.1467:                             ;   in Loop: Header=BB4_1312 Depth=2
	s_delay_alu instid0(VALU_DEP_2) | instskip(SKIP_2) | instid1(VALU_DEP_2)
	v_cmp_lt_u32_e32 vcc_lo, 0xffffff, v131
	v_sub_nc_u32_e32 v119, v133, v134
	v_cndmask_b32_e64 v133, 0, 1, vcc_lo
	v_add_co_ci_u32_e32 v119, vcc_lo, 0, v119, vcc_lo
	s_delay_alu instid0(VALU_DEP_2)
	v_lshrrev_b32_e32 v131, v133, v131
; %bb.1468:                             ;   in Loop: Header=BB4_1312 Depth=2
	s_and_not1_saveexec_b32 s11, s11
; %bb.1469:                             ;   in Loop: Header=BB4_1312 Depth=2
	s_delay_alu instid0(VALU_DEP_1)
	v_bfe_u32 v119, v131, 23, 1
; %bb.1470:                             ;   in Loop: Header=BB4_1312 Depth=2
	s_or_b32 exec_lo, exec_lo, s11
	v_lshrrev_b32_e32 v131, 21, v131
	s_delay_alu instid0(VALU_DEP_2) | instskip(SKIP_2) | instid1(VALU_DEP_2)
	v_cmp_gt_i32_e32 vcc_lo, 32, v119
	v_lshrrev_b32_e32 v128, 24, v128
	v_min_i32_e32 v133, 31, v119
	v_dual_cndmask_b32 v131, 3, v131 :: v_dual_and_b32 v128, 0x80, v128
	s_delay_alu instid0(VALU_DEP_2) | instskip(NEXT) | instid1(VALU_DEP_2)
	v_lshlrev_b32_e32 v133, 2, v133
	v_or_b32_e32 v119, v119, v131
	s_delay_alu instid0(VALU_DEP_1) | instskip(SKIP_1) | instid1(VALU_DEP_1)
	v_cmp_ne_u32_e32 vcc_lo, 0, v119
	v_and_b32_e32 v134, 3, v131
	v_or3_b32 v128, v133, v128, v134
	s_delay_alu instid0(VALU_DEP_1)
	v_cndmask_b32_e32 v119, 0, v128, vcc_lo
.LBB4_1471:                             ;   in Loop: Header=BB4_1312 Depth=2
	s_or_b32 exec_lo, exec_lo, s26
.LBB4_1472:                             ;   in Loop: Header=BB4_1312 Depth=2
	s_delay_alu instid0(SALU_CYCLE_1) | instskip(SKIP_3) | instid1(VALU_DEP_1)
	s_or_b32 exec_lo, exec_lo, s25
	v_and_b32_e32 v131, 0xff, v117
	s_mov_b32 s11, 0
	s_mov_b32 s26, exec_lo
                                        ; implicit-def: $sgpr25
	v_cmpx_lt_i16_e64 0x7f, v131
	s_xor_b32 s26, exec_lo, s26
	s_cbranch_execnz .LBB4_1646
; %bb.1473:                             ;   in Loop: Header=BB4_1312 Depth=2
	s_or_saveexec_b32 s26, s26
	v_mov_b32_e32 v128, s25
	s_xor_b32 exec_lo, exec_lo, s26
	s_cbranch_execnz .LBB4_1649
.LBB4_1474:                             ;   in Loop: Header=BB4_1312 Depth=2
	s_or_b32 exec_lo, exec_lo, s26
	s_and_saveexec_b32 s25, s11
	s_cbranch_execz .LBB4_1476
.LBB4_1475:                             ;   in Loop: Header=BB4_1312 Depth=2
	v_lshrrev_b16 v134, 2, v117
	s_delay_alu instid0(VALU_DEP_1) | instskip(NEXT) | instid1(VALU_DEP_1)
	v_and_b32_e32 v134, 31, v134
	v_cmp_eq_u32_e32 vcc_lo, 0, v134
	v_and_b32_e32 v128, 3, v117
	s_delay_alu instid0(VALU_DEP_1) | instskip(NEXT) | instid1(VALU_DEP_1)
	v_clz_i32_u32_e32 v131, v128
	v_min_u32_e32 v131, 32, v131
	s_delay_alu instid0(VALU_DEP_1) | instskip(SKIP_1) | instid1(VALU_DEP_2)
	v_subrev_nc_u32_e32 v133, 29, v131
	v_sub_nc_u32_e32 v131, 30, v131
	v_lshlrev_b32_e32 v133, v133, v117
	s_delay_alu instid0(VALU_DEP_2) | instskip(SKIP_1) | instid1(VALU_DEP_3)
	v_cndmask_b32_e32 v131, v134, v131, vcc_lo
	v_lshlrev_b32_e32 v117, 24, v117
	v_and_b32_e32 v133, 3, v133
	s_delay_alu instid0(VALU_DEP_3) | instskip(NEXT) | instid1(VALU_DEP_3)
	v_lshl_add_u32 v131, v131, 23, 0x37800000
	v_and_b32_e32 v117, 0x80000000, v117
	s_delay_alu instid0(VALU_DEP_3) | instskip(NEXT) | instid1(VALU_DEP_1)
	v_cndmask_b32_e32 v128, v128, v133, vcc_lo
	v_lshlrev_b32_e32 v128, 21, v128
	s_delay_alu instid0(VALU_DEP_1)
	v_or3_b32 v128, v117, v131, v128
.LBB4_1476:                             ;   in Loop: Header=BB4_1312 Depth=2
	s_or_b32 exec_lo, exec_lo, s25
	s_waitcnt vmcnt(5) lgkmcnt(5)
	v_and_b32_e32 v131, 0xff, v116
	s_mov_b32 s11, 0
	s_mov_b32 s26, exec_lo
                                        ; implicit-def: $sgpr25
	s_delay_alu instid0(VALU_DEP_1)
	v_cmpx_lt_i16_e64 0x7f, v131
	s_xor_b32 s26, exec_lo, s26
	s_cbranch_execnz .LBB4_1650
; %bb.1477:                             ;   in Loop: Header=BB4_1312 Depth=2
	s_or_saveexec_b32 s26, s26
	v_mov_b32_e32 v117, s25
	s_xor_b32 exec_lo, exec_lo, s26
	s_cbranch_execnz .LBB4_1653
.LBB4_1478:                             ;   in Loop: Header=BB4_1312 Depth=2
	s_or_b32 exec_lo, exec_lo, s26
	s_and_saveexec_b32 s25, s11
	s_cbranch_execz .LBB4_1480
.LBB4_1479:                             ;   in Loop: Header=BB4_1312 Depth=2
	v_and_b32_e32 v117, 3, v116
	v_lshrrev_b16 v134, 2, v116
	s_delay_alu instid0(VALU_DEP_2) | instskip(NEXT) | instid1(VALU_DEP_1)
	v_clz_i32_u32_e32 v131, v117
	v_min_u32_e32 v131, 32, v131
	s_delay_alu instid0(VALU_DEP_1) | instskip(SKIP_1) | instid1(VALU_DEP_2)
	v_subrev_nc_u32_e32 v133, 29, v131
	v_sub_nc_u32_e32 v131, 30, v131
	v_lshlrev_b32_e32 v133, v133, v116
	s_delay_alu instid0(VALU_DEP_1) | instskip(SKIP_1) | instid1(VALU_DEP_1)
	v_and_b32_e32 v133, 3, v133
	v_and_b32_e32 v134, 31, v134
	v_cmp_eq_u32_e32 vcc_lo, 0, v134
	s_delay_alu instid0(VALU_DEP_3) | instskip(SKIP_1) | instid1(VALU_DEP_2)
	v_dual_cndmask_b32 v117, v117, v133 :: v_dual_lshlrev_b32 v116, 24, v116
	v_cndmask_b32_e32 v131, v134, v131, vcc_lo
	v_lshlrev_b32_e32 v117, 21, v117
	s_delay_alu instid0(VALU_DEP_3) | instskip(NEXT) | instid1(VALU_DEP_3)
	v_and_b32_e32 v116, 0x80000000, v116
	v_lshl_add_u32 v131, v131, 23, 0x37800000
	s_delay_alu instid0(VALU_DEP_1)
	v_or3_b32 v117, v116, v131, v117
.LBB4_1480:                             ;   in Loop: Header=BB4_1312 Depth=2
	s_or_b32 exec_lo, exec_lo, s25
	s_delay_alu instid0(VALU_DEP_1) | instskip(NEXT) | instid1(VALU_DEP_1)
	v_mul_f32_e32 v117, v128, v117
	v_and_b32_e32 v116, 0x7f800000, v117
	s_delay_alu instid0(VALU_DEP_1)
	v_cmp_ne_u32_e32 vcc_lo, 0x7f800000, v116
	v_mov_b32_e32 v116, 0x80
	s_and_saveexec_b32 s25, vcc_lo
	s_cbranch_execz .LBB4_1488
; %bb.1481:                             ;   in Loop: Header=BB4_1312 Depth=2
	v_mov_b32_e32 v116, 0
	s_mov_b32 s26, exec_lo
	v_cmpx_ne_u32_e32 0, v117
	s_cbranch_execz .LBB4_1487
; %bb.1482:                             ;   in Loop: Header=BB4_1312 Depth=2
	v_bfe_u32 v116, v117, 23, 8
	s_delay_alu instid0(VALU_DEP_1) | instskip(SKIP_1) | instid1(VALU_DEP_2)
	v_sub_nc_u32_e32 v131, 0x70, v116
	v_cmp_gt_u32_e32 vcc_lo, 0x71, v116
	v_dual_cndmask_b32 v131, 0, v131 :: v_dual_and_b32 v128, 0x7fffff, v117
	s_delay_alu instid0(VALU_DEP_1) | instskip(SKIP_2) | instid1(VALU_DEP_4)
	v_or_b32_e32 v133, 0x800000, v128
	v_cmp_eq_u32_e32 vcc_lo, 0, v116
	v_add_nc_u32_e32 v116, 0xffffff91, v116
	v_cndmask_b32_e64 v131, v131, 0x6f, vcc_lo
	s_delay_alu instid0(VALU_DEP_4) | instskip(NEXT) | instid1(VALU_DEP_3)
	v_cndmask_b32_e32 v128, v133, v128, vcc_lo
	v_cndmask_b32_e64 v116, v116, 0xffffff92, vcc_lo
	s_delay_alu instid0(VALU_DEP_3) | instskip(NEXT) | instid1(VALU_DEP_3)
	v_lshl_add_u32 v133, 0x200000, v131, -1
	v_lshrrev_b32_e32 v134, v131, v128
	v_lshlrev_b32_e64 v144, v131, 0x100000
	s_delay_alu instid0(VALU_DEP_4) | instskip(NEXT) | instid1(VALU_DEP_4)
	v_add_nc_u32_e32 v131, v131, v116
	v_and_b32_e32 v128, v133, v128
	s_delay_alu instid0(VALU_DEP_4) | instskip(NEXT) | instid1(VALU_DEP_2)
	v_bfe_u32 v135, v134, 21, 1
	v_cmp_eq_u32_e64 s11, v128, v144
	s_delay_alu instid0(VALU_DEP_2) | instskip(NEXT) | instid1(VALU_DEP_1)
	v_add_nc_u32_e32 v133, -1, v135
	v_cndmask_b32_e64 v128, 0, v133, s11
	v_lshrrev_b32_e32 v133, 23, v134
	s_mov_b32 s11, exec_lo
	s_delay_alu instid0(VALU_DEP_2) | instskip(NEXT) | instid1(VALU_DEP_2)
	v_add_nc_u32_e32 v128, v128, v134
	v_xor_b32_e32 v133, 1, v133
	s_delay_alu instid0(VALU_DEP_2) | instskip(NEXT) | instid1(VALU_DEP_1)
	v_and_b32_e32 v116, 0x1fffff, v128
	v_add_nc_u32_e32 v128, v116, v134
                                        ; implicit-def: $vgpr116
	s_delay_alu instid0(VALU_DEP_3)
	v_cmpx_ne_u32_e64 v131, v133
	s_xor_b32 s11, exec_lo, s11
; %bb.1483:                             ;   in Loop: Header=BB4_1312 Depth=2
	s_delay_alu instid0(VALU_DEP_2) | instskip(SKIP_2) | instid1(VALU_DEP_2)
	v_cmp_lt_u32_e32 vcc_lo, 0xffffff, v128
	v_sub_nc_u32_e32 v116, v131, v133
	v_cndmask_b32_e64 v131, 0, 1, vcc_lo
	v_add_co_ci_u32_e32 v116, vcc_lo, 0, v116, vcc_lo
	s_delay_alu instid0(VALU_DEP_2)
	v_lshrrev_b32_e32 v128, v131, v128
; %bb.1484:                             ;   in Loop: Header=BB4_1312 Depth=2
	s_and_not1_saveexec_b32 s11, s11
; %bb.1485:                             ;   in Loop: Header=BB4_1312 Depth=2
	s_delay_alu instid0(VALU_DEP_1)
	v_bfe_u32 v116, v128, 23, 1
; %bb.1486:                             ;   in Loop: Header=BB4_1312 Depth=2
	s_or_b32 exec_lo, exec_lo, s11
	v_lshrrev_b32_e32 v128, 21, v128
	s_delay_alu instid0(VALU_DEP_2) | instskip(SKIP_2) | instid1(VALU_DEP_2)
	v_cmp_gt_i32_e32 vcc_lo, 32, v116
	v_lshrrev_b32_e32 v117, 24, v117
	v_min_i32_e32 v131, 31, v116
	v_dual_cndmask_b32 v128, 3, v128 :: v_dual_and_b32 v117, 0x80, v117
	s_delay_alu instid0(VALU_DEP_2) | instskip(NEXT) | instid1(VALU_DEP_2)
	v_lshlrev_b32_e32 v131, 2, v131
	v_or_b32_e32 v116, v116, v128
	s_delay_alu instid0(VALU_DEP_1) | instskip(SKIP_1) | instid1(VALU_DEP_1)
	v_cmp_ne_u32_e32 vcc_lo, 0, v116
	v_and_b32_e32 v133, 3, v128
	v_or3_b32 v117, v131, v117, v133
	s_delay_alu instid0(VALU_DEP_1)
	v_cndmask_b32_e32 v116, 0, v117, vcc_lo
.LBB4_1487:                             ;   in Loop: Header=BB4_1312 Depth=2
	s_or_b32 exec_lo, exec_lo, s26
.LBB4_1488:                             ;   in Loop: Header=BB4_1312 Depth=2
	s_delay_alu instid0(SALU_CYCLE_1) | instskip(SKIP_3) | instid1(VALU_DEP_1)
	s_or_b32 exec_lo, exec_lo, s25
	v_and_b32_e32 v128, 0xff, v114
	s_mov_b32 s11, 0
	s_mov_b32 s26, exec_lo
                                        ; implicit-def: $sgpr25
	v_cmpx_lt_i16_e64 0x7f, v128
	s_xor_b32 s26, exec_lo, s26
	s_cbranch_execnz .LBB4_1654
; %bb.1489:                             ;   in Loop: Header=BB4_1312 Depth=2
	s_or_saveexec_b32 s26, s26
	v_mov_b32_e32 v117, s25
	s_xor_b32 exec_lo, exec_lo, s26
	s_cbranch_execnz .LBB4_1657
.LBB4_1490:                             ;   in Loop: Header=BB4_1312 Depth=2
	s_or_b32 exec_lo, exec_lo, s26
	s_and_saveexec_b32 s25, s11
	s_cbranch_execz .LBB4_1492
.LBB4_1491:                             ;   in Loop: Header=BB4_1312 Depth=2
	v_lshrrev_b16 v133, 2, v114
	s_delay_alu instid0(VALU_DEP_1) | instskip(NEXT) | instid1(VALU_DEP_1)
	v_and_b32_e32 v133, 31, v133
	v_cmp_eq_u32_e32 vcc_lo, 0, v133
	v_and_b32_e32 v117, 3, v114
	s_delay_alu instid0(VALU_DEP_1) | instskip(NEXT) | instid1(VALU_DEP_1)
	v_clz_i32_u32_e32 v128, v117
	v_min_u32_e32 v128, 32, v128
	s_delay_alu instid0(VALU_DEP_1) | instskip(SKIP_1) | instid1(VALU_DEP_1)
	v_subrev_nc_u32_e32 v131, 29, v128
	v_sub_nc_u32_e32 v128, 30, v128
	v_dual_cndmask_b32 v128, v133, v128 :: v_dual_lshlrev_b32 v131, v131, v114
	s_delay_alu instid0(VALU_DEP_1) | instskip(SKIP_1) | instid1(VALU_DEP_3)
	v_and_b32_e32 v131, 3, v131
	v_lshlrev_b32_e32 v114, 24, v114
	v_lshl_add_u32 v128, v128, 23, 0x37800000
	s_delay_alu instid0(VALU_DEP_2) | instskip(NEXT) | instid1(VALU_DEP_1)
	v_dual_cndmask_b32 v117, v117, v131 :: v_dual_and_b32 v114, 0x80000000, v114
	v_lshlrev_b32_e32 v117, 21, v117
	s_delay_alu instid0(VALU_DEP_1)
	v_or3_b32 v117, v114, v128, v117
.LBB4_1492:                             ;   in Loop: Header=BB4_1312 Depth=2
	s_or_b32 exec_lo, exec_lo, s25
	s_waitcnt vmcnt(4) lgkmcnt(4)
	v_and_b32_e32 v128, 0xff, v113
	s_mov_b32 s11, 0
	s_mov_b32 s26, exec_lo
                                        ; implicit-def: $sgpr25
	s_delay_alu instid0(VALU_DEP_1)
	v_cmpx_lt_i16_e64 0x7f, v128
	s_xor_b32 s26, exec_lo, s26
	s_cbranch_execnz .LBB4_1658
; %bb.1493:                             ;   in Loop: Header=BB4_1312 Depth=2
	s_or_saveexec_b32 s26, s26
	v_mov_b32_e32 v114, s25
	s_xor_b32 exec_lo, exec_lo, s26
	s_cbranch_execnz .LBB4_1661
.LBB4_1494:                             ;   in Loop: Header=BB4_1312 Depth=2
	s_or_b32 exec_lo, exec_lo, s26
	s_and_saveexec_b32 s25, s11
	s_cbranch_execz .LBB4_1496
.LBB4_1495:                             ;   in Loop: Header=BB4_1312 Depth=2
	v_and_b32_e32 v114, 3, v113
	v_lshrrev_b16 v133, 2, v113
	s_delay_alu instid0(VALU_DEP_2) | instskip(NEXT) | instid1(VALU_DEP_2)
	v_clz_i32_u32_e32 v128, v114
	v_and_b32_e32 v133, 31, v133
	s_delay_alu instid0(VALU_DEP_2) | instskip(NEXT) | instid1(VALU_DEP_2)
	v_min_u32_e32 v128, 32, v128
	v_cmp_eq_u32_e32 vcc_lo, 0, v133
	s_delay_alu instid0(VALU_DEP_2) | instskip(SKIP_1) | instid1(VALU_DEP_1)
	v_subrev_nc_u32_e32 v131, 29, v128
	v_sub_nc_u32_e32 v128, 30, v128
	v_dual_cndmask_b32 v128, v133, v128 :: v_dual_lshlrev_b32 v131, v131, v113
	v_lshlrev_b32_e32 v113, 24, v113
	s_delay_alu instid0(VALU_DEP_2) | instskip(NEXT) | instid1(VALU_DEP_3)
	v_and_b32_e32 v131, 3, v131
	v_lshl_add_u32 v128, v128, 23, 0x37800000
	s_delay_alu instid0(VALU_DEP_2) | instskip(NEXT) | instid1(VALU_DEP_1)
	v_dual_cndmask_b32 v114, v114, v131 :: v_dual_and_b32 v113, 0x80000000, v113
	v_lshlrev_b32_e32 v114, 21, v114
	s_delay_alu instid0(VALU_DEP_1)
	v_or3_b32 v114, v113, v128, v114
.LBB4_1496:                             ;   in Loop: Header=BB4_1312 Depth=2
	s_or_b32 exec_lo, exec_lo, s25
	s_delay_alu instid0(VALU_DEP_1) | instskip(NEXT) | instid1(VALU_DEP_1)
	v_mul_f32_e32 v114, v117, v114
	v_and_b32_e32 v113, 0x7f800000, v114
	s_delay_alu instid0(VALU_DEP_1)
	v_cmp_ne_u32_e32 vcc_lo, 0x7f800000, v113
	v_mov_b32_e32 v113, 0x80
	s_and_saveexec_b32 s25, vcc_lo
	s_cbranch_execz .LBB4_1504
; %bb.1497:                             ;   in Loop: Header=BB4_1312 Depth=2
	v_mov_b32_e32 v113, 0
	s_mov_b32 s26, exec_lo
	v_cmpx_ne_u32_e32 0, v114
	s_cbranch_execz .LBB4_1503
; %bb.1498:                             ;   in Loop: Header=BB4_1312 Depth=2
	v_bfe_u32 v113, v114, 23, 8
	s_delay_alu instid0(VALU_DEP_1) | instskip(SKIP_1) | instid1(VALU_DEP_2)
	v_sub_nc_u32_e32 v128, 0x70, v113
	v_cmp_gt_u32_e32 vcc_lo, 0x71, v113
	v_dual_cndmask_b32 v128, 0, v128 :: v_dual_and_b32 v117, 0x7fffff, v114
	s_delay_alu instid0(VALU_DEP_1) | instskip(SKIP_2) | instid1(VALU_DEP_4)
	v_or_b32_e32 v131, 0x800000, v117
	v_cmp_eq_u32_e32 vcc_lo, 0, v113
	v_add_nc_u32_e32 v113, 0xffffff91, v113
	v_cndmask_b32_e64 v128, v128, 0x6f, vcc_lo
	s_delay_alu instid0(VALU_DEP_4) | instskip(NEXT) | instid1(VALU_DEP_3)
	v_cndmask_b32_e32 v117, v131, v117, vcc_lo
	v_cndmask_b32_e64 v113, v113, 0xffffff92, vcc_lo
	s_delay_alu instid0(VALU_DEP_3) | instskip(NEXT) | instid1(VALU_DEP_3)
	v_lshl_add_u32 v131, 0x200000, v128, -1
	v_lshrrev_b32_e32 v133, v128, v117
	v_lshlrev_b32_e64 v135, v128, 0x100000
	s_delay_alu instid0(VALU_DEP_4) | instskip(NEXT) | instid1(VALU_DEP_4)
	v_add_nc_u32_e32 v128, v128, v113
	v_and_b32_e32 v117, v131, v117
	s_delay_alu instid0(VALU_DEP_4) | instskip(NEXT) | instid1(VALU_DEP_2)
	v_bfe_u32 v134, v133, 21, 1
	v_cmp_eq_u32_e64 s11, v117, v135
	s_delay_alu instid0(VALU_DEP_2) | instskip(NEXT) | instid1(VALU_DEP_1)
	v_add_nc_u32_e32 v131, -1, v134
	v_cndmask_b32_e64 v117, 0, v131, s11
	v_lshrrev_b32_e32 v131, 23, v133
	s_mov_b32 s11, exec_lo
	s_delay_alu instid0(VALU_DEP_2) | instskip(NEXT) | instid1(VALU_DEP_2)
	v_add_nc_u32_e32 v117, v117, v133
	v_xor_b32_e32 v131, 1, v131
	s_delay_alu instid0(VALU_DEP_2) | instskip(NEXT) | instid1(VALU_DEP_1)
	v_and_b32_e32 v113, 0x1fffff, v117
	v_add_nc_u32_e32 v117, v113, v133
                                        ; implicit-def: $vgpr113
	s_delay_alu instid0(VALU_DEP_3)
	v_cmpx_ne_u32_e64 v128, v131
	s_xor_b32 s11, exec_lo, s11
; %bb.1499:                             ;   in Loop: Header=BB4_1312 Depth=2
	s_delay_alu instid0(VALU_DEP_2) | instskip(SKIP_2) | instid1(VALU_DEP_2)
	v_cmp_lt_u32_e32 vcc_lo, 0xffffff, v117
	v_sub_nc_u32_e32 v113, v128, v131
	v_cndmask_b32_e64 v128, 0, 1, vcc_lo
	v_add_co_ci_u32_e32 v113, vcc_lo, 0, v113, vcc_lo
	s_delay_alu instid0(VALU_DEP_2)
	v_lshrrev_b32_e32 v117, v128, v117
; %bb.1500:                             ;   in Loop: Header=BB4_1312 Depth=2
	s_and_not1_saveexec_b32 s11, s11
; %bb.1501:                             ;   in Loop: Header=BB4_1312 Depth=2
	s_delay_alu instid0(VALU_DEP_1)
	v_bfe_u32 v113, v117, 23, 1
; %bb.1502:                             ;   in Loop: Header=BB4_1312 Depth=2
	s_or_b32 exec_lo, exec_lo, s11
	v_lshrrev_b32_e32 v117, 21, v117
	s_delay_alu instid0(VALU_DEP_2) | instskip(SKIP_2) | instid1(VALU_DEP_2)
	v_cmp_gt_i32_e32 vcc_lo, 32, v113
	v_lshrrev_b32_e32 v114, 24, v114
	v_min_i32_e32 v128, 31, v113
	v_dual_cndmask_b32 v117, 3, v117 :: v_dual_and_b32 v114, 0x80, v114
	s_delay_alu instid0(VALU_DEP_1) | instskip(SKIP_1) | instid1(VALU_DEP_2)
	v_or_b32_e32 v113, v113, v117
	v_and_b32_e32 v131, 3, v117
	v_cmp_ne_u32_e32 vcc_lo, 0, v113
	v_lshlrev_b32_e32 v128, 2, v128
	s_delay_alu instid0(VALU_DEP_1) | instskip(NEXT) | instid1(VALU_DEP_1)
	v_or3_b32 v114, v128, v114, v131
	v_cndmask_b32_e32 v113, 0, v114, vcc_lo
.LBB4_1503:                             ;   in Loop: Header=BB4_1312 Depth=2
	s_or_b32 exec_lo, exec_lo, s26
.LBB4_1504:                             ;   in Loop: Header=BB4_1312 Depth=2
	s_delay_alu instid0(SALU_CYCLE_1) | instskip(SKIP_3) | instid1(VALU_DEP_1)
	s_or_b32 exec_lo, exec_lo, s25
	v_and_b32_e32 v117, 0xff, v71
	s_mov_b32 s11, 0
	s_mov_b32 s26, exec_lo
                                        ; implicit-def: $sgpr25
	v_cmpx_lt_i16_e32 0x7f, v117
	s_xor_b32 s26, exec_lo, s26
	s_cbranch_execnz .LBB4_1662
; %bb.1505:                             ;   in Loop: Header=BB4_1312 Depth=2
	s_or_saveexec_b32 s26, s26
	v_mov_b32_e32 v114, s25
	s_xor_b32 exec_lo, exec_lo, s26
	s_cbranch_execnz .LBB4_1665
.LBB4_1506:                             ;   in Loop: Header=BB4_1312 Depth=2
	s_or_b32 exec_lo, exec_lo, s26
	s_and_saveexec_b32 s25, s11
	s_cbranch_execz .LBB4_1508
.LBB4_1507:                             ;   in Loop: Header=BB4_1312 Depth=2
	v_lshrrev_b16 v131, 2, v71
	s_delay_alu instid0(VALU_DEP_1) | instskip(NEXT) | instid1(VALU_DEP_1)
	v_and_b32_e32 v131, 31, v131
	v_cmp_eq_u32_e32 vcc_lo, 0, v131
	v_and_b32_e32 v114, 3, v71
	s_delay_alu instid0(VALU_DEP_1) | instskip(NEXT) | instid1(VALU_DEP_1)
	v_clz_i32_u32_e32 v117, v114
	v_min_u32_e32 v117, 32, v117
	s_delay_alu instid0(VALU_DEP_1) | instskip(SKIP_1) | instid1(VALU_DEP_1)
	v_subrev_nc_u32_e32 v128, 29, v117
	v_sub_nc_u32_e32 v117, 30, v117
	v_dual_cndmask_b32 v117, v131, v117 :: v_dual_lshlrev_b32 v128, v128, v71
	v_lshlrev_b32_e32 v71, 24, v71
	s_delay_alu instid0(VALU_DEP_2) | instskip(NEXT) | instid1(VALU_DEP_3)
	v_and_b32_e32 v128, 3, v128
	v_lshl_add_u32 v117, v117, 23, 0x37800000
	s_delay_alu instid0(VALU_DEP_2) | instskip(NEXT) | instid1(VALU_DEP_1)
	v_dual_cndmask_b32 v114, v114, v128 :: v_dual_and_b32 v71, 0x80000000, v71
	v_lshlrev_b32_e32 v114, 21, v114
	s_delay_alu instid0(VALU_DEP_1)
	v_or3_b32 v114, v71, v117, v114
.LBB4_1508:                             ;   in Loop: Header=BB4_1312 Depth=2
	s_or_b32 exec_lo, exec_lo, s25
	s_waitcnt vmcnt(3) lgkmcnt(3)
	v_and_b32_e32 v117, 0xff, v70
	s_mov_b32 s11, 0
	s_mov_b32 s26, exec_lo
                                        ; implicit-def: $sgpr25
	s_delay_alu instid0(VALU_DEP_1)
	v_cmpx_lt_i16_e32 0x7f, v117
	s_xor_b32 s26, exec_lo, s26
	s_cbranch_execnz .LBB4_1666
; %bb.1509:                             ;   in Loop: Header=BB4_1312 Depth=2
	s_or_saveexec_b32 s26, s26
	v_mov_b32_e32 v71, s25
	s_xor_b32 exec_lo, exec_lo, s26
	s_cbranch_execnz .LBB4_1669
.LBB4_1510:                             ;   in Loop: Header=BB4_1312 Depth=2
	s_or_b32 exec_lo, exec_lo, s26
	s_and_saveexec_b32 s25, s11
	s_cbranch_execz .LBB4_1512
.LBB4_1511:                             ;   in Loop: Header=BB4_1312 Depth=2
	v_and_b32_e32 v71, 3, v70
	v_lshrrev_b16 v131, 2, v70
	s_delay_alu instid0(VALU_DEP_2) | instskip(NEXT) | instid1(VALU_DEP_2)
	v_clz_i32_u32_e32 v117, v71
	v_and_b32_e32 v131, 31, v131
	s_delay_alu instid0(VALU_DEP_2) | instskip(NEXT) | instid1(VALU_DEP_2)
	v_min_u32_e32 v117, 32, v117
	v_cmp_eq_u32_e32 vcc_lo, 0, v131
	s_delay_alu instid0(VALU_DEP_2) | instskip(SKIP_1) | instid1(VALU_DEP_1)
	v_subrev_nc_u32_e32 v128, 29, v117
	v_sub_nc_u32_e32 v117, 30, v117
	v_dual_cndmask_b32 v117, v131, v117 :: v_dual_lshlrev_b32 v128, v128, v70
	s_delay_alu instid0(VALU_DEP_1) | instskip(SKIP_1) | instid1(VALU_DEP_3)
	v_and_b32_e32 v128, 3, v128
	v_lshlrev_b32_e32 v70, 24, v70
	v_lshl_add_u32 v117, v117, 23, 0x37800000
	s_delay_alu instid0(VALU_DEP_2) | instskip(NEXT) | instid1(VALU_DEP_1)
	v_dual_cndmask_b32 v71, v71, v128 :: v_dual_and_b32 v70, 0x80000000, v70
	v_lshlrev_b32_e32 v71, 21, v71
	s_delay_alu instid0(VALU_DEP_1)
	v_or3_b32 v71, v70, v117, v71
.LBB4_1512:                             ;   in Loop: Header=BB4_1312 Depth=2
	s_or_b32 exec_lo, exec_lo, s25
	s_delay_alu instid0(VALU_DEP_1) | instskip(NEXT) | instid1(VALU_DEP_1)
	v_mul_f32_e32 v71, v114, v71
	v_and_b32_e32 v70, 0x7f800000, v71
	s_delay_alu instid0(VALU_DEP_1)
	v_cmp_ne_u32_e32 vcc_lo, 0x7f800000, v70
	v_mov_b32_e32 v70, 0x80
	s_and_saveexec_b32 s25, vcc_lo
	s_cbranch_execz .LBB4_1520
; %bb.1513:                             ;   in Loop: Header=BB4_1312 Depth=2
	v_mov_b32_e32 v70, 0
	s_mov_b32 s26, exec_lo
	v_cmpx_ne_u32_e32 0, v71
	s_cbranch_execz .LBB4_1519
; %bb.1514:                             ;   in Loop: Header=BB4_1312 Depth=2
	v_bfe_u32 v70, v71, 23, 8
	s_delay_alu instid0(VALU_DEP_1) | instskip(SKIP_1) | instid1(VALU_DEP_2)
	v_sub_nc_u32_e32 v117, 0x70, v70
	v_cmp_gt_u32_e32 vcc_lo, 0x71, v70
	v_dual_cndmask_b32 v117, 0, v117 :: v_dual_and_b32 v114, 0x7fffff, v71
	s_delay_alu instid0(VALU_DEP_1) | instskip(SKIP_2) | instid1(VALU_DEP_4)
	v_or_b32_e32 v128, 0x800000, v114
	v_cmp_eq_u32_e32 vcc_lo, 0, v70
	v_add_nc_u32_e32 v70, 0xffffff91, v70
	v_cndmask_b32_e64 v117, v117, 0x6f, vcc_lo
	s_delay_alu instid0(VALU_DEP_4) | instskip(NEXT) | instid1(VALU_DEP_3)
	v_cndmask_b32_e32 v114, v128, v114, vcc_lo
	v_cndmask_b32_e64 v70, v70, 0xffffff92, vcc_lo
	s_delay_alu instid0(VALU_DEP_3) | instskip(NEXT) | instid1(VALU_DEP_3)
	v_lshl_add_u32 v128, 0x200000, v117, -1
	v_lshrrev_b32_e32 v131, v117, v114
	v_lshlrev_b32_e64 v134, v117, 0x100000
	s_delay_alu instid0(VALU_DEP_4) | instskip(NEXT) | instid1(VALU_DEP_4)
	v_add_nc_u32_e32 v117, v117, v70
	v_and_b32_e32 v114, v128, v114
	s_delay_alu instid0(VALU_DEP_4) | instskip(NEXT) | instid1(VALU_DEP_2)
	v_bfe_u32 v133, v131, 21, 1
	v_cmp_eq_u32_e64 s11, v114, v134
	s_delay_alu instid0(VALU_DEP_2) | instskip(NEXT) | instid1(VALU_DEP_1)
	v_add_nc_u32_e32 v128, -1, v133
	v_cndmask_b32_e64 v114, 0, v128, s11
	v_lshrrev_b32_e32 v128, 23, v131
	s_mov_b32 s11, exec_lo
	s_delay_alu instid0(VALU_DEP_2) | instskip(NEXT) | instid1(VALU_DEP_2)
	v_add_nc_u32_e32 v114, v114, v131
	v_xor_b32_e32 v128, 1, v128
	s_delay_alu instid0(VALU_DEP_2) | instskip(NEXT) | instid1(VALU_DEP_1)
	v_and_b32_e32 v70, 0x1fffff, v114
	v_add_nc_u32_e32 v114, v70, v131
                                        ; implicit-def: $vgpr70
	s_delay_alu instid0(VALU_DEP_3)
	v_cmpx_ne_u32_e64 v117, v128
	s_xor_b32 s11, exec_lo, s11
; %bb.1515:                             ;   in Loop: Header=BB4_1312 Depth=2
	s_delay_alu instid0(VALU_DEP_2) | instskip(SKIP_2) | instid1(VALU_DEP_2)
	v_cmp_lt_u32_e32 vcc_lo, 0xffffff, v114
	v_sub_nc_u32_e32 v70, v117, v128
	v_cndmask_b32_e64 v117, 0, 1, vcc_lo
	v_add_co_ci_u32_e32 v70, vcc_lo, 0, v70, vcc_lo
	s_delay_alu instid0(VALU_DEP_2)
	v_lshrrev_b32_e32 v114, v117, v114
; %bb.1516:                             ;   in Loop: Header=BB4_1312 Depth=2
	s_and_not1_saveexec_b32 s11, s11
; %bb.1517:                             ;   in Loop: Header=BB4_1312 Depth=2
	s_delay_alu instid0(VALU_DEP_1)
	v_bfe_u32 v70, v114, 23, 1
; %bb.1518:                             ;   in Loop: Header=BB4_1312 Depth=2
	s_or_b32 exec_lo, exec_lo, s11
	v_lshrrev_b32_e32 v114, 21, v114
	s_delay_alu instid0(VALU_DEP_2) | instskip(SKIP_2) | instid1(VALU_DEP_2)
	v_cmp_gt_i32_e32 vcc_lo, 32, v70
	v_lshrrev_b32_e32 v71, 24, v71
	v_min_i32_e32 v117, 31, v70
	v_dual_cndmask_b32 v114, 3, v114 :: v_dual_and_b32 v71, 0x80, v71
	s_delay_alu instid0(VALU_DEP_1) | instskip(SKIP_1) | instid1(VALU_DEP_2)
	v_or_b32_e32 v70, v70, v114
	v_and_b32_e32 v128, 3, v114
	v_cmp_ne_u32_e32 vcc_lo, 0, v70
	v_lshlrev_b32_e32 v117, 2, v117
	s_delay_alu instid0(VALU_DEP_1) | instskip(NEXT) | instid1(VALU_DEP_1)
	v_or3_b32 v71, v117, v71, v128
	v_cndmask_b32_e32 v70, 0, v71, vcc_lo
.LBB4_1519:                             ;   in Loop: Header=BB4_1312 Depth=2
	s_or_b32 exec_lo, exec_lo, s26
.LBB4_1520:                             ;   in Loop: Header=BB4_1312 Depth=2
	s_delay_alu instid0(SALU_CYCLE_1) | instskip(SKIP_3) | instid1(VALU_DEP_1)
	s_or_b32 exec_lo, exec_lo, s25
	v_and_b32_e32 v114, 0xff, v68
	s_mov_b32 s11, 0
	s_mov_b32 s26, exec_lo
                                        ; implicit-def: $sgpr25
	v_cmpx_lt_i16_e32 0x7f, v114
	s_xor_b32 s26, exec_lo, s26
	s_cbranch_execnz .LBB4_1670
; %bb.1521:                             ;   in Loop: Header=BB4_1312 Depth=2
	s_or_saveexec_b32 s26, s26
	v_mov_b32_e32 v71, s25
	s_xor_b32 exec_lo, exec_lo, s26
	s_cbranch_execnz .LBB4_1673
.LBB4_1522:                             ;   in Loop: Header=BB4_1312 Depth=2
	s_or_b32 exec_lo, exec_lo, s26
	s_and_saveexec_b32 s25, s11
	s_cbranch_execz .LBB4_1524
.LBB4_1523:                             ;   in Loop: Header=BB4_1312 Depth=2
	v_lshrrev_b16 v128, 2, v68
	s_delay_alu instid0(VALU_DEP_1) | instskip(NEXT) | instid1(VALU_DEP_1)
	v_and_b32_e32 v128, 31, v128
	v_cmp_eq_u32_e32 vcc_lo, 0, v128
	v_and_b32_e32 v71, 3, v68
	s_delay_alu instid0(VALU_DEP_1) | instskip(NEXT) | instid1(VALU_DEP_1)
	v_clz_i32_u32_e32 v114, v71
	v_min_u32_e32 v114, 32, v114
	s_delay_alu instid0(VALU_DEP_1) | instskip(SKIP_1) | instid1(VALU_DEP_1)
	v_subrev_nc_u32_e32 v117, 29, v114
	v_sub_nc_u32_e32 v114, 30, v114
	v_dual_cndmask_b32 v114, v128, v114 :: v_dual_lshlrev_b32 v117, v117, v68
	v_lshlrev_b32_e32 v68, 24, v68
	s_delay_alu instid0(VALU_DEP_2) | instskip(NEXT) | instid1(VALU_DEP_3)
	v_and_b32_e32 v117, 3, v117
	v_lshl_add_u32 v114, v114, 23, 0x37800000
	s_delay_alu instid0(VALU_DEP_2) | instskip(NEXT) | instid1(VALU_DEP_1)
	v_dual_cndmask_b32 v71, v71, v117 :: v_dual_and_b32 v68, 0x80000000, v68
	v_lshlrev_b32_e32 v71, 21, v71
	s_delay_alu instid0(VALU_DEP_1)
	v_or3_b32 v71, v68, v114, v71
.LBB4_1524:                             ;   in Loop: Header=BB4_1312 Depth=2
	s_or_b32 exec_lo, exec_lo, s25
	s_waitcnt vmcnt(2) lgkmcnt(2)
	v_and_b32_e32 v114, 0xff, v67
	s_mov_b32 s11, 0
	s_mov_b32 s26, exec_lo
                                        ; implicit-def: $sgpr25
	s_delay_alu instid0(VALU_DEP_1)
	v_cmpx_lt_i16_e32 0x7f, v114
	s_xor_b32 s26, exec_lo, s26
	s_cbranch_execnz .LBB4_1674
; %bb.1525:                             ;   in Loop: Header=BB4_1312 Depth=2
	s_or_saveexec_b32 s26, s26
	v_mov_b32_e32 v68, s25
	s_xor_b32 exec_lo, exec_lo, s26
	s_cbranch_execnz .LBB4_1677
.LBB4_1526:                             ;   in Loop: Header=BB4_1312 Depth=2
	s_or_b32 exec_lo, exec_lo, s26
	s_and_saveexec_b32 s25, s11
	s_cbranch_execz .LBB4_1528
.LBB4_1527:                             ;   in Loop: Header=BB4_1312 Depth=2
	v_and_b32_e32 v68, 3, v67
	v_lshrrev_b16 v128, 2, v67
	s_delay_alu instid0(VALU_DEP_2) | instskip(NEXT) | instid1(VALU_DEP_2)
	v_clz_i32_u32_e32 v114, v68
	v_and_b32_e32 v128, 31, v128
	s_delay_alu instid0(VALU_DEP_2) | instskip(NEXT) | instid1(VALU_DEP_2)
	v_min_u32_e32 v114, 32, v114
	v_cmp_eq_u32_e32 vcc_lo, 0, v128
	s_delay_alu instid0(VALU_DEP_2) | instskip(SKIP_1) | instid1(VALU_DEP_1)
	v_subrev_nc_u32_e32 v117, 29, v114
	v_sub_nc_u32_e32 v114, 30, v114
	v_dual_cndmask_b32 v114, v128, v114 :: v_dual_lshlrev_b32 v117, v117, v67
	s_delay_alu instid0(VALU_DEP_1) | instskip(SKIP_1) | instid1(VALU_DEP_3)
	v_and_b32_e32 v117, 3, v117
	v_lshlrev_b32_e32 v67, 24, v67
	v_lshl_add_u32 v114, v114, 23, 0x37800000
	s_delay_alu instid0(VALU_DEP_2) | instskip(NEXT) | instid1(VALU_DEP_1)
	v_dual_cndmask_b32 v68, v68, v117 :: v_dual_and_b32 v67, 0x80000000, v67
	v_lshlrev_b32_e32 v68, 21, v68
	s_delay_alu instid0(VALU_DEP_1)
	v_or3_b32 v68, v67, v114, v68
.LBB4_1528:                             ;   in Loop: Header=BB4_1312 Depth=2
	s_or_b32 exec_lo, exec_lo, s25
	s_delay_alu instid0(VALU_DEP_1) | instskip(NEXT) | instid1(VALU_DEP_1)
	v_mul_f32_e32 v68, v71, v68
	v_and_b32_e32 v67, 0x7f800000, v68
	s_delay_alu instid0(VALU_DEP_1)
	v_cmp_ne_u32_e32 vcc_lo, 0x7f800000, v67
	v_mov_b32_e32 v67, 0x80
	s_and_saveexec_b32 s25, vcc_lo
	s_cbranch_execz .LBB4_1536
; %bb.1529:                             ;   in Loop: Header=BB4_1312 Depth=2
	v_mov_b32_e32 v67, 0
	s_mov_b32 s26, exec_lo
	v_cmpx_ne_u32_e32 0, v68
	s_cbranch_execz .LBB4_1535
; %bb.1530:                             ;   in Loop: Header=BB4_1312 Depth=2
	v_bfe_u32 v67, v68, 23, 8
	s_delay_alu instid0(VALU_DEP_1) | instskip(SKIP_1) | instid1(VALU_DEP_2)
	v_sub_nc_u32_e32 v114, 0x70, v67
	v_cmp_gt_u32_e32 vcc_lo, 0x71, v67
	v_dual_cndmask_b32 v114, 0, v114 :: v_dual_and_b32 v71, 0x7fffff, v68
	s_delay_alu instid0(VALU_DEP_1) | instskip(SKIP_2) | instid1(VALU_DEP_4)
	v_or_b32_e32 v117, 0x800000, v71
	v_cmp_eq_u32_e32 vcc_lo, 0, v67
	v_add_nc_u32_e32 v67, 0xffffff91, v67
	v_cndmask_b32_e64 v114, v114, 0x6f, vcc_lo
	s_delay_alu instid0(VALU_DEP_4) | instskip(NEXT) | instid1(VALU_DEP_3)
	v_cndmask_b32_e32 v71, v117, v71, vcc_lo
	v_cndmask_b32_e64 v67, v67, 0xffffff92, vcc_lo
	s_delay_alu instid0(VALU_DEP_3) | instskip(NEXT) | instid1(VALU_DEP_3)
	v_lshl_add_u32 v117, 0x200000, v114, -1
	v_lshrrev_b32_e32 v128, v114, v71
	v_lshlrev_b32_e64 v133, v114, 0x100000
	s_delay_alu instid0(VALU_DEP_4) | instskip(NEXT) | instid1(VALU_DEP_4)
	v_add_nc_u32_e32 v114, v114, v67
	v_and_b32_e32 v71, v117, v71
	s_delay_alu instid0(VALU_DEP_4) | instskip(NEXT) | instid1(VALU_DEP_2)
	v_bfe_u32 v131, v128, 21, 1
	v_cmp_eq_u32_e64 s11, v71, v133
	s_delay_alu instid0(VALU_DEP_2) | instskip(NEXT) | instid1(VALU_DEP_1)
	v_add_nc_u32_e32 v117, -1, v131
	v_cndmask_b32_e64 v71, 0, v117, s11
	v_lshrrev_b32_e32 v117, 23, v128
	s_mov_b32 s11, exec_lo
	s_delay_alu instid0(VALU_DEP_2) | instskip(NEXT) | instid1(VALU_DEP_2)
	v_add_nc_u32_e32 v71, v71, v128
	v_xor_b32_e32 v117, 1, v117
	s_delay_alu instid0(VALU_DEP_2) | instskip(NEXT) | instid1(VALU_DEP_1)
	v_and_b32_e32 v67, 0x1fffff, v71
	v_add_nc_u32_e32 v71, v67, v128
                                        ; implicit-def: $vgpr67
	s_delay_alu instid0(VALU_DEP_3)
	v_cmpx_ne_u32_e64 v114, v117
	s_xor_b32 s11, exec_lo, s11
; %bb.1531:                             ;   in Loop: Header=BB4_1312 Depth=2
	s_delay_alu instid0(VALU_DEP_2) | instskip(SKIP_2) | instid1(VALU_DEP_2)
	v_cmp_lt_u32_e32 vcc_lo, 0xffffff, v71
	v_sub_nc_u32_e32 v67, v114, v117
	v_cndmask_b32_e64 v114, 0, 1, vcc_lo
	v_add_co_ci_u32_e32 v67, vcc_lo, 0, v67, vcc_lo
	s_delay_alu instid0(VALU_DEP_2)
	v_lshrrev_b32_e32 v71, v114, v71
; %bb.1532:                             ;   in Loop: Header=BB4_1312 Depth=2
	s_and_not1_saveexec_b32 s11, s11
; %bb.1533:                             ;   in Loop: Header=BB4_1312 Depth=2
	s_delay_alu instid0(VALU_DEP_1)
	v_bfe_u32 v67, v71, 23, 1
; %bb.1534:                             ;   in Loop: Header=BB4_1312 Depth=2
	s_or_b32 exec_lo, exec_lo, s11
	v_lshrrev_b32_e32 v71, 21, v71
	s_delay_alu instid0(VALU_DEP_2) | instskip(SKIP_2) | instid1(VALU_DEP_2)
	v_cmp_gt_i32_e32 vcc_lo, 32, v67
	v_lshrrev_b32_e32 v68, 24, v68
	v_min_i32_e32 v114, 31, v67
	v_dual_cndmask_b32 v71, 3, v71 :: v_dual_and_b32 v68, 0x80, v68
	s_delay_alu instid0(VALU_DEP_1) | instskip(SKIP_1) | instid1(VALU_DEP_2)
	v_or_b32_e32 v67, v67, v71
	v_and_b32_e32 v117, 3, v71
	v_cmp_ne_u32_e32 vcc_lo, 0, v67
	v_lshlrev_b32_e32 v114, 2, v114
	s_delay_alu instid0(VALU_DEP_1) | instskip(NEXT) | instid1(VALU_DEP_1)
	v_or3_b32 v68, v114, v68, v117
	v_cndmask_b32_e32 v67, 0, v68, vcc_lo
.LBB4_1535:                             ;   in Loop: Header=BB4_1312 Depth=2
	s_or_b32 exec_lo, exec_lo, s26
.LBB4_1536:                             ;   in Loop: Header=BB4_1312 Depth=2
	s_delay_alu instid0(SALU_CYCLE_1) | instskip(SKIP_3) | instid1(VALU_DEP_1)
	s_or_b32 exec_lo, exec_lo, s25
	v_and_b32_e32 v71, 0xff, v25
	s_mov_b32 s11, 0
	s_mov_b32 s26, exec_lo
                                        ; implicit-def: $sgpr25
	v_cmpx_lt_i16_e32 0x7f, v71
	s_xor_b32 s26, exec_lo, s26
	s_cbranch_execnz .LBB4_1678
; %bb.1537:                             ;   in Loop: Header=BB4_1312 Depth=2
	s_or_saveexec_b32 s26, s26
	v_mov_b32_e32 v68, s25
	s_xor_b32 exec_lo, exec_lo, s26
	s_cbranch_execnz .LBB4_1681
.LBB4_1538:                             ;   in Loop: Header=BB4_1312 Depth=2
	s_or_b32 exec_lo, exec_lo, s26
	s_and_saveexec_b32 s25, s11
	s_cbranch_execz .LBB4_1540
.LBB4_1539:                             ;   in Loop: Header=BB4_1312 Depth=2
	v_lshrrev_b16 v117, 2, v25
	s_delay_alu instid0(VALU_DEP_1) | instskip(NEXT) | instid1(VALU_DEP_1)
	v_and_b32_e32 v117, 31, v117
	v_cmp_eq_u32_e32 vcc_lo, 0, v117
	v_and_b32_e32 v68, 3, v25
	s_delay_alu instid0(VALU_DEP_1) | instskip(NEXT) | instid1(VALU_DEP_1)
	v_clz_i32_u32_e32 v71, v68
	v_min_u32_e32 v71, 32, v71
	s_delay_alu instid0(VALU_DEP_1) | instskip(SKIP_1) | instid1(VALU_DEP_1)
	v_subrev_nc_u32_e32 v114, 29, v71
	v_sub_nc_u32_e32 v71, 30, v71
	v_dual_cndmask_b32 v71, v117, v71 :: v_dual_lshlrev_b32 v114, v114, v25
	v_lshlrev_b32_e32 v25, 24, v25
	s_delay_alu instid0(VALU_DEP_2) | instskip(NEXT) | instid1(VALU_DEP_3)
	v_and_b32_e32 v114, 3, v114
	v_lshl_add_u32 v71, v71, 23, 0x37800000
	s_delay_alu instid0(VALU_DEP_2) | instskip(NEXT) | instid1(VALU_DEP_1)
	v_dual_cndmask_b32 v68, v68, v114 :: v_dual_and_b32 v25, 0x80000000, v25
	v_lshlrev_b32_e32 v68, 21, v68
	s_delay_alu instid0(VALU_DEP_1)
	v_or3_b32 v68, v25, v71, v68
.LBB4_1540:                             ;   in Loop: Header=BB4_1312 Depth=2
	s_or_b32 exec_lo, exec_lo, s25
	s_waitcnt vmcnt(1) lgkmcnt(1)
	v_and_b32_e32 v71, 0xff, v24
	s_mov_b32 s11, 0
	s_mov_b32 s26, exec_lo
                                        ; implicit-def: $sgpr25
	s_delay_alu instid0(VALU_DEP_1)
	v_cmpx_lt_i16_e32 0x7f, v71
	s_xor_b32 s26, exec_lo, s26
	s_cbranch_execnz .LBB4_1682
; %bb.1541:                             ;   in Loop: Header=BB4_1312 Depth=2
	s_or_saveexec_b32 s26, s26
	v_mov_b32_e32 v25, s25
	s_xor_b32 exec_lo, exec_lo, s26
	s_cbranch_execnz .LBB4_1685
.LBB4_1542:                             ;   in Loop: Header=BB4_1312 Depth=2
	s_or_b32 exec_lo, exec_lo, s26
	s_and_saveexec_b32 s25, s11
	s_cbranch_execz .LBB4_1544
.LBB4_1543:                             ;   in Loop: Header=BB4_1312 Depth=2
	v_and_b32_e32 v25, 3, v24
	v_lshrrev_b16 v117, 2, v24
	s_delay_alu instid0(VALU_DEP_2) | instskip(NEXT) | instid1(VALU_DEP_2)
	v_clz_i32_u32_e32 v71, v25
	v_and_b32_e32 v117, 31, v117
	s_delay_alu instid0(VALU_DEP_2) | instskip(NEXT) | instid1(VALU_DEP_2)
	v_min_u32_e32 v71, 32, v71
	v_cmp_eq_u32_e32 vcc_lo, 0, v117
	s_delay_alu instid0(VALU_DEP_2) | instskip(SKIP_1) | instid1(VALU_DEP_1)
	v_subrev_nc_u32_e32 v114, 29, v71
	v_sub_nc_u32_e32 v71, 30, v71
	v_dual_cndmask_b32 v71, v117, v71 :: v_dual_lshlrev_b32 v114, v114, v24
	s_delay_alu instid0(VALU_DEP_1) | instskip(SKIP_1) | instid1(VALU_DEP_3)
	v_and_b32_e32 v114, 3, v114
	v_lshlrev_b32_e32 v24, 24, v24
	v_lshl_add_u32 v71, v71, 23, 0x37800000
	s_delay_alu instid0(VALU_DEP_2) | instskip(NEXT) | instid1(VALU_DEP_1)
	v_dual_cndmask_b32 v25, v25, v114 :: v_dual_and_b32 v24, 0x80000000, v24
	v_lshlrev_b32_e32 v25, 21, v25
	s_delay_alu instid0(VALU_DEP_1)
	v_or3_b32 v25, v24, v71, v25
.LBB4_1544:                             ;   in Loop: Header=BB4_1312 Depth=2
	s_or_b32 exec_lo, exec_lo, s25
	s_delay_alu instid0(VALU_DEP_1) | instskip(NEXT) | instid1(VALU_DEP_1)
	v_mul_f32_e32 v25, v68, v25
	v_and_b32_e32 v24, 0x7f800000, v25
	s_delay_alu instid0(VALU_DEP_1)
	v_cmp_ne_u32_e32 vcc_lo, 0x7f800000, v24
	v_mov_b32_e32 v24, 0x80
	s_and_saveexec_b32 s25, vcc_lo
	s_cbranch_execz .LBB4_1552
; %bb.1545:                             ;   in Loop: Header=BB4_1312 Depth=2
	v_mov_b32_e32 v24, 0
	s_mov_b32 s26, exec_lo
	v_cmpx_ne_u32_e32 0, v25
	s_cbranch_execz .LBB4_1551
; %bb.1546:                             ;   in Loop: Header=BB4_1312 Depth=2
	v_bfe_u32 v24, v25, 23, 8
	s_delay_alu instid0(VALU_DEP_1) | instskip(SKIP_1) | instid1(VALU_DEP_2)
	v_sub_nc_u32_e32 v71, 0x70, v24
	v_cmp_gt_u32_e32 vcc_lo, 0x71, v24
	v_dual_cndmask_b32 v71, 0, v71 :: v_dual_and_b32 v68, 0x7fffff, v25
	s_delay_alu instid0(VALU_DEP_1) | instskip(SKIP_2) | instid1(VALU_DEP_4)
	v_or_b32_e32 v114, 0x800000, v68
	v_cmp_eq_u32_e32 vcc_lo, 0, v24
	v_add_nc_u32_e32 v24, 0xffffff91, v24
	v_cndmask_b32_e64 v71, v71, 0x6f, vcc_lo
	s_delay_alu instid0(VALU_DEP_4) | instskip(NEXT) | instid1(VALU_DEP_3)
	v_cndmask_b32_e32 v68, v114, v68, vcc_lo
	v_cndmask_b32_e64 v24, v24, 0xffffff92, vcc_lo
	s_delay_alu instid0(VALU_DEP_3) | instskip(NEXT) | instid1(VALU_DEP_3)
	v_lshl_add_u32 v114, 0x200000, v71, -1
	v_lshrrev_b32_e32 v117, v71, v68
	v_lshlrev_b32_e64 v131, v71, 0x100000
	s_delay_alu instid0(VALU_DEP_4) | instskip(NEXT) | instid1(VALU_DEP_4)
	v_add_nc_u32_e32 v71, v71, v24
	v_and_b32_e32 v68, v114, v68
	s_delay_alu instid0(VALU_DEP_4) | instskip(NEXT) | instid1(VALU_DEP_2)
	v_bfe_u32 v128, v117, 21, 1
	v_cmp_eq_u32_e64 s11, v68, v131
	s_delay_alu instid0(VALU_DEP_2) | instskip(NEXT) | instid1(VALU_DEP_1)
	v_add_nc_u32_e32 v114, -1, v128
	v_cndmask_b32_e64 v68, 0, v114, s11
	v_lshrrev_b32_e32 v114, 23, v117
	s_mov_b32 s11, exec_lo
	s_delay_alu instid0(VALU_DEP_2) | instskip(NEXT) | instid1(VALU_DEP_2)
	v_add_nc_u32_e32 v68, v68, v117
	v_xor_b32_e32 v114, 1, v114
	s_delay_alu instid0(VALU_DEP_2) | instskip(NEXT) | instid1(VALU_DEP_1)
	v_and_b32_e32 v24, 0x1fffff, v68
	v_add_nc_u32_e32 v68, v24, v117
                                        ; implicit-def: $vgpr24
	s_delay_alu instid0(VALU_DEP_3)
	v_cmpx_ne_u32_e64 v71, v114
	s_xor_b32 s11, exec_lo, s11
; %bb.1547:                             ;   in Loop: Header=BB4_1312 Depth=2
	s_delay_alu instid0(VALU_DEP_2) | instskip(SKIP_2) | instid1(VALU_DEP_2)
	v_cmp_lt_u32_e32 vcc_lo, 0xffffff, v68
	v_sub_nc_u32_e32 v24, v71, v114
	v_cndmask_b32_e64 v71, 0, 1, vcc_lo
	v_add_co_ci_u32_e32 v24, vcc_lo, 0, v24, vcc_lo
	s_delay_alu instid0(VALU_DEP_2)
	v_lshrrev_b32_e32 v68, v71, v68
; %bb.1548:                             ;   in Loop: Header=BB4_1312 Depth=2
	s_and_not1_saveexec_b32 s11, s11
; %bb.1549:                             ;   in Loop: Header=BB4_1312 Depth=2
	s_delay_alu instid0(VALU_DEP_1)
	v_bfe_u32 v24, v68, 23, 1
; %bb.1550:                             ;   in Loop: Header=BB4_1312 Depth=2
	s_or_b32 exec_lo, exec_lo, s11
	v_lshrrev_b32_e32 v68, 21, v68
	s_delay_alu instid0(VALU_DEP_2) | instskip(SKIP_2) | instid1(VALU_DEP_2)
	v_cmp_gt_i32_e32 vcc_lo, 32, v24
	v_lshrrev_b32_e32 v25, 24, v25
	v_min_i32_e32 v71, 31, v24
	v_dual_cndmask_b32 v68, 3, v68 :: v_dual_and_b32 v25, 0x80, v25
	s_delay_alu instid0(VALU_DEP_1) | instskip(SKIP_1) | instid1(VALU_DEP_2)
	v_or_b32_e32 v24, v24, v68
	v_and_b32_e32 v114, 3, v68
	v_cmp_ne_u32_e32 vcc_lo, 0, v24
	v_lshlrev_b32_e32 v71, 2, v71
	s_delay_alu instid0(VALU_DEP_1) | instskip(NEXT) | instid1(VALU_DEP_1)
	v_or3_b32 v25, v71, v25, v114
	v_cndmask_b32_e32 v24, 0, v25, vcc_lo
.LBB4_1551:                             ;   in Loop: Header=BB4_1312 Depth=2
	s_or_b32 exec_lo, exec_lo, s26
.LBB4_1552:                             ;   in Loop: Header=BB4_1312 Depth=2
	s_delay_alu instid0(SALU_CYCLE_1) | instskip(SKIP_3) | instid1(VALU_DEP_1)
	s_or_b32 exec_lo, exec_lo, s25
	v_and_b32_e32 v68, 0xff, v22
	s_mov_b32 s11, 0
	s_mov_b32 s26, exec_lo
                                        ; implicit-def: $sgpr25
	v_cmpx_lt_i16_e32 0x7f, v68
	s_xor_b32 s26, exec_lo, s26
	s_cbranch_execnz .LBB4_1686
; %bb.1553:                             ;   in Loop: Header=BB4_1312 Depth=2
	s_or_saveexec_b32 s26, s26
	v_mov_b32_e32 v25, s25
	s_xor_b32 exec_lo, exec_lo, s26
	s_cbranch_execnz .LBB4_1689
.LBB4_1554:                             ;   in Loop: Header=BB4_1312 Depth=2
	s_or_b32 exec_lo, exec_lo, s26
	s_and_saveexec_b32 s25, s11
	s_cbranch_execz .LBB4_1556
.LBB4_1555:                             ;   in Loop: Header=BB4_1312 Depth=2
	v_lshrrev_b16 v114, 2, v22
	s_delay_alu instid0(VALU_DEP_1) | instskip(NEXT) | instid1(VALU_DEP_1)
	v_and_b32_e32 v114, 31, v114
	v_cmp_eq_u32_e32 vcc_lo, 0, v114
	v_and_b32_e32 v25, 3, v22
	s_delay_alu instid0(VALU_DEP_1) | instskip(NEXT) | instid1(VALU_DEP_1)
	v_clz_i32_u32_e32 v68, v25
	v_min_u32_e32 v68, 32, v68
	s_delay_alu instid0(VALU_DEP_1) | instskip(SKIP_1) | instid1(VALU_DEP_1)
	v_subrev_nc_u32_e32 v71, 29, v68
	v_sub_nc_u32_e32 v68, 30, v68
	v_dual_cndmask_b32 v68, v114, v68 :: v_dual_lshlrev_b32 v71, v71, v22
	v_lshlrev_b32_e32 v22, 24, v22
	s_delay_alu instid0(VALU_DEP_2) | instskip(NEXT) | instid1(VALU_DEP_3)
	v_and_b32_e32 v71, 3, v71
	v_lshl_add_u32 v68, v68, 23, 0x37800000
	s_delay_alu instid0(VALU_DEP_2) | instskip(NEXT) | instid1(VALU_DEP_1)
	v_dual_cndmask_b32 v25, v25, v71 :: v_dual_and_b32 v22, 0x80000000, v22
	v_lshlrev_b32_e32 v25, 21, v25
	s_delay_alu instid0(VALU_DEP_1)
	v_or3_b32 v25, v22, v68, v25
.LBB4_1556:                             ;   in Loop: Header=BB4_1312 Depth=2
	s_or_b32 exec_lo, exec_lo, s25
	s_waitcnt vmcnt(0) lgkmcnt(0)
	v_and_b32_e32 v68, 0xff, v21
	s_mov_b32 s11, 0
	s_mov_b32 s26, exec_lo
                                        ; implicit-def: $sgpr25
	s_delay_alu instid0(VALU_DEP_1)
	v_cmpx_lt_i16_e32 0x7f, v68
	s_xor_b32 s26, exec_lo, s26
	s_cbranch_execnz .LBB4_1690
; %bb.1557:                             ;   in Loop: Header=BB4_1312 Depth=2
	s_or_saveexec_b32 s26, s26
	v_mov_b32_e32 v22, s25
	s_xor_b32 exec_lo, exec_lo, s26
	s_cbranch_execnz .LBB4_1693
.LBB4_1558:                             ;   in Loop: Header=BB4_1312 Depth=2
	s_or_b32 exec_lo, exec_lo, s26
	s_and_saveexec_b32 s25, s11
	s_cbranch_execz .LBB4_1560
.LBB4_1559:                             ;   in Loop: Header=BB4_1312 Depth=2
	v_and_b32_e32 v22, 3, v21
	v_lshrrev_b16 v114, 2, v21
	s_delay_alu instid0(VALU_DEP_2) | instskip(NEXT) | instid1(VALU_DEP_2)
	v_clz_i32_u32_e32 v68, v22
	v_and_b32_e32 v114, 31, v114
	s_delay_alu instid0(VALU_DEP_2) | instskip(NEXT) | instid1(VALU_DEP_2)
	v_min_u32_e32 v68, 32, v68
	v_cmp_eq_u32_e32 vcc_lo, 0, v114
	s_delay_alu instid0(VALU_DEP_2) | instskip(SKIP_1) | instid1(VALU_DEP_1)
	v_subrev_nc_u32_e32 v71, 29, v68
	v_sub_nc_u32_e32 v68, 30, v68
	v_dual_cndmask_b32 v68, v114, v68 :: v_dual_lshlrev_b32 v71, v71, v21
	s_delay_alu instid0(VALU_DEP_1) | instskip(SKIP_1) | instid1(VALU_DEP_3)
	v_and_b32_e32 v71, 3, v71
	v_lshlrev_b32_e32 v21, 24, v21
	v_lshl_add_u32 v68, v68, 23, 0x37800000
	s_delay_alu instid0(VALU_DEP_2) | instskip(NEXT) | instid1(VALU_DEP_1)
	v_dual_cndmask_b32 v22, v22, v71 :: v_dual_and_b32 v21, 0x80000000, v21
	v_lshlrev_b32_e32 v22, 21, v22
	s_delay_alu instid0(VALU_DEP_1)
	v_or3_b32 v22, v21, v68, v22
.LBB4_1560:                             ;   in Loop: Header=BB4_1312 Depth=2
	s_or_b32 exec_lo, exec_lo, s25
	s_delay_alu instid0(VALU_DEP_1) | instskip(NEXT) | instid1(VALU_DEP_1)
	v_mul_f32_e32 v22, v25, v22
	v_and_b32_e32 v21, 0x7f800000, v22
	s_delay_alu instid0(VALU_DEP_1)
	v_cmp_ne_u32_e32 vcc_lo, 0x7f800000, v21
	v_mov_b32_e32 v21, 0x80
	s_and_saveexec_b32 s25, vcc_lo
	s_cbranch_execz .LBB4_1311
; %bb.1561:                             ;   in Loop: Header=BB4_1312 Depth=2
	v_mov_b32_e32 v21, 0
	s_mov_b32 s26, exec_lo
	v_cmpx_ne_u32_e32 0, v22
	s_cbranch_execz .LBB4_1310
; %bb.1562:                             ;   in Loop: Header=BB4_1312 Depth=2
	v_bfe_u32 v21, v22, 23, 8
	s_delay_alu instid0(VALU_DEP_1) | instskip(SKIP_1) | instid1(VALU_DEP_2)
	v_sub_nc_u32_e32 v68, 0x70, v21
	v_cmp_gt_u32_e32 vcc_lo, 0x71, v21
	v_dual_cndmask_b32 v68, 0, v68 :: v_dual_and_b32 v25, 0x7fffff, v22
	s_delay_alu instid0(VALU_DEP_1) | instskip(SKIP_2) | instid1(VALU_DEP_4)
	v_or_b32_e32 v71, 0x800000, v25
	v_cmp_eq_u32_e32 vcc_lo, 0, v21
	v_add_nc_u32_e32 v21, 0xffffff91, v21
	v_cndmask_b32_e64 v68, v68, 0x6f, vcc_lo
	s_delay_alu instid0(VALU_DEP_4) | instskip(NEXT) | instid1(VALU_DEP_3)
	v_cndmask_b32_e32 v25, v71, v25, vcc_lo
	v_cndmask_b32_e64 v21, v21, 0xffffff92, vcc_lo
	s_delay_alu instid0(VALU_DEP_3) | instskip(NEXT) | instid1(VALU_DEP_3)
	v_lshl_add_u32 v71, 0x200000, v68, -1
	v_lshrrev_b32_e32 v114, v68, v25
	v_lshlrev_b32_e64 v128, v68, 0x100000
	s_delay_alu instid0(VALU_DEP_4) | instskip(NEXT) | instid1(VALU_DEP_4)
	v_add_nc_u32_e32 v68, v68, v21
	v_and_b32_e32 v25, v71, v25
	s_delay_alu instid0(VALU_DEP_4) | instskip(NEXT) | instid1(VALU_DEP_2)
	v_bfe_u32 v117, v114, 21, 1
	v_cmp_eq_u32_e64 s11, v25, v128
	s_delay_alu instid0(VALU_DEP_2) | instskip(NEXT) | instid1(VALU_DEP_1)
	v_add_nc_u32_e32 v71, -1, v117
	v_cndmask_b32_e64 v25, 0, v71, s11
	v_lshrrev_b32_e32 v71, 23, v114
	s_mov_b32 s11, exec_lo
	s_delay_alu instid0(VALU_DEP_2) | instskip(NEXT) | instid1(VALU_DEP_2)
	v_add_nc_u32_e32 v25, v25, v114
	v_xor_b32_e32 v71, 1, v71
	s_delay_alu instid0(VALU_DEP_2) | instskip(NEXT) | instid1(VALU_DEP_1)
	v_and_b32_e32 v21, 0x1fffff, v25
	v_add_nc_u32_e32 v25, v21, v114
                                        ; implicit-def: $vgpr21
	s_delay_alu instid0(VALU_DEP_3)
	v_cmpx_ne_u32_e64 v68, v71
	s_xor_b32 s11, exec_lo, s11
; %bb.1563:                             ;   in Loop: Header=BB4_1312 Depth=2
	s_delay_alu instid0(VALU_DEP_2) | instskip(SKIP_2) | instid1(VALU_DEP_2)
	v_cmp_lt_u32_e32 vcc_lo, 0xffffff, v25
	v_sub_nc_u32_e32 v21, v68, v71
	v_cndmask_b32_e64 v68, 0, 1, vcc_lo
	v_add_co_ci_u32_e32 v21, vcc_lo, 0, v21, vcc_lo
	s_delay_alu instid0(VALU_DEP_2)
	v_lshrrev_b32_e32 v25, v68, v25
; %bb.1564:                             ;   in Loop: Header=BB4_1312 Depth=2
	s_and_not1_saveexec_b32 s11, s11
	s_cbranch_execz .LBB4_1309
; %bb.1565:                             ;   in Loop: Header=BB4_1312 Depth=2
	s_delay_alu instid0(VALU_DEP_1)
	v_bfe_u32 v21, v25, 23, 1
	s_branch .LBB4_1309
.LBB4_1566:                             ;   in Loop: Header=BB4_1312 Depth=2
	s_mov_b32 s11, -1
	s_mov_b32 s27, exec_lo
                                        ; implicit-def: $sgpr25
	v_cmpx_eq_u16_e64 0x80, v149
; %bb.1567:                             ;   in Loop: Header=BB4_1312 Depth=2
	s_mov_b32 s25, 0x7f800001
	s_xor_b32 s11, exec_lo, -1
; %bb.1568:                             ;   in Loop: Header=BB4_1312 Depth=2
	s_or_b32 exec_lo, exec_lo, s27
	s_delay_alu instid0(SALU_CYCLE_1)
	s_and_b32 s11, s11, exec_lo
	s_or_saveexec_b32 s26, s26
	v_mov_b32_e32 v148, s25
	s_xor_b32 exec_lo, exec_lo, s26
	s_cbranch_execz .LBB4_1314
.LBB4_1569:                             ;   in Loop: Header=BB4_1312 Depth=2
	v_cmp_ne_u16_e64 vcc_lo, 0, v149
	v_mov_b32_e32 v148, 0
	s_and_not1_b32 s11, s11, exec_lo
	s_delay_alu instid0(VALU_DEP_2) | instskip(NEXT) | instid1(SALU_CYCLE_1)
	s_and_b32 s25, vcc_lo, exec_lo
	s_or_b32 s11, s11, s25
	s_or_b32 exec_lo, exec_lo, s26
	s_and_saveexec_b32 s25, s11
	s_cbranch_execnz .LBB4_1315
	s_branch .LBB4_1316
.LBB4_1570:                             ;   in Loop: Header=BB4_1312 Depth=2
	s_mov_b32 s11, -1
	s_mov_b32 s27, exec_lo
                                        ; implicit-def: $sgpr25
	v_cmpx_eq_u16_e64 0x80, v150
; %bb.1571:                             ;   in Loop: Header=BB4_1312 Depth=2
	s_mov_b32 s25, 0x7f800001
	s_xor_b32 s11, exec_lo, -1
; %bb.1572:                             ;   in Loop: Header=BB4_1312 Depth=2
	s_or_b32 exec_lo, exec_lo, s27
	s_delay_alu instid0(SALU_CYCLE_1)
	s_and_b32 s11, s11, exec_lo
                                        ; implicit-def: $vgpr150
	s_or_saveexec_b32 s26, s26
	v_mov_b32_e32 v149, s25
	s_xor_b32 exec_lo, exec_lo, s26
	s_cbranch_execz .LBB4_1318
.LBB4_1573:                             ;   in Loop: Header=BB4_1312 Depth=2
	v_cmp_ne_u16_e64 vcc_lo, 0, v150
	v_mov_b32_e32 v149, 0
	s_and_not1_b32 s11, s11, exec_lo
	s_delay_alu instid0(VALU_DEP_2) | instskip(NEXT) | instid1(SALU_CYCLE_1)
	s_and_b32 s25, vcc_lo, exec_lo
	s_or_b32 s11, s11, s25
	s_or_b32 exec_lo, exec_lo, s26
	s_and_saveexec_b32 s25, s11
	s_cbranch_execnz .LBB4_1319
	s_branch .LBB4_1320
.LBB4_1574:                             ;   in Loop: Header=BB4_1312 Depth=2
	s_mov_b32 s11, -1
	s_mov_b32 s27, exec_lo
                                        ; implicit-def: $sgpr25
	v_cmpx_eq_u16_e64 0x80, v149
; %bb.1575:                             ;   in Loop: Header=BB4_1312 Depth=2
	s_mov_b32 s25, 0x7f800001
	s_xor_b32 s11, exec_lo, -1
; %bb.1576:                             ;   in Loop: Header=BB4_1312 Depth=2
	s_or_b32 exec_lo, exec_lo, s27
	s_delay_alu instid0(SALU_CYCLE_1)
	s_and_b32 s11, s11, exec_lo
                                        ; implicit-def: $vgpr149
	s_or_saveexec_b32 s26, s26
	v_mov_b32_e32 v148, s25
	s_xor_b32 exec_lo, exec_lo, s26
	s_cbranch_execz .LBB4_1330
.LBB4_1577:                             ;   in Loop: Header=BB4_1312 Depth=2
	v_cmp_ne_u16_e64 vcc_lo, 0, v149
	v_mov_b32_e32 v148, 0
	s_and_not1_b32 s11, s11, exec_lo
	s_delay_alu instid0(VALU_DEP_2) | instskip(NEXT) | instid1(SALU_CYCLE_1)
	s_and_b32 s25, vcc_lo, exec_lo
	s_or_b32 s11, s11, s25
	s_or_b32 exec_lo, exec_lo, s26
	s_and_saveexec_b32 s25, s11
	s_cbranch_execnz .LBB4_1331
	s_branch .LBB4_1332
.LBB4_1578:                             ;   in Loop: Header=BB4_1312 Depth=2
	s_mov_b32 s11, -1
	s_mov_b32 s27, exec_lo
                                        ; implicit-def: $sgpr25
	v_cmpx_eq_u16_e64 0x80, v149
; %bb.1579:                             ;   in Loop: Header=BB4_1312 Depth=2
	s_mov_b32 s25, 0x7f800001
	s_xor_b32 s11, exec_lo, -1
; %bb.1580:                             ;   in Loop: Header=BB4_1312 Depth=2
	s_or_b32 exec_lo, exec_lo, s27
	s_delay_alu instid0(SALU_CYCLE_1)
	s_and_b32 s11, s11, exec_lo
                                        ; implicit-def: $vgpr149
	s_or_saveexec_b32 s26, s26
	v_mov_b32_e32 v147, s25
	s_xor_b32 exec_lo, exec_lo, s26
	s_cbranch_execz .LBB4_1334
.LBB4_1581:                             ;   in Loop: Header=BB4_1312 Depth=2
	v_cmp_ne_u16_e64 vcc_lo, 0, v149
	v_mov_b32_e32 v147, 0
	s_and_not1_b32 s11, s11, exec_lo
	s_delay_alu instid0(VALU_DEP_2) | instskip(NEXT) | instid1(SALU_CYCLE_1)
	s_and_b32 s25, vcc_lo, exec_lo
	s_or_b32 s11, s11, s25
	s_or_b32 exec_lo, exec_lo, s26
	s_and_saveexec_b32 s25, s11
	s_cbranch_execnz .LBB4_1335
	s_branch .LBB4_1336
.LBB4_1582:                             ;   in Loop: Header=BB4_1312 Depth=2
	s_mov_b32 s11, -1
	s_mov_b32 s27, exec_lo
                                        ; implicit-def: $sgpr25
	v_cmpx_eq_u16_e64 0x80, v148
; %bb.1583:                             ;   in Loop: Header=BB4_1312 Depth=2
	s_mov_b32 s25, 0x7f800001
	s_xor_b32 s11, exec_lo, -1
; %bb.1584:                             ;   in Loop: Header=BB4_1312 Depth=2
	s_or_b32 exec_lo, exec_lo, s27
	s_delay_alu instid0(SALU_CYCLE_1)
	s_and_b32 s11, s11, exec_lo
                                        ; implicit-def: $vgpr148
	s_or_saveexec_b32 s26, s26
	v_mov_b32_e32 v147, s25
	s_xor_b32 exec_lo, exec_lo, s26
	s_cbranch_execz .LBB4_1346
.LBB4_1585:                             ;   in Loop: Header=BB4_1312 Depth=2
	v_cmp_ne_u16_e64 vcc_lo, 0, v148
	v_mov_b32_e32 v147, 0
	s_and_not1_b32 s11, s11, exec_lo
	s_delay_alu instid0(VALU_DEP_2) | instskip(NEXT) | instid1(SALU_CYCLE_1)
	s_and_b32 s25, vcc_lo, exec_lo
	s_or_b32 s11, s11, s25
	s_or_b32 exec_lo, exec_lo, s26
	s_and_saveexec_b32 s25, s11
	s_cbranch_execnz .LBB4_1347
	s_branch .LBB4_1348
.LBB4_1586:                             ;   in Loop: Header=BB4_1312 Depth=2
	s_mov_b32 s11, -1
	s_mov_b32 s27, exec_lo
                                        ; implicit-def: $sgpr25
	v_cmpx_eq_u16_e64 0x80, v148
; %bb.1587:                             ;   in Loop: Header=BB4_1312 Depth=2
	s_mov_b32 s25, 0x7f800001
	s_xor_b32 s11, exec_lo, -1
; %bb.1588:                             ;   in Loop: Header=BB4_1312 Depth=2
	s_or_b32 exec_lo, exec_lo, s27
	s_delay_alu instid0(SALU_CYCLE_1)
	s_and_b32 s11, s11, exec_lo
                                        ; implicit-def: $vgpr148
	s_or_saveexec_b32 s26, s26
	v_mov_b32_e32 v146, s25
	s_xor_b32 exec_lo, exec_lo, s26
	s_cbranch_execz .LBB4_1350
.LBB4_1589:                             ;   in Loop: Header=BB4_1312 Depth=2
	v_cmp_ne_u16_e64 vcc_lo, 0, v148
	v_mov_b32_e32 v146, 0
	s_and_not1_b32 s11, s11, exec_lo
	s_delay_alu instid0(VALU_DEP_2) | instskip(NEXT) | instid1(SALU_CYCLE_1)
	s_and_b32 s25, vcc_lo, exec_lo
	s_or_b32 s11, s11, s25
	s_or_b32 exec_lo, exec_lo, s26
	s_and_saveexec_b32 s25, s11
	s_cbranch_execnz .LBB4_1351
	s_branch .LBB4_1352
.LBB4_1590:                             ;   in Loop: Header=BB4_1312 Depth=2
	s_mov_b32 s11, -1
	s_mov_b32 s27, exec_lo
                                        ; implicit-def: $sgpr25
	v_cmpx_eq_u16_e64 0x80, v147
; %bb.1591:                             ;   in Loop: Header=BB4_1312 Depth=2
	s_mov_b32 s25, 0x7f800001
	s_xor_b32 s11, exec_lo, -1
; %bb.1592:                             ;   in Loop: Header=BB4_1312 Depth=2
	s_or_b32 exec_lo, exec_lo, s27
	s_delay_alu instid0(SALU_CYCLE_1)
	s_and_b32 s11, s11, exec_lo
                                        ; implicit-def: $vgpr147
	s_or_saveexec_b32 s26, s26
	v_mov_b32_e32 v146, s25
	s_xor_b32 exec_lo, exec_lo, s26
	s_cbranch_execz .LBB4_1362
.LBB4_1593:                             ;   in Loop: Header=BB4_1312 Depth=2
	v_cmp_ne_u16_e64 vcc_lo, 0, v147
	v_mov_b32_e32 v146, 0
	s_and_not1_b32 s11, s11, exec_lo
	s_delay_alu instid0(VALU_DEP_2) | instskip(NEXT) | instid1(SALU_CYCLE_1)
	s_and_b32 s25, vcc_lo, exec_lo
	s_or_b32 s11, s11, s25
	s_or_b32 exec_lo, exec_lo, s26
	s_and_saveexec_b32 s25, s11
	s_cbranch_execnz .LBB4_1363
	s_branch .LBB4_1364
.LBB4_1594:                             ;   in Loop: Header=BB4_1312 Depth=2
	s_mov_b32 s11, -1
	s_mov_b32 s27, exec_lo
                                        ; implicit-def: $sgpr25
	v_cmpx_eq_u16_e64 0x80, v147
; %bb.1595:                             ;   in Loop: Header=BB4_1312 Depth=2
	s_mov_b32 s25, 0x7f800001
	s_xor_b32 s11, exec_lo, -1
; %bb.1596:                             ;   in Loop: Header=BB4_1312 Depth=2
	s_or_b32 exec_lo, exec_lo, s27
	s_delay_alu instid0(SALU_CYCLE_1)
	s_and_b32 s11, s11, exec_lo
                                        ; implicit-def: $vgpr147
	s_or_saveexec_b32 s26, s26
	v_mov_b32_e32 v145, s25
	s_xor_b32 exec_lo, exec_lo, s26
	s_cbranch_execz .LBB4_1366
.LBB4_1597:                             ;   in Loop: Header=BB4_1312 Depth=2
	v_cmp_ne_u16_e64 vcc_lo, 0, v147
	v_mov_b32_e32 v145, 0
	s_and_not1_b32 s11, s11, exec_lo
	s_delay_alu instid0(VALU_DEP_2) | instskip(NEXT) | instid1(SALU_CYCLE_1)
	s_and_b32 s25, vcc_lo, exec_lo
	s_or_b32 s11, s11, s25
	s_or_b32 exec_lo, exec_lo, s26
	s_and_saveexec_b32 s25, s11
	s_cbranch_execnz .LBB4_1367
	s_branch .LBB4_1368
.LBB4_1598:                             ;   in Loop: Header=BB4_1312 Depth=2
	s_mov_b32 s11, -1
	s_mov_b32 s27, exec_lo
                                        ; implicit-def: $sgpr25
	v_cmpx_eq_u16_e64 0x80, v146
; %bb.1599:                             ;   in Loop: Header=BB4_1312 Depth=2
	s_mov_b32 s25, 0x7f800001
	s_xor_b32 s11, exec_lo, -1
; %bb.1600:                             ;   in Loop: Header=BB4_1312 Depth=2
	s_or_b32 exec_lo, exec_lo, s27
	s_delay_alu instid0(SALU_CYCLE_1)
	s_and_b32 s11, s11, exec_lo
                                        ; implicit-def: $vgpr146
	s_or_saveexec_b32 s26, s26
	v_mov_b32_e32 v145, s25
	s_xor_b32 exec_lo, exec_lo, s26
	s_cbranch_execz .LBB4_1378
.LBB4_1601:                             ;   in Loop: Header=BB4_1312 Depth=2
	v_cmp_ne_u16_e64 vcc_lo, 0, v146
	v_mov_b32_e32 v145, 0
	s_and_not1_b32 s11, s11, exec_lo
	s_delay_alu instid0(VALU_DEP_2) | instskip(NEXT) | instid1(SALU_CYCLE_1)
	s_and_b32 s25, vcc_lo, exec_lo
	s_or_b32 s11, s11, s25
	s_or_b32 exec_lo, exec_lo, s26
	s_and_saveexec_b32 s25, s11
	s_cbranch_execnz .LBB4_1379
	s_branch .LBB4_1380
.LBB4_1602:                             ;   in Loop: Header=BB4_1312 Depth=2
	s_mov_b32 s11, -1
	s_mov_b32 s27, exec_lo
                                        ; implicit-def: $sgpr25
	v_cmpx_eq_u16_e64 0x80, v146
; %bb.1603:                             ;   in Loop: Header=BB4_1312 Depth=2
	s_mov_b32 s25, 0x7f800001
	s_xor_b32 s11, exec_lo, -1
; %bb.1604:                             ;   in Loop: Header=BB4_1312 Depth=2
	s_or_b32 exec_lo, exec_lo, s27
	s_delay_alu instid0(SALU_CYCLE_1)
	s_and_b32 s11, s11, exec_lo
                                        ; implicit-def: $vgpr146
	s_or_saveexec_b32 s26, s26
	v_mov_b32_e32 v144, s25
	s_xor_b32 exec_lo, exec_lo, s26
	s_cbranch_execz .LBB4_1382
.LBB4_1605:                             ;   in Loop: Header=BB4_1312 Depth=2
	v_cmp_ne_u16_e64 vcc_lo, 0, v146
	v_mov_b32_e32 v144, 0
	s_and_not1_b32 s11, s11, exec_lo
	s_delay_alu instid0(VALU_DEP_2) | instskip(NEXT) | instid1(SALU_CYCLE_1)
	s_and_b32 s25, vcc_lo, exec_lo
	s_or_b32 s11, s11, s25
	s_or_b32 exec_lo, exec_lo, s26
	s_and_saveexec_b32 s25, s11
	s_cbranch_execnz .LBB4_1383
	s_branch .LBB4_1384
.LBB4_1606:                             ;   in Loop: Header=BB4_1312 Depth=2
	s_mov_b32 s11, -1
	s_mov_b32 s27, exec_lo
                                        ; implicit-def: $sgpr25
	v_cmpx_eq_u16_e64 0x80, v145
; %bb.1607:                             ;   in Loop: Header=BB4_1312 Depth=2
	s_mov_b32 s25, 0x7f800001
	s_xor_b32 s11, exec_lo, -1
; %bb.1608:                             ;   in Loop: Header=BB4_1312 Depth=2
	s_or_b32 exec_lo, exec_lo, s27
	s_delay_alu instid0(SALU_CYCLE_1)
	s_and_b32 s11, s11, exec_lo
                                        ; implicit-def: $vgpr145
	s_or_saveexec_b32 s26, s26
	v_mov_b32_e32 v144, s25
	s_xor_b32 exec_lo, exec_lo, s26
	s_cbranch_execz .LBB4_1394
.LBB4_1609:                             ;   in Loop: Header=BB4_1312 Depth=2
	v_cmp_ne_u16_e64 vcc_lo, 0, v145
	v_mov_b32_e32 v144, 0
	s_and_not1_b32 s11, s11, exec_lo
	s_delay_alu instid0(VALU_DEP_2) | instskip(NEXT) | instid1(SALU_CYCLE_1)
	s_and_b32 s25, vcc_lo, exec_lo
	s_or_b32 s11, s11, s25
	s_or_b32 exec_lo, exec_lo, s26
	s_and_saveexec_b32 s25, s11
	s_cbranch_execnz .LBB4_1395
	s_branch .LBB4_1396
.LBB4_1610:                             ;   in Loop: Header=BB4_1312 Depth=2
	s_mov_b32 s11, -1
	s_mov_b32 s27, exec_lo
                                        ; implicit-def: $sgpr25
	v_cmpx_eq_u16_e64 0x80, v145
; %bb.1611:                             ;   in Loop: Header=BB4_1312 Depth=2
	s_mov_b32 s25, 0x7f800001
	s_xor_b32 s11, exec_lo, -1
; %bb.1612:                             ;   in Loop: Header=BB4_1312 Depth=2
	s_or_b32 exec_lo, exec_lo, s27
	s_delay_alu instid0(SALU_CYCLE_1)
	s_and_b32 s11, s11, exec_lo
                                        ; implicit-def: $vgpr145
	s_or_saveexec_b32 s26, s26
	v_mov_b32_e32 v135, s25
	s_xor_b32 exec_lo, exec_lo, s26
	s_cbranch_execz .LBB4_1398
.LBB4_1613:                             ;   in Loop: Header=BB4_1312 Depth=2
	v_cmp_ne_u16_e64 vcc_lo, 0, v145
	v_mov_b32_e32 v135, 0
	s_and_not1_b32 s11, s11, exec_lo
	s_delay_alu instid0(VALU_DEP_2) | instskip(NEXT) | instid1(SALU_CYCLE_1)
	s_and_b32 s25, vcc_lo, exec_lo
	s_or_b32 s11, s11, s25
	s_or_b32 exec_lo, exec_lo, s26
	s_and_saveexec_b32 s25, s11
	s_cbranch_execnz .LBB4_1399
	s_branch .LBB4_1400
.LBB4_1614:                             ;   in Loop: Header=BB4_1312 Depth=2
	s_mov_b32 s11, -1
	s_mov_b32 s27, exec_lo
                                        ; implicit-def: $sgpr25
	v_cmpx_eq_u16_e64 0x80, v144
; %bb.1615:                             ;   in Loop: Header=BB4_1312 Depth=2
	s_mov_b32 s25, 0x7f800001
	s_xor_b32 s11, exec_lo, -1
; %bb.1616:                             ;   in Loop: Header=BB4_1312 Depth=2
	s_or_b32 exec_lo, exec_lo, s27
	s_delay_alu instid0(SALU_CYCLE_1)
	s_and_b32 s11, s11, exec_lo
                                        ; implicit-def: $vgpr144
	s_or_saveexec_b32 s26, s26
	v_mov_b32_e32 v135, s25
	s_xor_b32 exec_lo, exec_lo, s26
	s_cbranch_execz .LBB4_1410
.LBB4_1617:                             ;   in Loop: Header=BB4_1312 Depth=2
	v_cmp_ne_u16_e64 vcc_lo, 0, v144
	v_mov_b32_e32 v135, 0
	s_and_not1_b32 s11, s11, exec_lo
	s_delay_alu instid0(VALU_DEP_2) | instskip(NEXT) | instid1(SALU_CYCLE_1)
	s_and_b32 s25, vcc_lo, exec_lo
	s_or_b32 s11, s11, s25
	s_or_b32 exec_lo, exec_lo, s26
	s_and_saveexec_b32 s25, s11
	s_cbranch_execnz .LBB4_1411
	s_branch .LBB4_1412
.LBB4_1618:                             ;   in Loop: Header=BB4_1312 Depth=2
	s_mov_b32 s11, -1
	s_mov_b32 s27, exec_lo
                                        ; implicit-def: $sgpr25
	v_cmpx_eq_u16_e64 0x80, v144
; %bb.1619:                             ;   in Loop: Header=BB4_1312 Depth=2
	s_mov_b32 s25, 0x7f800001
	s_xor_b32 s11, exec_lo, -1
; %bb.1620:                             ;   in Loop: Header=BB4_1312 Depth=2
	s_or_b32 exec_lo, exec_lo, s27
	s_delay_alu instid0(SALU_CYCLE_1)
	s_and_b32 s11, s11, exec_lo
                                        ; implicit-def: $vgpr144
	s_or_saveexec_b32 s26, s26
	v_mov_b32_e32 v134, s25
	s_xor_b32 exec_lo, exec_lo, s26
	s_cbranch_execz .LBB4_1414
.LBB4_1621:                             ;   in Loop: Header=BB4_1312 Depth=2
	v_cmp_ne_u16_e64 vcc_lo, 0, v144
	v_mov_b32_e32 v134, 0
	s_and_not1_b32 s11, s11, exec_lo
	s_delay_alu instid0(VALU_DEP_2) | instskip(NEXT) | instid1(SALU_CYCLE_1)
	s_and_b32 s25, vcc_lo, exec_lo
	s_or_b32 s11, s11, s25
	s_or_b32 exec_lo, exec_lo, s26
	s_and_saveexec_b32 s25, s11
	s_cbranch_execnz .LBB4_1415
	s_branch .LBB4_1416
.LBB4_1622:                             ;   in Loop: Header=BB4_1312 Depth=2
	s_mov_b32 s11, -1
	s_mov_b32 s27, exec_lo
                                        ; implicit-def: $sgpr25
	v_cmpx_eq_u16_e64 0x80, v135
; %bb.1623:                             ;   in Loop: Header=BB4_1312 Depth=2
	s_mov_b32 s25, 0x7f800001
	s_xor_b32 s11, exec_lo, -1
; %bb.1624:                             ;   in Loop: Header=BB4_1312 Depth=2
	s_or_b32 exec_lo, exec_lo, s27
	s_delay_alu instid0(SALU_CYCLE_1)
	s_and_b32 s11, s11, exec_lo
                                        ; implicit-def: $vgpr135
	s_or_saveexec_b32 s26, s26
	v_mov_b32_e32 v134, s25
	s_xor_b32 exec_lo, exec_lo, s26
	s_cbranch_execz .LBB4_1426
.LBB4_1625:                             ;   in Loop: Header=BB4_1312 Depth=2
	v_cmp_ne_u16_e64 vcc_lo, 0, v135
	v_mov_b32_e32 v134, 0
	s_and_not1_b32 s11, s11, exec_lo
	s_delay_alu instid0(VALU_DEP_2) | instskip(NEXT) | instid1(SALU_CYCLE_1)
	s_and_b32 s25, vcc_lo, exec_lo
	s_or_b32 s11, s11, s25
	s_or_b32 exec_lo, exec_lo, s26
	s_and_saveexec_b32 s25, s11
	s_cbranch_execnz .LBB4_1427
	s_branch .LBB4_1428
.LBB4_1626:                             ;   in Loop: Header=BB4_1312 Depth=2
	s_mov_b32 s11, -1
	s_mov_b32 s27, exec_lo
                                        ; implicit-def: $sgpr25
	v_cmpx_eq_u16_e64 0x80, v135
; %bb.1627:                             ;   in Loop: Header=BB4_1312 Depth=2
	s_mov_b32 s25, 0x7f800001
	s_xor_b32 s11, exec_lo, -1
; %bb.1628:                             ;   in Loop: Header=BB4_1312 Depth=2
	s_or_b32 exec_lo, exec_lo, s27
	s_delay_alu instid0(SALU_CYCLE_1)
	s_and_b32 s11, s11, exec_lo
                                        ; implicit-def: $vgpr135
	s_or_saveexec_b32 s26, s26
	v_mov_b32_e32 v133, s25
	s_xor_b32 exec_lo, exec_lo, s26
	s_cbranch_execz .LBB4_1430
.LBB4_1629:                             ;   in Loop: Header=BB4_1312 Depth=2
	v_cmp_ne_u16_e64 vcc_lo, 0, v135
	v_mov_b32_e32 v133, 0
	s_and_not1_b32 s11, s11, exec_lo
	s_delay_alu instid0(VALU_DEP_2) | instskip(NEXT) | instid1(SALU_CYCLE_1)
	s_and_b32 s25, vcc_lo, exec_lo
	s_or_b32 s11, s11, s25
	s_or_b32 exec_lo, exec_lo, s26
	s_and_saveexec_b32 s25, s11
	s_cbranch_execnz .LBB4_1431
	s_branch .LBB4_1432
.LBB4_1630:                             ;   in Loop: Header=BB4_1312 Depth=2
	s_mov_b32 s11, -1
	s_mov_b32 s27, exec_lo
                                        ; implicit-def: $sgpr25
	v_cmpx_eq_u16_e64 0x80, v134
; %bb.1631:                             ;   in Loop: Header=BB4_1312 Depth=2
	s_mov_b32 s25, 0x7f800001
	s_xor_b32 s11, exec_lo, -1
; %bb.1632:                             ;   in Loop: Header=BB4_1312 Depth=2
	s_or_b32 exec_lo, exec_lo, s27
	s_delay_alu instid0(SALU_CYCLE_1)
	s_and_b32 s11, s11, exec_lo
                                        ; implicit-def: $vgpr134
	s_or_saveexec_b32 s26, s26
	v_mov_b32_e32 v133, s25
	s_xor_b32 exec_lo, exec_lo, s26
	s_cbranch_execz .LBB4_1442
.LBB4_1633:                             ;   in Loop: Header=BB4_1312 Depth=2
	v_cmp_ne_u16_e64 vcc_lo, 0, v134
	v_mov_b32_e32 v133, 0
	s_and_not1_b32 s11, s11, exec_lo
	s_delay_alu instid0(VALU_DEP_2) | instskip(NEXT) | instid1(SALU_CYCLE_1)
	s_and_b32 s25, vcc_lo, exec_lo
	s_or_b32 s11, s11, s25
	s_or_b32 exec_lo, exec_lo, s26
	s_and_saveexec_b32 s25, s11
	s_cbranch_execnz .LBB4_1443
	s_branch .LBB4_1444
.LBB4_1634:                             ;   in Loop: Header=BB4_1312 Depth=2
	s_mov_b32 s11, -1
	s_mov_b32 s27, exec_lo
                                        ; implicit-def: $sgpr25
	v_cmpx_eq_u16_e64 0x80, v134
; %bb.1635:                             ;   in Loop: Header=BB4_1312 Depth=2
	s_mov_b32 s25, 0x7f800001
	s_xor_b32 s11, exec_lo, -1
; %bb.1636:                             ;   in Loop: Header=BB4_1312 Depth=2
	s_or_b32 exec_lo, exec_lo, s27
	s_delay_alu instid0(SALU_CYCLE_1)
	s_and_b32 s11, s11, exec_lo
                                        ; implicit-def: $vgpr134
	s_or_saveexec_b32 s26, s26
	v_mov_b32_e32 v131, s25
	s_xor_b32 exec_lo, exec_lo, s26
	s_cbranch_execz .LBB4_1446
.LBB4_1637:                             ;   in Loop: Header=BB4_1312 Depth=2
	v_cmp_ne_u16_e64 vcc_lo, 0, v134
	v_mov_b32_e32 v131, 0
	s_and_not1_b32 s11, s11, exec_lo
	s_delay_alu instid0(VALU_DEP_2) | instskip(NEXT) | instid1(SALU_CYCLE_1)
	s_and_b32 s25, vcc_lo, exec_lo
	s_or_b32 s11, s11, s25
	s_or_b32 exec_lo, exec_lo, s26
	s_and_saveexec_b32 s25, s11
	s_cbranch_execnz .LBB4_1447
	s_branch .LBB4_1448
.LBB4_1638:                             ;   in Loop: Header=BB4_1312 Depth=2
	s_mov_b32 s11, -1
	s_mov_b32 s27, exec_lo
                                        ; implicit-def: $sgpr25
	v_cmpx_eq_u16_e64 0x80, v133
; %bb.1639:                             ;   in Loop: Header=BB4_1312 Depth=2
	s_mov_b32 s25, 0x7f800001
	s_xor_b32 s11, exec_lo, -1
; %bb.1640:                             ;   in Loop: Header=BB4_1312 Depth=2
	s_or_b32 exec_lo, exec_lo, s27
	s_delay_alu instid0(SALU_CYCLE_1)
	s_and_b32 s11, s11, exec_lo
                                        ; implicit-def: $vgpr133
	s_or_saveexec_b32 s26, s26
	v_mov_b32_e32 v131, s25
	s_xor_b32 exec_lo, exec_lo, s26
	s_cbranch_execz .LBB4_1458
.LBB4_1641:                             ;   in Loop: Header=BB4_1312 Depth=2
	v_cmp_ne_u16_e64 vcc_lo, 0, v133
	v_mov_b32_e32 v131, 0
	s_and_not1_b32 s11, s11, exec_lo
	s_delay_alu instid0(VALU_DEP_2) | instskip(NEXT) | instid1(SALU_CYCLE_1)
	s_and_b32 s25, vcc_lo, exec_lo
	s_or_b32 s11, s11, s25
	s_or_b32 exec_lo, exec_lo, s26
	s_and_saveexec_b32 s25, s11
	s_cbranch_execnz .LBB4_1459
	s_branch .LBB4_1460
.LBB4_1642:                             ;   in Loop: Header=BB4_1312 Depth=2
	s_mov_b32 s11, -1
	s_mov_b32 s27, exec_lo
                                        ; implicit-def: $sgpr25
	v_cmpx_eq_u16_e64 0x80, v133
; %bb.1643:                             ;   in Loop: Header=BB4_1312 Depth=2
	s_mov_b32 s25, 0x7f800001
	s_xor_b32 s11, exec_lo, -1
; %bb.1644:                             ;   in Loop: Header=BB4_1312 Depth=2
	s_or_b32 exec_lo, exec_lo, s27
	s_delay_alu instid0(SALU_CYCLE_1)
	s_and_b32 s11, s11, exec_lo
                                        ; implicit-def: $vgpr133
	s_or_saveexec_b32 s26, s26
	v_mov_b32_e32 v128, s25
	s_xor_b32 exec_lo, exec_lo, s26
	s_cbranch_execz .LBB4_1462
.LBB4_1645:                             ;   in Loop: Header=BB4_1312 Depth=2
	v_cmp_ne_u16_e64 vcc_lo, 0, v133
	v_mov_b32_e32 v128, 0
	s_and_not1_b32 s11, s11, exec_lo
	s_delay_alu instid0(VALU_DEP_2) | instskip(NEXT) | instid1(SALU_CYCLE_1)
	s_and_b32 s25, vcc_lo, exec_lo
	s_or_b32 s11, s11, s25
	s_or_b32 exec_lo, exec_lo, s26
	s_and_saveexec_b32 s25, s11
	s_cbranch_execnz .LBB4_1463
	s_branch .LBB4_1464
.LBB4_1646:                             ;   in Loop: Header=BB4_1312 Depth=2
	s_mov_b32 s11, -1
	s_mov_b32 s27, exec_lo
                                        ; implicit-def: $sgpr25
	v_cmpx_eq_u16_e64 0x80, v131
; %bb.1647:                             ;   in Loop: Header=BB4_1312 Depth=2
	s_mov_b32 s25, 0x7f800001
	s_xor_b32 s11, exec_lo, -1
; %bb.1648:                             ;   in Loop: Header=BB4_1312 Depth=2
	s_or_b32 exec_lo, exec_lo, s27
	s_delay_alu instid0(SALU_CYCLE_1)
	s_and_b32 s11, s11, exec_lo
                                        ; implicit-def: $vgpr131
	s_or_saveexec_b32 s26, s26
	v_mov_b32_e32 v128, s25
	s_xor_b32 exec_lo, exec_lo, s26
	s_cbranch_execz .LBB4_1474
.LBB4_1649:                             ;   in Loop: Header=BB4_1312 Depth=2
	v_cmp_ne_u16_e64 vcc_lo, 0, v131
	v_mov_b32_e32 v128, 0
	s_and_not1_b32 s11, s11, exec_lo
	s_delay_alu instid0(VALU_DEP_2) | instskip(NEXT) | instid1(SALU_CYCLE_1)
	s_and_b32 s25, vcc_lo, exec_lo
	s_or_b32 s11, s11, s25
	s_or_b32 exec_lo, exec_lo, s26
	s_and_saveexec_b32 s25, s11
	s_cbranch_execnz .LBB4_1475
	s_branch .LBB4_1476
.LBB4_1650:                             ;   in Loop: Header=BB4_1312 Depth=2
	s_mov_b32 s11, -1
	s_mov_b32 s27, exec_lo
                                        ; implicit-def: $sgpr25
	v_cmpx_eq_u16_e64 0x80, v131
; %bb.1651:                             ;   in Loop: Header=BB4_1312 Depth=2
	s_mov_b32 s25, 0x7f800001
	s_xor_b32 s11, exec_lo, -1
; %bb.1652:                             ;   in Loop: Header=BB4_1312 Depth=2
	s_or_b32 exec_lo, exec_lo, s27
	s_delay_alu instid0(SALU_CYCLE_1)
	s_and_b32 s11, s11, exec_lo
                                        ; implicit-def: $vgpr131
	s_or_saveexec_b32 s26, s26
	v_mov_b32_e32 v117, s25
	s_xor_b32 exec_lo, exec_lo, s26
	s_cbranch_execz .LBB4_1478
.LBB4_1653:                             ;   in Loop: Header=BB4_1312 Depth=2
	v_cmp_ne_u16_e64 vcc_lo, 0, v131
	v_mov_b32_e32 v117, 0
	s_and_not1_b32 s11, s11, exec_lo
	s_delay_alu instid0(VALU_DEP_2) | instskip(NEXT) | instid1(SALU_CYCLE_1)
	s_and_b32 s25, vcc_lo, exec_lo
	s_or_b32 s11, s11, s25
	s_or_b32 exec_lo, exec_lo, s26
	s_and_saveexec_b32 s25, s11
	s_cbranch_execnz .LBB4_1479
	s_branch .LBB4_1480
.LBB4_1654:                             ;   in Loop: Header=BB4_1312 Depth=2
	s_mov_b32 s11, -1
	s_mov_b32 s27, exec_lo
                                        ; implicit-def: $sgpr25
	v_cmpx_eq_u16_e64 0x80, v128
; %bb.1655:                             ;   in Loop: Header=BB4_1312 Depth=2
	s_mov_b32 s25, 0x7f800001
	s_xor_b32 s11, exec_lo, -1
; %bb.1656:                             ;   in Loop: Header=BB4_1312 Depth=2
	s_or_b32 exec_lo, exec_lo, s27
	s_delay_alu instid0(SALU_CYCLE_1)
	s_and_b32 s11, s11, exec_lo
                                        ; implicit-def: $vgpr128
	s_or_saveexec_b32 s26, s26
	v_mov_b32_e32 v117, s25
	s_xor_b32 exec_lo, exec_lo, s26
	s_cbranch_execz .LBB4_1490
.LBB4_1657:                             ;   in Loop: Header=BB4_1312 Depth=2
	v_cmp_ne_u16_e64 vcc_lo, 0, v128
	v_mov_b32_e32 v117, 0
	s_and_not1_b32 s11, s11, exec_lo
	s_delay_alu instid0(VALU_DEP_2) | instskip(NEXT) | instid1(SALU_CYCLE_1)
	s_and_b32 s25, vcc_lo, exec_lo
	s_or_b32 s11, s11, s25
	s_or_b32 exec_lo, exec_lo, s26
	s_and_saveexec_b32 s25, s11
	s_cbranch_execnz .LBB4_1491
	s_branch .LBB4_1492
.LBB4_1658:                             ;   in Loop: Header=BB4_1312 Depth=2
	s_mov_b32 s11, -1
	s_mov_b32 s27, exec_lo
                                        ; implicit-def: $sgpr25
	v_cmpx_eq_u16_e64 0x80, v128
; %bb.1659:                             ;   in Loop: Header=BB4_1312 Depth=2
	s_mov_b32 s25, 0x7f800001
	s_xor_b32 s11, exec_lo, -1
; %bb.1660:                             ;   in Loop: Header=BB4_1312 Depth=2
	s_or_b32 exec_lo, exec_lo, s27
	s_delay_alu instid0(SALU_CYCLE_1)
	s_and_b32 s11, s11, exec_lo
                                        ; implicit-def: $vgpr128
	s_or_saveexec_b32 s26, s26
	v_mov_b32_e32 v114, s25
	s_xor_b32 exec_lo, exec_lo, s26
	s_cbranch_execz .LBB4_1494
.LBB4_1661:                             ;   in Loop: Header=BB4_1312 Depth=2
	v_cmp_ne_u16_e64 vcc_lo, 0, v128
	v_mov_b32_e32 v114, 0
	s_and_not1_b32 s11, s11, exec_lo
	s_delay_alu instid0(VALU_DEP_2) | instskip(NEXT) | instid1(SALU_CYCLE_1)
	s_and_b32 s25, vcc_lo, exec_lo
	s_or_b32 s11, s11, s25
	s_or_b32 exec_lo, exec_lo, s26
	s_and_saveexec_b32 s25, s11
	s_cbranch_execnz .LBB4_1495
	s_branch .LBB4_1496
.LBB4_1662:                             ;   in Loop: Header=BB4_1312 Depth=2
	s_mov_b32 s11, -1
	s_mov_b32 s27, exec_lo
                                        ; implicit-def: $sgpr25
	v_cmpx_eq_u16_e32 0x80, v117
; %bb.1663:                             ;   in Loop: Header=BB4_1312 Depth=2
	s_mov_b32 s25, 0x7f800001
	s_xor_b32 s11, exec_lo, -1
; %bb.1664:                             ;   in Loop: Header=BB4_1312 Depth=2
	s_or_b32 exec_lo, exec_lo, s27
	s_delay_alu instid0(SALU_CYCLE_1)
	s_and_b32 s11, s11, exec_lo
                                        ; implicit-def: $vgpr117
	s_or_saveexec_b32 s26, s26
	v_mov_b32_e32 v114, s25
	s_xor_b32 exec_lo, exec_lo, s26
	s_cbranch_execz .LBB4_1506
.LBB4_1665:                             ;   in Loop: Header=BB4_1312 Depth=2
	v_cmp_ne_u16_e32 vcc_lo, 0, v117
	v_mov_b32_e32 v114, 0
	s_and_not1_b32 s11, s11, exec_lo
	s_and_b32 s25, vcc_lo, exec_lo
	s_delay_alu instid0(SALU_CYCLE_1)
	s_or_b32 s11, s11, s25
	s_or_b32 exec_lo, exec_lo, s26
	s_and_saveexec_b32 s25, s11
	s_cbranch_execnz .LBB4_1507
	s_branch .LBB4_1508
.LBB4_1666:                             ;   in Loop: Header=BB4_1312 Depth=2
	s_mov_b32 s11, -1
	s_mov_b32 s27, exec_lo
                                        ; implicit-def: $sgpr25
	v_cmpx_eq_u16_e32 0x80, v117
; %bb.1667:                             ;   in Loop: Header=BB4_1312 Depth=2
	s_mov_b32 s25, 0x7f800001
	s_xor_b32 s11, exec_lo, -1
; %bb.1668:                             ;   in Loop: Header=BB4_1312 Depth=2
	s_or_b32 exec_lo, exec_lo, s27
	s_delay_alu instid0(SALU_CYCLE_1)
	s_and_b32 s11, s11, exec_lo
                                        ; implicit-def: $vgpr117
	s_or_saveexec_b32 s26, s26
	v_mov_b32_e32 v71, s25
	s_xor_b32 exec_lo, exec_lo, s26
	s_cbranch_execz .LBB4_1510
.LBB4_1669:                             ;   in Loop: Header=BB4_1312 Depth=2
	v_cmp_ne_u16_e32 vcc_lo, 0, v117
	v_mov_b32_e32 v71, 0
	s_and_not1_b32 s11, s11, exec_lo
	s_and_b32 s25, vcc_lo, exec_lo
	s_delay_alu instid0(SALU_CYCLE_1)
	s_or_b32 s11, s11, s25
	s_or_b32 exec_lo, exec_lo, s26
	s_and_saveexec_b32 s25, s11
	s_cbranch_execnz .LBB4_1511
	s_branch .LBB4_1512
.LBB4_1670:                             ;   in Loop: Header=BB4_1312 Depth=2
	s_mov_b32 s11, -1
	s_mov_b32 s27, exec_lo
                                        ; implicit-def: $sgpr25
	v_cmpx_eq_u16_e32 0x80, v114
; %bb.1671:                             ;   in Loop: Header=BB4_1312 Depth=2
	s_mov_b32 s25, 0x7f800001
	s_xor_b32 s11, exec_lo, -1
; %bb.1672:                             ;   in Loop: Header=BB4_1312 Depth=2
	s_or_b32 exec_lo, exec_lo, s27
	s_delay_alu instid0(SALU_CYCLE_1)
	s_and_b32 s11, s11, exec_lo
                                        ; implicit-def: $vgpr114
	s_or_saveexec_b32 s26, s26
	v_mov_b32_e32 v71, s25
	s_xor_b32 exec_lo, exec_lo, s26
	s_cbranch_execz .LBB4_1522
.LBB4_1673:                             ;   in Loop: Header=BB4_1312 Depth=2
	v_cmp_ne_u16_e32 vcc_lo, 0, v114
	v_mov_b32_e32 v71, 0
	s_and_not1_b32 s11, s11, exec_lo
	s_and_b32 s25, vcc_lo, exec_lo
	s_delay_alu instid0(SALU_CYCLE_1)
	s_or_b32 s11, s11, s25
	s_or_b32 exec_lo, exec_lo, s26
	s_and_saveexec_b32 s25, s11
	s_cbranch_execnz .LBB4_1523
	s_branch .LBB4_1524
.LBB4_1674:                             ;   in Loop: Header=BB4_1312 Depth=2
	s_mov_b32 s11, -1
	s_mov_b32 s27, exec_lo
                                        ; implicit-def: $sgpr25
	v_cmpx_eq_u16_e32 0x80, v114
; %bb.1675:                             ;   in Loop: Header=BB4_1312 Depth=2
	s_mov_b32 s25, 0x7f800001
	s_xor_b32 s11, exec_lo, -1
; %bb.1676:                             ;   in Loop: Header=BB4_1312 Depth=2
	s_or_b32 exec_lo, exec_lo, s27
	s_delay_alu instid0(SALU_CYCLE_1)
	s_and_b32 s11, s11, exec_lo
                                        ; implicit-def: $vgpr114
	s_or_saveexec_b32 s26, s26
	v_mov_b32_e32 v68, s25
	s_xor_b32 exec_lo, exec_lo, s26
	s_cbranch_execz .LBB4_1526
.LBB4_1677:                             ;   in Loop: Header=BB4_1312 Depth=2
	v_cmp_ne_u16_e32 vcc_lo, 0, v114
	v_mov_b32_e32 v68, 0
	s_and_not1_b32 s11, s11, exec_lo
	s_and_b32 s25, vcc_lo, exec_lo
	s_delay_alu instid0(SALU_CYCLE_1)
	s_or_b32 s11, s11, s25
	s_or_b32 exec_lo, exec_lo, s26
	s_and_saveexec_b32 s25, s11
	s_cbranch_execnz .LBB4_1527
	s_branch .LBB4_1528
.LBB4_1678:                             ;   in Loop: Header=BB4_1312 Depth=2
	s_mov_b32 s11, -1
	s_mov_b32 s27, exec_lo
                                        ; implicit-def: $sgpr25
	v_cmpx_eq_u16_e32 0x80, v71
; %bb.1679:                             ;   in Loop: Header=BB4_1312 Depth=2
	s_mov_b32 s25, 0x7f800001
	s_xor_b32 s11, exec_lo, -1
; %bb.1680:                             ;   in Loop: Header=BB4_1312 Depth=2
	s_or_b32 exec_lo, exec_lo, s27
	s_delay_alu instid0(SALU_CYCLE_1)
	s_and_b32 s11, s11, exec_lo
                                        ; implicit-def: $vgpr71
	s_or_saveexec_b32 s26, s26
	v_mov_b32_e32 v68, s25
	s_xor_b32 exec_lo, exec_lo, s26
	s_cbranch_execz .LBB4_1538
.LBB4_1681:                             ;   in Loop: Header=BB4_1312 Depth=2
	v_cmp_ne_u16_e32 vcc_lo, 0, v71
	v_mov_b32_e32 v68, 0
	s_and_not1_b32 s11, s11, exec_lo
	s_and_b32 s25, vcc_lo, exec_lo
	s_delay_alu instid0(SALU_CYCLE_1)
	s_or_b32 s11, s11, s25
	s_or_b32 exec_lo, exec_lo, s26
	s_and_saveexec_b32 s25, s11
	s_cbranch_execnz .LBB4_1539
	s_branch .LBB4_1540
.LBB4_1682:                             ;   in Loop: Header=BB4_1312 Depth=2
	s_mov_b32 s11, -1
	s_mov_b32 s27, exec_lo
                                        ; implicit-def: $sgpr25
	v_cmpx_eq_u16_e32 0x80, v71
; %bb.1683:                             ;   in Loop: Header=BB4_1312 Depth=2
	s_mov_b32 s25, 0x7f800001
	s_xor_b32 s11, exec_lo, -1
; %bb.1684:                             ;   in Loop: Header=BB4_1312 Depth=2
	s_or_b32 exec_lo, exec_lo, s27
	s_delay_alu instid0(SALU_CYCLE_1)
	s_and_b32 s11, s11, exec_lo
                                        ; implicit-def: $vgpr71
	s_or_saveexec_b32 s26, s26
	v_mov_b32_e32 v25, s25
	s_xor_b32 exec_lo, exec_lo, s26
	s_cbranch_execz .LBB4_1542
.LBB4_1685:                             ;   in Loop: Header=BB4_1312 Depth=2
	v_cmp_ne_u16_e32 vcc_lo, 0, v71
	v_mov_b32_e32 v25, 0
	s_and_not1_b32 s11, s11, exec_lo
	s_and_b32 s25, vcc_lo, exec_lo
	s_delay_alu instid0(SALU_CYCLE_1)
	s_or_b32 s11, s11, s25
	s_or_b32 exec_lo, exec_lo, s26
	s_and_saveexec_b32 s25, s11
	s_cbranch_execnz .LBB4_1543
	s_branch .LBB4_1544
.LBB4_1686:                             ;   in Loop: Header=BB4_1312 Depth=2
	s_mov_b32 s11, -1
	s_mov_b32 s27, exec_lo
                                        ; implicit-def: $sgpr25
	v_cmpx_eq_u16_e32 0x80, v68
; %bb.1687:                             ;   in Loop: Header=BB4_1312 Depth=2
	s_mov_b32 s25, 0x7f800001
	s_xor_b32 s11, exec_lo, -1
; %bb.1688:                             ;   in Loop: Header=BB4_1312 Depth=2
	s_or_b32 exec_lo, exec_lo, s27
	s_delay_alu instid0(SALU_CYCLE_1)
	s_and_b32 s11, s11, exec_lo
                                        ; implicit-def: $vgpr68
	s_or_saveexec_b32 s26, s26
	v_mov_b32_e32 v25, s25
	s_xor_b32 exec_lo, exec_lo, s26
	s_cbranch_execz .LBB4_1554
.LBB4_1689:                             ;   in Loop: Header=BB4_1312 Depth=2
	v_cmp_ne_u16_e32 vcc_lo, 0, v68
	v_mov_b32_e32 v25, 0
	s_and_not1_b32 s11, s11, exec_lo
	s_and_b32 s25, vcc_lo, exec_lo
	s_delay_alu instid0(SALU_CYCLE_1)
	s_or_b32 s11, s11, s25
	s_or_b32 exec_lo, exec_lo, s26
	s_and_saveexec_b32 s25, s11
	s_cbranch_execnz .LBB4_1555
	s_branch .LBB4_1556
.LBB4_1690:                             ;   in Loop: Header=BB4_1312 Depth=2
	s_mov_b32 s11, -1
	s_mov_b32 s27, exec_lo
                                        ; implicit-def: $sgpr25
	v_cmpx_eq_u16_e32 0x80, v68
; %bb.1691:                             ;   in Loop: Header=BB4_1312 Depth=2
	s_mov_b32 s25, 0x7f800001
	s_xor_b32 s11, exec_lo, -1
; %bb.1692:                             ;   in Loop: Header=BB4_1312 Depth=2
	s_or_b32 exec_lo, exec_lo, s27
	s_delay_alu instid0(SALU_CYCLE_1)
	s_and_b32 s11, s11, exec_lo
                                        ; implicit-def: $vgpr68
	s_or_saveexec_b32 s26, s26
	v_mov_b32_e32 v22, s25
	s_xor_b32 exec_lo, exec_lo, s26
	s_cbranch_execz .LBB4_1558
.LBB4_1693:                             ;   in Loop: Header=BB4_1312 Depth=2
	v_cmp_ne_u16_e32 vcc_lo, 0, v68
	v_mov_b32_e32 v22, 0
	s_and_not1_b32 s11, s11, exec_lo
	s_and_b32 s25, vcc_lo, exec_lo
	s_delay_alu instid0(SALU_CYCLE_1)
	s_or_b32 s11, s11, s25
	s_or_b32 exec_lo, exec_lo, s26
	s_and_saveexec_b32 s25, s11
	s_cbranch_execnz .LBB4_1559
	s_branch .LBB4_1560
.LBB4_1694:                             ;   in Loop: Header=BB4_53 Depth=1
	s_or_b32 exec_lo, exec_lo, s24
.LBB4_1695:                             ;   in Loop: Header=BB4_53 Depth=1
	s_delay_alu instid0(SALU_CYCLE_1) | instskip(SKIP_1) | instid1(VALU_DEP_1)
	s_or_b32 exec_lo, exec_lo, s23
	v_lshlrev_b32_e32 v10, 9, v20
	v_cmp_ne_u32_e32 vcc_lo, v17, v10
	s_and_b32 exec_lo, exec_lo, vcc_lo
	s_cbranch_execz .LBB4_1724
; %bb.1696:                             ;   in Loop: Header=BB4_53 Depth=1
	v_ashrrev_i32_e32 v11, 31, v18
	v_lshlrev_b32_e32 v12, 5, v19
	s_delay_alu instid0(VALU_DEP_2) | instskip(NEXT) | instid1(VALU_DEP_1)
	v_lshrrev_b32_e32 v11, 27, v11
	v_add_nc_u32_e32 v11, v18, v11
	s_delay_alu instid0(VALU_DEP_1) | instskip(NEXT) | instid1(VALU_DEP_1)
	v_and_b32_e32 v11, 0xffffffe0, v11
	v_sub_nc_u32_e32 v11, v18, v11
	s_delay_alu instid0(VALU_DEP_1) | instskip(NEXT) | instid1(VALU_DEP_1)
	v_sub_nc_u32_e32 v11, v11, v12
	v_add_nc_u32_e32 v10, v10, v11
	s_delay_alu instid0(VALU_DEP_1) | instskip(NEXT) | instid1(VALU_DEP_1)
	v_sub_nc_u32_e32 v17, v17, v10
	v_cmp_lt_i32_e32 vcc_lo, 0, v17
	s_and_b32 exec_lo, exec_lo, vcc_lo
	s_cbranch_execz .LBB4_1724
; %bb.1697:                             ;   in Loop: Header=BB4_53 Depth=1
	s_cbranch_execnz .LBB4_4019
; %bb.1698:                             ;   in Loop: Header=BB4_53 Depth=1
	ds_load_b128 v[11:14], v0
	ds_load_b64 v[18:19], v0
	v_add_nc_u32_e32 v15, v10, v16
	s_mov_b32 s23, 0
	s_delay_alu instid0(VALU_DEP_1) | instskip(SKIP_2) | instid1(VALU_DEP_2)
	v_ashrrev_i32_e32 v16, 31, v15
	s_waitcnt lgkmcnt(1)
	v_add_co_u32 v10, vcc_lo, v11, v15
	v_add_co_ci_u32_e32 v11, vcc_lo, v12, v16, vcc_lo
	v_add_co_u32 v12, vcc_lo, v13, v15
	v_add_co_ci_u32_e32 v13, vcc_lo, v14, v16, vcc_lo
	s_waitcnt lgkmcnt(0)
	v_add_co_u32 v14, vcc_lo, v18, v15
	v_add_co_ci_u32_e32 v15, vcc_lo, v19, v16, vcc_lo
	s_branch .LBB4_1702
.LBB4_1699:                             ;   in Loop: Header=BB4_1702 Depth=2
	s_or_b32 exec_lo, exec_lo, s11
	s_delay_alu instid0(VALU_DEP_1) | instskip(NEXT) | instid1(VALU_DEP_2)
	v_lshrrev_b32_e32 v19, 21, v19
	v_cmp_gt_i32_e32 vcc_lo, 32, v18
	v_lshrrev_b32_e32 v16, 24, v16
	v_min_i32_e32 v20, 31, v18
	s_delay_alu instid0(VALU_DEP_2) | instskip(NEXT) | instid1(VALU_DEP_2)
	v_dual_cndmask_b32 v19, 3, v19 :: v_dual_and_b32 v16, 0x80, v16
	v_lshlrev_b32_e32 v20, 2, v20
	s_delay_alu instid0(VALU_DEP_2) | instskip(NEXT) | instid1(VALU_DEP_1)
	v_or_b32_e32 v18, v18, v19
	v_cmp_ne_u32_e32 vcc_lo, 0, v18
	v_and_b32_e32 v21, 3, v19
	s_delay_alu instid0(VALU_DEP_1) | instskip(NEXT) | instid1(VALU_DEP_1)
	v_or3_b32 v16, v20, v16, v21
	v_cndmask_b32_e32 v18, 0, v16, vcc_lo
.LBB4_1700:                             ;   in Loop: Header=BB4_1702 Depth=2
	s_or_b32 exec_lo, exec_lo, s25
.LBB4_1701:                             ;   in Loop: Header=BB4_1702 Depth=2
	s_delay_alu instid0(SALU_CYCLE_1)
	s_or_b32 exec_lo, exec_lo, s24
	v_add_co_u32 v10, vcc_lo, v10, v99
	v_sub_nc_u32_e32 v17, v17, v99
	v_add_co_ci_u32_e32 v11, vcc_lo, v11, v102, vcc_lo
	v_add_co_u32 v12, vcc_lo, v12, v99
	v_add_co_ci_u32_e32 v13, vcc_lo, v13, v102, vcc_lo
	flat_store_b8 v[14:15], v18 glc slc dlc
	v_cmp_gt_i32_e32 vcc_lo, 1, v17
	v_add_co_u32 v14, s11, v14, v99
	s_delay_alu instid0(VALU_DEP_1) | instskip(SKIP_1) | instid1(SALU_CYCLE_1)
	v_add_co_ci_u32_e64 v15, s11, v15, v102, s11
	s_or_b32 s23, vcc_lo, s23
	s_and_not1_b32 exec_lo, exec_lo, s23
	s_cbranch_execz .LBB4_1724
.LBB4_1702:                             ;   Parent Loop BB4_53 Depth=1
                                        ; =>  This Inner Loop Header: Depth=2
	flat_load_u8 v19, v[10:11] slc dlc
	flat_load_u8 v16, v[12:13] slc dlc
	s_mov_b32 s11, 0
	s_mov_b32 s25, exec_lo
                                        ; implicit-def: $sgpr24
	s_waitcnt vmcnt(1) lgkmcnt(1)
	v_cmpx_lt_i16_e32 0x7f, v19
	s_xor_b32 s25, exec_lo, s25
	s_cbranch_execnz .LBB4_1716
; %bb.1703:                             ;   in Loop: Header=BB4_1702 Depth=2
	s_or_saveexec_b32 s25, s25
	v_mov_b32_e32 v18, s24
	s_xor_b32 exec_lo, exec_lo, s25
	s_cbranch_execnz .LBB4_1719
.LBB4_1704:                             ;   in Loop: Header=BB4_1702 Depth=2
	s_or_b32 exec_lo, exec_lo, s25
	s_and_saveexec_b32 s24, s11
	s_cbranch_execz .LBB4_1706
.LBB4_1705:                             ;   in Loop: Header=BB4_1702 Depth=2
	v_and_b32_e32 v18, 0xffff, v19
	s_delay_alu instid0(VALU_DEP_1) | instskip(NEXT) | instid1(VALU_DEP_1)
	v_and_b32_e32 v20, 3, v18
	v_clz_i32_u32_e32 v21, v20
	s_delay_alu instid0(VALU_DEP_1) | instskip(NEXT) | instid1(VALU_DEP_1)
	v_min_u32_e32 v21, 32, v21
	v_subrev_nc_u32_e32 v22, 29, v21
	v_sub_nc_u32_e32 v21, 30, v21
	s_delay_alu instid0(VALU_DEP_2) | instskip(SKIP_1) | instid1(VALU_DEP_2)
	v_lshlrev_b32_e32 v22, v22, v18
	v_bfe_u32 v18, v18, 2, 5
	v_and_b32_e32 v22, 3, v22
	s_delay_alu instid0(VALU_DEP_2) | instskip(SKIP_1) | instid1(VALU_DEP_1)
	v_cmp_eq_u32_e32 vcc_lo, 0, v18
	v_dual_cndmask_b32 v18, v18, v21 :: v_dual_lshlrev_b32 v19, 24, v19
	v_dual_cndmask_b32 v20, v20, v22 :: v_dual_and_b32 v19, 0x80000000, v19
	s_delay_alu instid0(VALU_DEP_2) | instskip(NEXT) | instid1(VALU_DEP_2)
	v_lshl_add_u32 v18, v18, 23, 0x37800000
	v_lshlrev_b32_e32 v20, 21, v20
	s_delay_alu instid0(VALU_DEP_1)
	v_or3_b32 v18, v19, v18, v20
.LBB4_1706:                             ;   in Loop: Header=BB4_1702 Depth=2
	s_or_b32 exec_lo, exec_lo, s24
	s_waitcnt vmcnt(0) lgkmcnt(0)
	v_and_b32_e32 v20, 0xff, v16
	s_mov_b32 s11, 0
	s_mov_b32 s25, exec_lo
                                        ; implicit-def: $sgpr24
	s_delay_alu instid0(VALU_DEP_1)
	v_cmpx_lt_i16_e32 0x7f, v20
	s_xor_b32 s25, exec_lo, s25
	s_cbranch_execnz .LBB4_1720
; %bb.1707:                             ;   in Loop: Header=BB4_1702 Depth=2
	s_or_saveexec_b32 s25, s25
	v_mov_b32_e32 v19, s24
	s_xor_b32 exec_lo, exec_lo, s25
	s_cbranch_execnz .LBB4_1723
.LBB4_1708:                             ;   in Loop: Header=BB4_1702 Depth=2
	s_or_b32 exec_lo, exec_lo, s25
	s_and_saveexec_b32 s24, s11
	s_cbranch_execz .LBB4_1710
.LBB4_1709:                             ;   in Loop: Header=BB4_1702 Depth=2
	v_and_b32_e32 v19, 3, v16
	v_lshrrev_b16 v22, 2, v16
	s_delay_alu instid0(VALU_DEP_2) | instskip(NEXT) | instid1(VALU_DEP_1)
	v_clz_i32_u32_e32 v20, v19
	v_min_u32_e32 v20, 32, v20
	s_delay_alu instid0(VALU_DEP_1) | instskip(SKIP_1) | instid1(VALU_DEP_2)
	v_subrev_nc_u32_e32 v21, 29, v20
	v_sub_nc_u32_e32 v20, 30, v20
	v_lshlrev_b32_e32 v21, v21, v16
	v_lshlrev_b32_e32 v16, 24, v16
	s_delay_alu instid0(VALU_DEP_2) | instskip(SKIP_1) | instid1(VALU_DEP_3)
	v_and_b32_e32 v21, 3, v21
	v_and_b32_e32 v22, 31, v22
	;; [unrolled: 1-line block ×3, first 2 shown]
	s_delay_alu instid0(VALU_DEP_2) | instskip(NEXT) | instid1(VALU_DEP_4)
	v_cmp_eq_u32_e32 vcc_lo, 0, v22
	v_dual_cndmask_b32 v19, v19, v21 :: v_dual_cndmask_b32 v20, v22, v20
	s_delay_alu instid0(VALU_DEP_1) | instskip(NEXT) | instid1(VALU_DEP_2)
	v_lshlrev_b32_e32 v19, 21, v19
	v_lshl_add_u32 v20, v20, 23, 0x37800000
	s_delay_alu instid0(VALU_DEP_1)
	v_or3_b32 v19, v16, v20, v19
.LBB4_1710:                             ;   in Loop: Header=BB4_1702 Depth=2
	s_or_b32 exec_lo, exec_lo, s24
	s_delay_alu instid0(VALU_DEP_1) | instskip(NEXT) | instid1(VALU_DEP_1)
	v_mul_f32_e32 v16, v18, v19
	v_and_b32_e32 v18, 0x7f800000, v16
	s_delay_alu instid0(VALU_DEP_1)
	v_cmp_ne_u32_e32 vcc_lo, 0x7f800000, v18
	v_mov_b32_e32 v18, 0x80
	s_and_saveexec_b32 s24, vcc_lo
	s_cbranch_execz .LBB4_1701
; %bb.1711:                             ;   in Loop: Header=BB4_1702 Depth=2
	v_mov_b32_e32 v18, 0
	s_mov_b32 s25, exec_lo
	v_cmpx_ne_u32_e32 0, v16
	s_cbranch_execz .LBB4_1700
; %bb.1712:                             ;   in Loop: Header=BB4_1702 Depth=2
	v_bfe_u32 v18, v16, 23, 8
	v_and_b32_e32 v19, 0x7fffff, v16
	s_delay_alu instid0(VALU_DEP_2) | instskip(SKIP_1) | instid1(VALU_DEP_3)
	v_sub_nc_u32_e32 v20, 0x70, v18
	v_cmp_gt_u32_e32 vcc_lo, 0x71, v18
	v_or_b32_e32 v21, 0x800000, v19
	s_delay_alu instid0(VALU_DEP_3) | instskip(SKIP_1) | instid1(VALU_DEP_3)
	v_cndmask_b32_e32 v20, 0, v20, vcc_lo
	v_cmp_eq_u32_e32 vcc_lo, 0, v18
	v_dual_cndmask_b32 v19, v21, v19 :: v_dual_add_nc_u32 v18, 0xffffff91, v18
	s_delay_alu instid0(VALU_DEP_3) | instskip(NEXT) | instid1(VALU_DEP_2)
	v_cndmask_b32_e64 v20, v20, 0x6f, vcc_lo
	v_cndmask_b32_e64 v18, v18, 0xffffff92, vcc_lo
	s_delay_alu instid0(VALU_DEP_2) | instskip(SKIP_2) | instid1(VALU_DEP_4)
	v_lshrrev_b32_e32 v22, v20, v19
	v_lshl_add_u32 v21, 0x200000, v20, -1
	v_lshlrev_b32_e64 v24, v20, 0x100000
	v_add_nc_u32_e32 v20, v20, v18
	s_delay_alu instid0(VALU_DEP_4) | instskip(NEXT) | instid1(VALU_DEP_4)
	v_bfe_u32 v23, v22, 21, 1
	v_and_b32_e32 v19, v21, v19
	s_delay_alu instid0(VALU_DEP_2) | instskip(NEXT) | instid1(VALU_DEP_2)
	v_add_nc_u32_e32 v21, -1, v23
	v_cmp_eq_u32_e64 s11, v19, v24
	s_delay_alu instid0(VALU_DEP_1) | instskip(SKIP_2) | instid1(VALU_DEP_2)
	v_cndmask_b32_e64 v19, 0, v21, s11
	v_lshrrev_b32_e32 v21, 23, v22
	s_mov_b32 s11, exec_lo
	v_add_nc_u32_e32 v19, v19, v22
	s_delay_alu instid0(VALU_DEP_2) | instskip(NEXT) | instid1(VALU_DEP_2)
	v_xor_b32_e32 v21, 1, v21
	v_and_b32_e32 v18, 0x1fffff, v19
	s_delay_alu instid0(VALU_DEP_1) | instskip(NEXT) | instid1(VALU_DEP_3)
	v_add_nc_u32_e32 v19, v18, v22
                                        ; implicit-def: $vgpr18
	v_cmpx_ne_u32_e64 v20, v21
	s_xor_b32 s11, exec_lo, s11
; %bb.1713:                             ;   in Loop: Header=BB4_1702 Depth=2
	s_delay_alu instid0(VALU_DEP_2) | instskip(SKIP_2) | instid1(VALU_DEP_2)
	v_cmp_lt_u32_e32 vcc_lo, 0xffffff, v19
	v_sub_nc_u32_e32 v18, v20, v21
	v_cndmask_b32_e64 v20, 0, 1, vcc_lo
	v_add_co_ci_u32_e32 v18, vcc_lo, 0, v18, vcc_lo
	s_delay_alu instid0(VALU_DEP_2)
	v_lshrrev_b32_e32 v19, v20, v19
; %bb.1714:                             ;   in Loop: Header=BB4_1702 Depth=2
	s_and_not1_saveexec_b32 s11, s11
	s_cbranch_execz .LBB4_1699
; %bb.1715:                             ;   in Loop: Header=BB4_1702 Depth=2
	s_delay_alu instid0(VALU_DEP_1)
	v_bfe_u32 v18, v19, 23, 1
	s_branch .LBB4_1699
.LBB4_1716:                             ;   in Loop: Header=BB4_1702 Depth=2
	s_mov_b32 s11, -1
	s_mov_b32 s26, exec_lo
                                        ; implicit-def: $sgpr24
	v_cmpx_eq_u16_e32 0x80, v19
; %bb.1717:                             ;   in Loop: Header=BB4_1702 Depth=2
	s_mov_b32 s24, 0x7f800001
	s_xor_b32 s11, exec_lo, -1
; %bb.1718:                             ;   in Loop: Header=BB4_1702 Depth=2
	s_or_b32 exec_lo, exec_lo, s26
	s_delay_alu instid0(SALU_CYCLE_1)
	s_and_b32 s11, s11, exec_lo
	s_or_saveexec_b32 s25, s25
	v_mov_b32_e32 v18, s24
	s_xor_b32 exec_lo, exec_lo, s25
	s_cbranch_execz .LBB4_1704
.LBB4_1719:                             ;   in Loop: Header=BB4_1702 Depth=2
	v_cmp_ne_u16_e32 vcc_lo, 0, v19
	v_mov_b32_e32 v18, 0
	s_and_not1_b32 s11, s11, exec_lo
	s_and_b32 s24, vcc_lo, exec_lo
	s_delay_alu instid0(SALU_CYCLE_1)
	s_or_b32 s11, s11, s24
	s_or_b32 exec_lo, exec_lo, s25
	s_and_saveexec_b32 s24, s11
	s_cbranch_execnz .LBB4_1705
	s_branch .LBB4_1706
.LBB4_1720:                             ;   in Loop: Header=BB4_1702 Depth=2
	s_mov_b32 s11, -1
	s_mov_b32 s26, exec_lo
                                        ; implicit-def: $sgpr24
	v_cmpx_eq_u16_e32 0x80, v20
; %bb.1721:                             ;   in Loop: Header=BB4_1702 Depth=2
	s_mov_b32 s24, 0x7f800001
	s_xor_b32 s11, exec_lo, -1
; %bb.1722:                             ;   in Loop: Header=BB4_1702 Depth=2
	s_or_b32 exec_lo, exec_lo, s26
	s_delay_alu instid0(SALU_CYCLE_1)
	s_and_b32 s11, s11, exec_lo
                                        ; implicit-def: $vgpr20
	s_or_saveexec_b32 s25, s25
	v_mov_b32_e32 v19, s24
	s_xor_b32 exec_lo, exec_lo, s25
	s_cbranch_execz .LBB4_1708
.LBB4_1723:                             ;   in Loop: Header=BB4_1702 Depth=2
	v_cmp_ne_u16_e32 vcc_lo, 0, v20
	v_mov_b32_e32 v19, 0
	s_and_not1_b32 s11, s11, exec_lo
	s_and_b32 s24, vcc_lo, exec_lo
	s_delay_alu instid0(SALU_CYCLE_1)
	s_or_b32 s11, s11, s24
	s_or_b32 exec_lo, exec_lo, s25
	s_and_saveexec_b32 s24, s11
	s_cbranch_execnz .LBB4_1709
	s_branch .LBB4_1710
.LBB4_1724:                             ;   in Loop: Header=BB4_53 Depth=1
	s_or_b32 exec_lo, exec_lo, s12
	v_cmp_ne_u32_e64 s11, 0, v52
.LBB4_1725:                             ;   in Loop: Header=BB4_53 Depth=1
	s_and_saveexec_b32 s12, s3
	s_cbranch_execz .LBB4_1747
; %bb.1726:                             ;   in Loop: Header=BB4_53 Depth=1
	s_and_saveexec_b32 s23, s4
	s_delay_alu instid0(SALU_CYCLE_1)
	s_xor_b32 s23, exec_lo, s23
	s_cbranch_execz .LBB4_1744
; %bb.1727:                             ;   in Loop: Header=BB4_53 Depth=1
	s_and_saveexec_b32 s24, s5
	s_cbranch_execz .LBB4_1743
; %bb.1728:                             ;   in Loop: Header=BB4_53 Depth=1
	s_mov_b32 s26, exec_lo
	s_mov_b32 s25, exec_lo
	v_mbcnt_lo_u32_b32 v10, s26, 0
	s_waitcnt lgkmcnt(0)
	s_waitcnt_vscnt null, 0x0
	buffer_gl1_inv
	buffer_gl0_inv
	v_cmpx_eq_u32_e32 0, v10
	s_cbranch_execz .LBB4_1730
; %bb.1729:                             ;   in Loop: Header=BB4_53 Depth=1
	s_bcnt1_i32_b32 s26, s26
	s_delay_alu instid0(SALU_CYCLE_1)
	v_mov_b32_e32 v52, s26
	ds_add_u64 v0, v[52:53]
	s_cbranch_execnz .LBB4_4009
.LBB4_1730:                             ;   in Loop: Header=BB4_53 Depth=1
	s_or_b32 exec_lo, exec_lo, s25
	s_cbranch_execnz .LBB4_3985
; %bb.1731:                             ;   in Loop: Header=BB4_53 Depth=1
	ds_load_b64 v[10:11], v0
	v_add_co_u32 v38, vcc_lo, v38, v83
	v_add_co_ci_u32_e32 v39, vcc_lo, 0, v39, vcc_lo
	s_mov_b32 s25, exec_lo
	s_waitcnt lgkmcnt(0)
	s_delay_alu instid0(VALU_DEP_1)
	v_cmpx_lt_u64_e64 v[10:11], v[38:39]
	s_cbranch_execz .LBB4_1742
; %bb.1732:                             ;   in Loop: Header=BB4_53 Depth=1
	s_mov_b32 s26, 0
	s_mov_b32 s29, 0
                                        ; implicit-def: $sgpr27
                                        ; implicit-def: $sgpr28
	s_branch .LBB4_1734
.LBB4_1733:                             ;   in Loop: Header=BB4_1734 Depth=2
	s_or_b32 exec_lo, exec_lo, s30
	s_delay_alu instid0(SALU_CYCLE_1) | instskip(NEXT) | instid1(SALU_CYCLE_1)
	s_and_b32 vcc_lo, exec_lo, vcc_lo
	s_or_b32 s26, vcc_lo, s26
	s_and_not1_b32 s27, s27, exec_lo
	s_and_b32 vcc_lo, s28, exec_lo
	s_delay_alu instid0(SALU_CYCLE_1)
	s_or_b32 s27, s27, vcc_lo
	s_and_not1_b32 exec_lo, exec_lo, s26
	s_cbranch_execz .LBB4_1740
.LBB4_1734:                             ;   Parent Loop BB4_53 Depth=1
                                        ; =>  This Inner Loop Header: Depth=2
	s_add_i32 s29, s29, 1
                                        ; implicit-def: $sgpr30
	s_delay_alu instid0(SALU_CYCLE_1) | instskip(SKIP_1) | instid1(SALU_CYCLE_1)
	s_cmpk_lg_i32 s29, 0x2710
	s_cselect_b32 vcc_hi, -1, 0
	s_and_b32 vcc_lo, exec_lo, vcc_hi
	s_cbranch_vccz .LBB4_1738
.LBB4_1735:                             ;   in Loop: Header=BB4_1734 Depth=2
	s_and_not1_b32 s28, s28, exec_lo
	s_and_b32 s30, s30, exec_lo
	s_mov_b32 vcc_lo, -1
	s_or_b32 s28, s28, s30
	s_and_saveexec_b32 s30, vcc_hi
	s_cbranch_execz .LBB4_1733
; %bb.1736:                             ;   in Loop: Header=BB4_1734 Depth=2
	s_sleep 1
	s_cbranch_execnz .LBB4_4029
; %bb.1737:                             ;   in Loop: Header=BB4_1734 Depth=2
	ds_load_b64 v[10:11], v0
	s_and_not1_b32 s28, s28, exec_lo
	s_waitcnt lgkmcnt(0)
	v_cmp_ge_u64_e32 vcc_lo, v[10:11], v[38:39]
	s_or_not1_b32 vcc_lo, vcc_lo, exec_lo
	s_branch .LBB4_1733
.LBB4_1738:                             ;   in Loop: Header=BB4_1734 Depth=2
	s_cbranch_execnz .LBB4_4035
; %bb.1739:                             ;   in Loop: Header=BB4_1734 Depth=2
	ds_load_b64 v[10:11], v0
	s_mov_b32 s29, 0
	s_mov_b32 s30, -1
	s_waitcnt lgkmcnt(0)
	flat_load_b32 v10, v[10:11] glc
	s_waitcnt vmcnt(0) lgkmcnt(0)
	buffer_gl1_inv
	buffer_gl0_inv
	v_cmp_eq_u32_e32 vcc_lo, 0, v10
	s_and_not1_b32 vcc_hi, vcc_hi, exec_lo
	s_and_b32 vcc_lo, vcc_lo, exec_lo
	s_delay_alu instid0(SALU_CYCLE_1)
	s_or_b32 vcc_hi, vcc_hi, vcc_lo
	s_branch .LBB4_1735
.LBB4_1740:                             ;   in Loop: Header=BB4_53 Depth=1
	s_or_b32 exec_lo, exec_lo, s26
	s_and_saveexec_b32 s26, s27
	s_delay_alu instid0(SALU_CYCLE_1)
	s_xor_b32 s26, exec_lo, s26
	s_cbranch_execz .LBB4_1742
; %bb.1741:                             ;   in Loop: Header=BB4_53 Depth=1
	ds_store_b32 v0, v103
	s_cbranch_execnz .LBB4_4059
.LBB4_1742:                             ;   in Loop: Header=BB4_53 Depth=1
	s_or_b32 exec_lo, exec_lo, s25
	;;#ASMSTART
	s_wakeup
	;;#ASMEND
.LBB4_1743:                             ;   in Loop: Header=BB4_53 Depth=1
	s_or_b32 exec_lo, exec_lo, s24
.LBB4_1744:                             ;   in Loop: Header=BB4_53 Depth=1
	s_and_not1_saveexec_b32 s23, s23
	s_cbranch_execz .LBB4_1746
; %bb.1745:                             ;   in Loop: Header=BB4_53 Depth=1
	s_waitcnt lgkmcnt(0)
	s_waitcnt_vscnt null, 0x0
	buffer_gl1_inv
	buffer_gl0_inv
	s_barrier
.LBB4_1746:                             ;   in Loop: Header=BB4_53 Depth=1
	s_or_b32 exec_lo, exec_lo, s23
.LBB4_1747:                             ;   in Loop: Header=BB4_53 Depth=1
	s_delay_alu instid0(SALU_CYCLE_1) | instskip(SKIP_1) | instid1(VALU_DEP_1)
	s_or_b32 exec_lo, exec_lo, s12
	v_and_b32_e32 v10, 16, v30
	v_cmp_ne_u32_e32 vcc_lo, 0, v10
	s_and_b32 s12, vcc_lo, s11
	s_delay_alu instid0(SALU_CYCLE_1)
	s_and_saveexec_b32 s11, s12
	s_cbranch_execz .LBB4_1749
; %bb.1748:                             ;   in Loop: Header=BB4_53 Depth=1
	s_waitcnt lgkmcnt(0)
	s_waitcnt_vscnt null, 0x0
	buffer_gl1_inv
	buffer_gl0_inv
.LBB4_1749:                             ;   in Loop: Header=BB4_53 Depth=1
	s_or_b32 exec_lo, exec_lo, s11
	v_cmp_ne_u32_e32 vcc_lo, 0, v10
	s_xor_b32 s11, s10, -1
	s_delay_alu instid0(SALU_CYCLE_1) | instskip(NEXT) | instid1(SALU_CYCLE_1)
	s_and_b32 s12, vcc_lo, s11
	s_and_saveexec_b32 s11, s12
	s_cbranch_execz .LBB4_1751
; %bb.1750:                             ;   in Loop: Header=BB4_53 Depth=1
	s_waitcnt lgkmcnt(0)
	s_waitcnt_vscnt null, 0x0
	flat_store_b32 v[50:51], v103
.LBB4_1751:                             ;   in Loop: Header=BB4_53 Depth=1
	s_or_b32 exec_lo, exec_lo, s11
	v_and_b32_e32 v10, 48, v30
	s_mov_b32 s11, exec_lo
	s_delay_alu instid0(VALU_DEP_1)
	v_cmpx_ne_u32_e32 0, v10
	s_cbranch_execz .LBB4_1753
; %bb.1752:                             ;   in Loop: Header=BB4_53 Depth=1
	v_add_co_u32 v8, vcc_lo, v8, 1
	v_add_co_ci_u32_e32 v9, vcc_lo, 0, v9, vcc_lo
	s_waitcnt lgkmcnt(0)
	s_waitcnt_vscnt null, 0x0
	flat_store_b64 v[32:33], v[8:9]
.LBB4_1753:                             ;   in Loop: Header=BB4_53 Depth=1
	s_or_b32 exec_lo, exec_lo, s11
	v_mov_b32_e32 v12, v65
.LBB4_1754:                             ;   in Loop: Header=BB4_53 Depth=1
	s_or_b32 exec_lo, exec_lo, s22
	s_and_saveexec_b32 s12, s21
	s_cbranch_execz .LBB4_1814
; %bb.1755:                             ;   in Loop: Header=BB4_53 Depth=1
	v_and_b32_e32 v10, 12, v30
	s_mov_b32 s21, -1
	s_mov_b32 s11, exec_lo
	s_delay_alu instid0(VALU_DEP_1)
	v_cmpx_ne_u32_e32 0, v10
	s_cbranch_execz .LBB4_1769
; %bb.1756:                             ;   in Loop: Header=BB4_53 Depth=1
	v_and_b32_e32 v13, 8, v30
	s_delay_alu instid0(VALU_DEP_1) | instskip(SKIP_4) | instid1(VALU_DEP_1)
	v_add_co_u32 v14, vcc_lo, v36, v13
	v_add_co_ci_u32_e32 v15, vcc_lo, 0, v37, vcc_lo
	s_waitcnt lgkmcnt(0)
	v_add_co_u32 v10, vcc_lo, v8, 1
	v_add_co_ci_u32_e32 v11, vcc_lo, 0, v9, vcc_lo
	v_cmp_lt_u64_e32 vcc_lo, v[14:15], v[10:11]
	v_mov_b32_e32 v14, 1
	s_and_saveexec_b32 s21, vcc_lo
	s_cbranch_execz .LBB4_1768
; %bb.1757:                             ;   in Loop: Header=BB4_53 Depth=1
	v_mov_b32_e32 v14, 0
	s_mov_b32 s22, 0
                                        ; implicit-def: $sgpr23
	s_branch .LBB4_1761
.LBB4_1758:                             ;   in Loop: Header=BB4_1761 Depth=2
	s_or_b32 exec_lo, exec_lo, s27
	v_mov_b32_e32 v15, 0
	s_or_not1_b32 s26, s26, exec_lo
.LBB4_1759:                             ;   in Loop: Header=BB4_1761 Depth=2
	s_or_b32 exec_lo, exec_lo, s25
	s_delay_alu instid0(VALU_DEP_1) | instskip(SKIP_2) | instid1(SALU_CYCLE_1)
	v_mov_b32_e32 v14, v15
	s_and_not1_b32 s23, s23, exec_lo
	s_and_b32 s25, s26, exec_lo
	s_or_b32 s23, s23, s25
.LBB4_1760:                             ;   in Loop: Header=BB4_1761 Depth=2
	s_or_b32 exec_lo, exec_lo, s24
	s_waitcnt vmcnt(0) lgkmcnt(0)
	v_add_co_u32 v15, vcc_lo, v36, v13
	v_add_co_ci_u32_e32 v16, vcc_lo, 0, v37, vcc_lo
	s_xor_b32 s24, s23, -1
	s_delay_alu instid0(VALU_DEP_1) | instskip(SKIP_1) | instid1(SALU_CYCLE_1)
	v_cmp_ge_u64_e32 vcc_lo, v[15:16], v[10:11]
	s_or_b32 s24, s24, vcc_lo
	s_and_b32 s24, exec_lo, s24
	s_delay_alu instid0(SALU_CYCLE_1) | instskip(NEXT) | instid1(SALU_CYCLE_1)
	s_or_b32 s22, s24, s22
	s_and_not1_b32 exec_lo, exec_lo, s22
	s_cbranch_execz .LBB4_1767
.LBB4_1761:                             ;   Parent Loop BB4_53 Depth=1
                                        ; =>  This Inner Loop Header: Depth=2
	s_sleep 1
	flat_load_b64 v[36:37], v[32:33] glc
	v_and_b32_e32 v15, 64, v30
	s_and_not1_b32 s23, s23, exec_lo
	s_mov_b32 s24, exec_lo
	s_delay_alu instid0(VALU_DEP_1)
	v_cmpx_eq_u32_e32 0, v15
	s_cbranch_execz .LBB4_1760
; %bb.1762:                             ;   in Loop: Header=BB4_1761 Depth=2
	v_add_nc_u32_e32 v15, 1, v14
	s_mov_b32 s26, -1
	s_mov_b32 s25, exec_lo
	v_cmpx_lt_i32_e32 0x270e, v14
	s_cbranch_execz .LBB4_1759
; %bb.1763:                             ;   in Loop: Header=BB4_1761 Depth=2
	s_cbranch_execnz .LBB4_3883
; %bb.1764:                             ;   in Loop: Header=BB4_1761 Depth=2
	ds_load_b64 v[14:15], v0
	s_mov_b32 s27, exec_lo
	s_waitcnt vmcnt(0) lgkmcnt(0)
	s_waitcnt_vscnt null, 0x0
	flat_load_b32 v14, v[14:15] glc
	s_waitcnt vmcnt(0) lgkmcnt(0)
	buffer_gl1_inv
	buffer_gl0_inv
	v_cmpx_ne_u32_e32 0, v14
	s_cbranch_execz .LBB4_1758
; %bb.1765:                             ;   in Loop: Header=BB4_1761 Depth=2
	ds_store_b32 v0, v14
	s_cbranch_execnz .LBB4_3907
; %bb.1766:                             ;   in Loop: Header=BB4_1761 Depth=2
	v_or_b32_e32 v30, 64, v30
	s_xor_b32 s26, exec_lo, -1
	s_branch .LBB4_1758
.LBB4_1767:                             ;   in Loop: Header=BB4_53 Depth=1
	s_or_b32 exec_lo, exec_lo, s22
	v_and_b32_e32 v14, 12, v30
.LBB4_1768:                             ;   in Loop: Header=BB4_53 Depth=1
	s_or_b32 exec_lo, exec_lo, s21
	s_delay_alu instid0(VALU_DEP_1)
	v_cmp_eq_u32_e32 vcc_lo, 0, v14
	;;#ASMSTART
	s_wakeup
	;;#ASMEND
	s_or_not1_b32 s21, vcc_lo, exec_lo
.LBB4_1769:                             ;   in Loop: Header=BB4_53 Depth=1
	s_or_b32 exec_lo, exec_lo, s11
	v_sub_nc_u32_e32 v10, v64, v12
	s_xor_b32 s11, s21, -1
	s_delay_alu instid0(VALU_DEP_1)
	v_min_i32_e32 v10, v65, v10
	s_and_saveexec_b32 s21, s11
	s_cbranch_execz .LBB4_1784
; %bb.1770:                             ;   in Loop: Header=BB4_53 Depth=1
	v_and_b32_e32 v11, 0x108, v30
	s_mov_b32 s11, exec_lo
	s_delay_alu instid0(VALU_DEP_1)
	v_cmpx_ne_u32_e32 0x108, v11
	s_xor_b32 s11, exec_lo, s11
                                        ; implicit-def: $vgpr12_vgpr13
	s_cbranch_execz .LBB4_1772
; %bb.1771:                             ;   in Loop: Header=BB4_53 Depth=1
	s_waitcnt lgkmcnt(0)
	v_and_b32_e32 v12, 7, v8
.LBB4_1772:                             ;   in Loop: Header=BB4_53 Depth=1
	s_and_not1_saveexec_b32 s11, s11
	s_cbranch_execz .LBB4_1774
; %bb.1773:                             ;   in Loop: Header=BB4_53 Depth=1
	s_waitcnt lgkmcnt(0)
	v_and_b32_e32 v12, 7, v8
	v_ashrrev_i32_e32 v11, 31, v10
	s_delay_alu instid0(VALU_DEP_2)
	v_mad_u64_u32 v[13:14], null, v12, 24, v[6:7]
	flat_store_b64 v[13:14], v[10:11] offset:8
.LBB4_1774:                             ;   in Loop: Header=BB4_53 Depth=1
	s_or_b32 exec_lo, exec_lo, s11
	v_and_b32_e32 v11, 0x100, v30
	s_mov_b32 s11, -1
	s_mov_b32 s22, exec_lo
                                        ; implicit-def: $vgpr13_vgpr14
	s_delay_alu instid0(VALU_DEP_1)
	v_cmpx_ne_u32_e32 0, v11
	s_cbranch_execnz .LBB4_1777
; %bb.1775:                             ;   in Loop: Header=BB4_53 Depth=1
	s_or_b32 exec_lo, exec_lo, s22
	s_and_saveexec_b32 s22, s11
	s_cbranch_execnz .LBB4_1780
.LBB4_1776:                             ;   in Loop: Header=BB4_53 Depth=1
	s_or_b32 exec_lo, exec_lo, s22
	s_cbranch_execnz .LBB4_3875
	s_branch .LBB4_1781
.LBB4_1777:                             ;   in Loop: Header=BB4_53 Depth=1
	v_mad_u64_u32 v[15:16], null, v12, 24, v[6:7]
	s_mov_b32 s23, exec_lo
	s_delay_alu instid0(VALU_DEP_1) | instskip(NEXT) | instid1(VALU_DEP_1)
	v_mov_b32_e32 v11, v16
	v_mad_u64_u32 v[13:14], null, v53, 24, v[11:12]
	s_delay_alu instid0(VALU_DEP_1)
	v_mov_b32_e32 v16, v13
                                        ; implicit-def: $vgpr13_vgpr14
	flat_load_b32 v11, v[15:16]
	s_waitcnt vmcnt(0) lgkmcnt(0)
	v_cmp_ne_u32_e32 vcc_lo, 1, v11
	v_cmpx_eq_u32_e32 1, v11
	s_cbranch_execz .LBB4_1779
; %bb.1778:                             ;   in Loop: Header=BB4_53 Depth=1
	flat_load_b32 v13, v[15:16] offset:4 glc
	s_waitcnt vmcnt(0) lgkmcnt(0)
	v_ashrrev_i32_e32 v14, 31, v13
.LBB4_1779:                             ;   in Loop: Header=BB4_53 Depth=1
	s_or_b32 exec_lo, exec_lo, s23
	s_delay_alu instid0(SALU_CYCLE_1)
	s_or_not1_b32 s11, vcc_lo, exec_lo
	s_or_b32 exec_lo, exec_lo, s22
	s_and_saveexec_b32 s22, s11
	s_cbranch_execz .LBB4_1776
.LBB4_1780:                             ;   in Loop: Header=BB4_53 Depth=1
	v_mul_lo_u32 v11, v53, v81
	v_mul_lo_u32 v15, v12, v82
	v_mad_u64_u32 v[13:14], null, v12, v81, 0
	s_delay_alu instid0(VALU_DEP_1)
	v_add3_u32 v14, v14, v15, v11
	s_or_b32 exec_lo, exec_lo, s22
	s_cbranch_execnz .LBB4_3875
.LBB4_1781:                             ;   in Loop: Header=BB4_53 Depth=1
	s_waitcnt lgkmcnt(0)
	s_delay_alu instid0(VALU_DEP_2)
	v_add_co_u32 v11, vcc_lo, v34, v13
	v_and_b32_e32 v15, 0x2000, v30
	v_add_co_ci_u32_e32 v12, vcc_lo, v35, v14, vcc_lo
	s_mov_b32 s11, exec_lo
	ds_store_b64 v0, v[11:12]
	v_cmpx_ne_u32_e32 0, v15
	s_cbranch_execz .LBB4_1783
; %bb.1782:                             ;   in Loop: Header=BB4_53 Depth=1
	ds_load_b64 v[11:12], v0 offset:584
	s_waitcnt lgkmcnt(0)
	v_add_co_u32 v11, vcc_lo, v11, 1
	v_add_co_ci_u32_e32 v12, vcc_lo, 0, v12, vcc_lo
	ds_store_b64 v0, v[11:12] offset:584
.LBB4_1783:                             ;   in Loop: Header=BB4_53 Depth=1
	s_or_b32 exec_lo, exec_lo, s11
	v_add_co_u32 v8, vcc_lo, v8, 1
	v_add_co_ci_u32_e32 v9, vcc_lo, 0, v9, vcc_lo
.LBB4_1784:                             ;   in Loop: Header=BB4_53 Depth=1
	s_or_b32 exec_lo, exec_lo, s21
	s_and_saveexec_b32 s11, s3
	s_cbranch_execz .LBB4_1806
; %bb.1785:                             ;   in Loop: Header=BB4_53 Depth=1
	s_and_saveexec_b32 s21, s4
	s_delay_alu instid0(SALU_CYCLE_1)
	s_xor_b32 s21, exec_lo, s21
	s_cbranch_execz .LBB4_1803
; %bb.1786:                             ;   in Loop: Header=BB4_53 Depth=1
	s_and_saveexec_b32 s22, s5
	s_cbranch_execz .LBB4_1802
; %bb.1787:                             ;   in Loop: Header=BB4_53 Depth=1
	s_mov_b32 s24, exec_lo
	s_mov_b32 s23, exec_lo
	v_mbcnt_lo_u32_b32 v11, s24, 0
	s_waitcnt lgkmcnt(0)
	s_waitcnt_vscnt null, 0x0
	buffer_gl1_inv
	buffer_gl0_inv
	v_cmpx_eq_u32_e32 0, v11
	s_cbranch_execz .LBB4_1789
; %bb.1788:                             ;   in Loop: Header=BB4_53 Depth=1
	s_bcnt1_i32_b32 s24, s24
	s_delay_alu instid0(SALU_CYCLE_1)
	v_mov_b32_e32 v52, s24
	ds_add_u64 v0, v[52:53]
	s_cbranch_execnz .LBB4_3935
.LBB4_1789:                             ;   in Loop: Header=BB4_53 Depth=1
	s_or_b32 exec_lo, exec_lo, s23
	s_cbranch_execnz .LBB4_3921
; %bb.1790:                             ;   in Loop: Header=BB4_53 Depth=1
	ds_load_b64 v[11:12], v0
	v_add_co_u32 v38, vcc_lo, v38, v83
	v_add_co_ci_u32_e32 v39, vcc_lo, 0, v39, vcc_lo
	s_mov_b32 s23, exec_lo
	s_waitcnt lgkmcnt(0)
	s_delay_alu instid0(VALU_DEP_1)
	v_cmpx_lt_u64_e64 v[11:12], v[38:39]
	s_cbranch_execz .LBB4_1801
; %bb.1791:                             ;   in Loop: Header=BB4_53 Depth=1
	s_mov_b32 s24, 0
	s_mov_b32 s27, 0
                                        ; implicit-def: $sgpr25
                                        ; implicit-def: $sgpr26
	s_branch .LBB4_1793
.LBB4_1792:                             ;   in Loop: Header=BB4_1793 Depth=2
	s_or_b32 exec_lo, exec_lo, vcc_hi
	s_delay_alu instid0(SALU_CYCLE_1) | instskip(NEXT) | instid1(SALU_CYCLE_1)
	s_and_b32 s28, exec_lo, s29
	s_or_b32 s24, s28, s24
	s_and_not1_b32 s25, s25, exec_lo
	s_and_b32 s28, s26, exec_lo
	s_delay_alu instid0(SALU_CYCLE_1)
	s_or_b32 s25, s25, s28
	s_and_not1_b32 exec_lo, exec_lo, s24
	s_cbranch_execz .LBB4_1799
.LBB4_1793:                             ;   Parent Loop BB4_53 Depth=1
                                        ; =>  This Inner Loop Header: Depth=2
	s_add_i32 s27, s27, 1
                                        ; implicit-def: $sgpr29
	s_delay_alu instid0(SALU_CYCLE_1) | instskip(SKIP_1) | instid1(SALU_CYCLE_1)
	s_cmpk_lg_i32 s27, 0x2710
	s_cselect_b32 s28, -1, 0
	s_and_b32 vcc_lo, exec_lo, s28
	s_cbranch_vccz .LBB4_1797
.LBB4_1794:                             ;   in Loop: Header=BB4_1793 Depth=2
	s_and_not1_b32 s26, s26, exec_lo
	s_and_b32 vcc_lo, s29, exec_lo
	s_mov_b32 s29, -1
	s_or_b32 s26, s26, vcc_lo
	s_and_saveexec_b32 vcc_hi, s28
	s_cbranch_execz .LBB4_1792
; %bb.1795:                             ;   in Loop: Header=BB4_1793 Depth=2
	s_sleep 1
	s_cbranch_execnz .LBB4_3981
; %bb.1796:                             ;   in Loop: Header=BB4_1793 Depth=2
	ds_load_b64 v[11:12], v0
	s_and_not1_b32 s26, s26, exec_lo
	s_waitcnt lgkmcnt(0)
	v_cmp_ge_u64_e32 vcc_lo, v[11:12], v[38:39]
	s_or_not1_b32 s29, vcc_lo, exec_lo
	s_branch .LBB4_1792
.LBB4_1797:                             ;   in Loop: Header=BB4_1793 Depth=2
	s_cbranch_execnz .LBB4_4001
; %bb.1798:                             ;   in Loop: Header=BB4_1793 Depth=2
	ds_load_b64 v[11:12], v0
	s_and_not1_b32 s28, s28, exec_lo
	s_mov_b32 s27, 0
	s_mov_b32 s29, -1
	s_waitcnt lgkmcnt(0)
	flat_load_b32 v11, v[11:12] glc
	s_waitcnt vmcnt(0) lgkmcnt(0)
	buffer_gl1_inv
	buffer_gl0_inv
	v_cmp_eq_u32_e32 vcc_lo, 0, v11
	s_and_b32 vcc_lo, vcc_lo, exec_lo
	s_delay_alu instid0(SALU_CYCLE_1)
	s_or_b32 s28, s28, vcc_lo
	s_branch .LBB4_1794
.LBB4_1799:                             ;   in Loop: Header=BB4_53 Depth=1
	s_or_b32 exec_lo, exec_lo, s24
	s_and_saveexec_b32 s24, s25
	s_delay_alu instid0(SALU_CYCLE_1)
	s_xor_b32 s24, exec_lo, s24
	s_cbranch_execz .LBB4_1801
; %bb.1800:                             ;   in Loop: Header=BB4_53 Depth=1
	ds_store_b32 v0, v103
	s_cbranch_execnz .LBB4_4049
.LBB4_1801:                             ;   in Loop: Header=BB4_53 Depth=1
	s_or_b32 exec_lo, exec_lo, s23
	;;#ASMSTART
	s_wakeup
	;;#ASMEND
.LBB4_1802:                             ;   in Loop: Header=BB4_53 Depth=1
	s_or_b32 exec_lo, exec_lo, s22
.LBB4_1803:                             ;   in Loop: Header=BB4_53 Depth=1
	s_and_not1_saveexec_b32 s21, s21
	s_cbranch_execz .LBB4_1805
; %bb.1804:                             ;   in Loop: Header=BB4_53 Depth=1
	s_waitcnt lgkmcnt(0)
	s_waitcnt_vscnt null, 0x0
	buffer_gl1_inv
	buffer_gl0_inv
	s_barrier
.LBB4_1805:                             ;   in Loop: Header=BB4_53 Depth=1
	s_or_b32 exec_lo, exec_lo, s21
.LBB4_1806:                             ;   in Loop: Header=BB4_53 Depth=1
	s_delay_alu instid0(SALU_CYCLE_1)
	s_or_b32 exec_lo, exec_lo, s11
	s_cbranch_execnz .LBB4_3862
; %bb.1807:                             ;   in Loop: Header=BB4_53 Depth=1
	ds_load_b32 v11, v0
	v_cmp_lt_i32_e32 vcc_lo, 0, v10
	s_waitcnt lgkmcnt(0)
	v_readfirstlane_b32 s11, v11
	v_and_b32_e32 v11, 16, v30
	s_delay_alu instid0(VALU_DEP_2) | instskip(NEXT) | instid1(VALU_DEP_1)
	s_cmp_eq_u32 s11, 0
	v_cmp_ne_u32_e64 s11, 0, v11
	s_cselect_b32 s21, -1, 0
	s_delay_alu instid0(SALU_CYCLE_1)
	s_and_b32 s21, vcc_lo, s21
	s_delay_alu instid0(VALU_DEP_1) | instid1(SALU_CYCLE_1)
	s_and_b32 s21, s11, s21
	s_delay_alu instid0(SALU_CYCLE_1)
	s_and_saveexec_b32 s11, s21
	s_cbranch_execz .LBB4_1809
; %bb.1808:                             ;   in Loop: Header=BB4_53 Depth=1
	s_waitcnt_vscnt null, 0x0
	buffer_gl1_inv
	buffer_gl0_inv
.LBB4_1809:                             ;   in Loop: Header=BB4_53 Depth=1
	s_or_b32 exec_lo, exec_lo, s11
	v_cmp_ne_u32_e32 vcc_lo, 0, v11
	s_xor_b32 s11, s10, -1
	s_delay_alu instid0(SALU_CYCLE_1) | instskip(NEXT) | instid1(SALU_CYCLE_1)
	s_and_b32 s21, vcc_lo, s11
	s_and_saveexec_b32 s11, s21
	s_cbranch_execz .LBB4_1811
; %bb.1810:                             ;   in Loop: Header=BB4_53 Depth=1
	s_waitcnt_vscnt null, 0x0
	flat_store_b32 v[50:51], v103
.LBB4_1811:                             ;   in Loop: Header=BB4_53 Depth=1
	s_or_b32 exec_lo, exec_lo, s11
	v_and_b32_e32 v10, 48, v30
	s_mov_b32 s11, exec_lo
	s_delay_alu instid0(VALU_DEP_1)
	v_cmpx_ne_u32_e32 0, v10
	s_cbranch_execz .LBB4_1813
; %bb.1812:                             ;   in Loop: Header=BB4_53 Depth=1
	v_add_co_u32 v8, vcc_lo, v8, 1
	v_add_co_ci_u32_e32 v9, vcc_lo, 0, v9, vcc_lo
	s_waitcnt lgkmcnt(0)
	s_waitcnt_vscnt null, 0x0
	flat_store_b64 v[32:33], v[8:9]
.LBB4_1813:                             ;   in Loop: Header=BB4_53 Depth=1
	s_or_b32 exec_lo, exec_lo, s11
.LBB4_1814:                             ;   in Loop: Header=BB4_53 Depth=1
	s_delay_alu instid0(SALU_CYCLE_1) | instskip(SKIP_2) | instid1(VALU_DEP_1)
	s_or_b32 exec_lo, exec_lo, s12
	v_add_co_u32 v54, vcc_lo, v54, v48
	v_add_co_ci_u32_e32 v55, vcc_lo, 0, v55, vcc_lo
	v_cmp_ge_u64_e32 vcc_lo, v[54:55], v[4:5]
	s_or_b32 s18, vcc_lo, s18
	s_delay_alu instid0(SALU_CYCLE_1)
	s_and_not1_b32 exec_lo, exec_lo, s18
	s_cbranch_execnz .LBB4_53
; %bb.1815:
	s_or_b32 exec_lo, exec_lo, s18
.LBB4_1816:
	s_delay_alu instid0(SALU_CYCLE_1)
	s_or_b32 exec_lo, exec_lo, s17
                                        ; implicit-def: $vgpr26_vgpr27
                                        ; implicit-def: $vgpr4_vgpr5
                                        ; implicit-def: $vgpr81
                                        ; implicit-def: $vgpr36_vgpr37
                                        ; implicit-def: $vgpr34_vgpr35
                                        ; implicit-def: $vgpr32_vgpr33
                                        ; implicit-def: $vgpr0
                                        ; implicit-def: $vgpr54
                                        ; implicit-def: $vgpr48_vgpr49
.LBB4_1817:
	s_and_not1_saveexec_b32 s11, s16
	s_cbranch_execz .LBB4_3571
; %bb.1818:
	v_mov_b32_e32 v38, 0
	v_mov_b32_e32 v39, 0
	s_and_saveexec_b32 s12, s1
	s_cbranch_execz .LBB4_3570
; %bb.1819:
	v_cmp_ge_i32_e64 s1, v0, v1
	s_cbranch_execnz .LBB4_3820
; %bb.1820:
	v_ashrrev_i32_e32 v10, 31, v0
	v_lshrrev_b32_e32 v70, 5, v1
	v_dual_mov_b32 v52, 0 :: v_dual_and_b32 v11, 31, v31
	s_ashr_i32 s4, s14, 31
	s_delay_alu instid0(VALU_DEP_3)
	v_lshrrev_b32_e32 v10, 27, v10
	s_lshr_b32 s4, s4, 24
	v_dual_mov_b32 v100, 1 :: v_dual_and_b32 v71, 0xffffffe0, v1
	s_add_i32 s10, s14, s4
	s_waitcnt lgkmcnt(2)
	v_dual_mov_b32 v51, 0 :: v_dual_add_nc_u32 v10, v0, v10
	v_cmp_eq_u32_e64 s4, 0, v11
	v_cmp_eq_u32_e32 vcc_lo, 32, v1
	v_cmp_ne_u32_e64 s2, 32, v1
	s_delay_alu instid0(VALU_DEP_4) | instskip(SKIP_3) | instid1(VALU_DEP_4)
	v_dual_mov_b32 v53, 0 :: v_dual_and_b32 v12, 0xffffffe0, v10
	v_ashrrev_i32_e32 v82, 5, v10
	v_dual_mov_b32 v38, v52 :: v_dual_lshlrev_b32 v83, 9, v70
	v_lshl_add_u32 v10, v70, 10, 0xfffffc00
	v_sub_nc_u32_e32 v84, v0, v12
	s_delay_alu instid0(VALU_DEP_4) | instskip(NEXT) | instid1(VALU_DEP_4)
	v_dual_mov_b32 v39, v53 :: v_dual_lshlrev_b32 v12, 10, v82
	v_add_nc_u32_e32 v13, 0xfffffe00, v83
	s_delay_alu instid0(VALU_DEP_4) | instskip(SKIP_1) | instid1(VALU_DEP_4)
	v_ashrrev_i32_e32 v11, 31, v10
	v_add_co_u32 v86, s5, 0x400, v10
	v_lshl_add_u32 v85, v84, 4, v12
	s_delay_alu instid0(VALU_DEP_4)
	v_ashrrev_i32_e32 v10, 31, v13
	v_add_co_u32 v97, s7, 0x200, v13
	v_add_co_ci_u32_e64 v87, s5, 0, v11, s5
	v_cmp_ne_u32_e64 s3, v80, v1
	v_cmp_le_i32_e64 s5, v84, v54
	v_cmp_gt_i32_e64 s6, 1, v84
	v_ashrrev_i32_e32 v96, 31, v85
	v_add_co_ci_u32_e64 v98, s7, 0, v10, s7
	v_ashrrev_i32_e32 v99, 31, v71
	s_ashr_i32 s17, s10, 8
	s_mov_b32 s16, 0
	s_xor_b32 s18, vcc_lo, -1
.LBB4_1821:                             ; =>This Loop Header: Depth=1
                                        ;     Child Loop BB4_1831 Depth 2
                                        ;     Child Loop BB4_1858 Depth 2
	;; [unrolled: 1-line block ×10, first 2 shown]
	v_sub_co_u32 v10, vcc_lo, v4, v52
	v_sub_co_ci_u32_e32 v11, vcc_lo, v5, v53, vcc_lo
	v_mov_b32_e32 v14, 0
	s_delay_alu instid0(VALU_DEP_2) | instskip(SKIP_2) | instid1(VALU_DEP_2)
	v_cmp_lt_u64_e32 vcc_lo, v[48:49], v[10:11]
	v_cndmask_b32_e32 v54, v10, v48, vcc_lo
	v_cndmask_b32_e64 v55, v11, 0, vcc_lo
	v_add_nc_u32_e32 v10, 15, v54
	s_delay_alu instid0(VALU_DEP_2) | instskip(NEXT) | instid1(VALU_DEP_2)
	v_cmp_eq_u64_e32 vcc_lo, 0, v[54:55]
	v_and_b32_e32 v10, 0x7ffffff0, v10
	s_or_b32 s19, s1, vcc_lo
	s_delay_alu instid0(SALU_CYCLE_1) | instskip(NEXT) | instid1(VALU_DEP_1)
	s_xor_b32 s7, s19, -1
	v_max_i32_e32 v55, s17, v10
	s_and_saveexec_b32 s20, s7
	s_cbranch_execz .LBB4_3515
; %bb.1822:                             ;   in Loop: Header=BB4_1821 Depth=1
	s_and_saveexec_b32 s10, s0
	s_cbranch_execz .LBB4_1825
; %bb.1823:                             ;   in Loop: Header=BB4_1821 Depth=1
	s_cbranch_execnz .LBB4_3852
; %bb.1824:                             ;   in Loop: Header=BB4_1821 Depth=1
	ds_load_2addr_b64 v[10:13], v0 offset1:1
	ds_load_b64 v[14:15], v0
	v_add_co_u32 v16, vcc_lo, v52, v26
	v_add_co_ci_u32_e32 v17, vcc_lo, v53, v27, vcc_lo
	s_waitcnt lgkmcnt(1)
	s_delay_alu instid0(VALU_DEP_2) | instskip(NEXT) | instid1(VALU_DEP_2)
	v_add_co_u32 v10, vcc_lo, v10, v16
	v_add_co_ci_u32_e32 v11, vcc_lo, v11, v17, vcc_lo
	s_waitcnt lgkmcnt(0)
	v_add_co_u32 v18, vcc_lo, v14, v16
	v_add_co_ci_u32_e32 v19, vcc_lo, v15, v17, vcc_lo
	v_cmp_ne_u64_e32 vcc_lo, 0, v[14:15]
	v_add_co_u32 v12, s7, v12, v16
	s_delay_alu instid0(VALU_DEP_1) | instskip(NEXT) | instid1(VALU_DEP_4)
	v_add_co_ci_u32_e64 v13, s7, v13, v17, s7
	v_dual_cndmask_b32 v15, 0, v19 :: v_dual_cndmask_b32 v14, 0, v18
	ds_store_b64 v0, v[10:11]
	ds_store_b64 v0, v[12:13]
	;; [unrolled: 1-line block ×3, first 2 shown]
.LBB4_1825:                             ;   in Loop: Header=BB4_1821 Depth=1
	s_or_b32 exec_lo, exec_lo, s10
	v_and_b32_e32 v10, 4, v30
	s_mov_b32 s10, -1
	s_mov_b32 s7, exec_lo
	s_delay_alu instid0(VALU_DEP_1)
	v_cmpx_ne_u32_e32 0, v10
	s_cbranch_execz .LBB4_1839
; %bb.1826:                             ;   in Loop: Header=BB4_1821 Depth=1
	s_waitcnt lgkmcnt(0)
	v_add_co_u32 v10, vcc_lo, v8, 1
	v_add_co_ci_u32_e32 v11, vcc_lo, 0, v9, vcc_lo
	v_mov_b32_e32 v12, 1
	s_mov_b32 s10, exec_lo
	s_delay_alu instid0(VALU_DEP_2)
	v_cmpx_lt_u64_e64 v[36:37], v[10:11]
	s_cbranch_execz .LBB4_1838
; %bb.1827:                             ;   in Loop: Header=BB4_1821 Depth=1
	v_mov_b32_e32 v12, 0
	s_mov_b32 s21, 0
                                        ; implicit-def: $sgpr22
	s_branch .LBB4_1831
.LBB4_1828:                             ;   in Loop: Header=BB4_1831 Depth=2
	s_or_b32 exec_lo, exec_lo, s26
	v_mov_b32_e32 v13, 0
	s_or_not1_b32 s25, s25, exec_lo
.LBB4_1829:                             ;   in Loop: Header=BB4_1831 Depth=2
	s_or_b32 exec_lo, exec_lo, s24
	s_delay_alu instid0(VALU_DEP_1) | instskip(SKIP_2) | instid1(SALU_CYCLE_1)
	v_mov_b32_e32 v12, v13
	s_and_not1_b32 s22, s22, exec_lo
	s_and_b32 s24, s25, exec_lo
	s_or_b32 s22, s22, s24
.LBB4_1830:                             ;   in Loop: Header=BB4_1831 Depth=2
	s_or_b32 exec_lo, exec_lo, s23
	s_waitcnt vmcnt(0) lgkmcnt(0)
	v_cmp_ge_u64_e32 vcc_lo, v[36:37], v[10:11]
	s_xor_b32 s23, s22, -1
	s_delay_alu instid0(SALU_CYCLE_1) | instskip(NEXT) | instid1(SALU_CYCLE_1)
	s_or_b32 s23, s23, vcc_lo
	s_and_b32 s23, exec_lo, s23
	s_delay_alu instid0(SALU_CYCLE_1) | instskip(NEXT) | instid1(SALU_CYCLE_1)
	s_or_b32 s21, s23, s21
	s_and_not1_b32 exec_lo, exec_lo, s21
	s_cbranch_execz .LBB4_1837
.LBB4_1831:                             ;   Parent Loop BB4_1821 Depth=1
                                        ; =>  This Inner Loop Header: Depth=2
	s_sleep 1
	flat_load_b64 v[36:37], v[32:33] glc
	v_and_b32_e32 v13, 64, v30
	s_and_not1_b32 s22, s22, exec_lo
	s_mov_b32 s23, exec_lo
	s_delay_alu instid0(VALU_DEP_1)
	v_cmpx_eq_u32_e32 0, v13
	s_cbranch_execz .LBB4_1830
; %bb.1832:                             ;   in Loop: Header=BB4_1831 Depth=2
	v_add_nc_u32_e32 v13, 1, v12
	s_mov_b32 s25, -1
	s_mov_b32 s24, exec_lo
	v_cmpx_lt_i32_e32 0x270e, v12
	s_cbranch_execz .LBB4_1829
; %bb.1833:                             ;   in Loop: Header=BB4_1831 Depth=2
	s_cbranch_execnz .LBB4_3877
; %bb.1834:                             ;   in Loop: Header=BB4_1831 Depth=2
	ds_load_b64 v[12:13], v0
	s_mov_b32 s26, exec_lo
	s_waitcnt vmcnt(0) lgkmcnt(0)
	s_waitcnt_vscnt null, 0x0
	flat_load_b32 v12, v[12:13] glc
	s_waitcnt vmcnt(0) lgkmcnt(0)
	buffer_gl1_inv
	buffer_gl0_inv
	v_cmpx_ne_u32_e32 0, v12
	s_cbranch_execz .LBB4_1828
; %bb.1835:                             ;   in Loop: Header=BB4_1831 Depth=2
	ds_store_b32 v0, v12
	s_cbranch_execnz .LBB4_3905
; %bb.1836:                             ;   in Loop: Header=BB4_1831 Depth=2
	v_or_b32_e32 v30, 64, v30
	s_xor_b32 s25, exec_lo, -1
	s_branch .LBB4_1828
.LBB4_1837:                             ;   in Loop: Header=BB4_1821 Depth=1
	s_or_b32 exec_lo, exec_lo, s21
	v_and_b32_e32 v12, 4, v30
.LBB4_1838:                             ;   in Loop: Header=BB4_1821 Depth=1
	s_or_b32 exec_lo, exec_lo, s10
	s_delay_alu instid0(VALU_DEP_1)
	v_cmp_eq_u32_e32 vcc_lo, 0, v12
	;;#ASMSTART
	s_wakeup
	;;#ASMEND
	s_or_not1_b32 s10, vcc_lo, exec_lo
.LBB4_1839:                             ;   in Loop: Header=BB4_1821 Depth=1
	s_or_b32 exec_lo, exec_lo, s7
	s_xor_b32 s7, s10, -1
	s_delay_alu instid0(SALU_CYCLE_1)
	s_and_saveexec_b32 s10, s7
	s_cbranch_execz .LBB4_1849
; %bb.1840:                             ;   in Loop: Header=BB4_1821 Depth=1
	v_and_b32_e32 v10, 0x100, v30
	s_waitcnt lgkmcnt(0)
	v_and_b32_e32 v14, 7, v8
	s_mov_b32 s7, -1
	s_delay_alu instid0(VALU_DEP_2)
	v_cmp_ne_u32_e32 vcc_lo, 0, v10
                                        ; implicit-def: $vgpr10_vgpr11
	s_and_saveexec_b32 s21, vcc_lo
	s_cbranch_execz .LBB4_1844
; %bb.1841:                             ;   in Loop: Header=BB4_1821 Depth=1
	v_mad_u64_u32 v[12:13], null, v14, 24, v[6:7]
	flat_load_b32 v10, v[12:13]
	s_waitcnt vmcnt(0) lgkmcnt(0)
	v_cmp_ne_u32_e32 vcc_lo, 1, v10
	v_cmp_eq_u32_e64 s7, 1, v10
                                        ; implicit-def: $vgpr10_vgpr11
	s_delay_alu instid0(VALU_DEP_1)
	s_and_saveexec_b32 s22, s7
	s_cbranch_execz .LBB4_1843
; %bb.1842:                             ;   in Loop: Header=BB4_1821 Depth=1
	flat_load_b32 v10, v[12:13] offset:4 glc
	s_waitcnt vmcnt(0) lgkmcnt(0)
	v_ashrrev_i32_e32 v11, 31, v10
.LBB4_1843:                             ;   in Loop: Header=BB4_1821 Depth=1
	s_or_b32 exec_lo, exec_lo, s22
	s_delay_alu instid0(SALU_CYCLE_1)
	s_or_not1_b32 s7, vcc_lo, exec_lo
.LBB4_1844:                             ;   in Loop: Header=BB4_1821 Depth=1
	s_or_b32 exec_lo, exec_lo, s21
	s_and_saveexec_b32 s21, s7
; %bb.1845:                             ;   in Loop: Header=BB4_1821 Depth=1
	v_mad_i64_i32 v[10:11], null, v14, v81, 0
; %bb.1846:                             ;   in Loop: Header=BB4_1821 Depth=1
	s_or_b32 exec_lo, exec_lo, s21
	s_delay_alu instid0(VALU_DEP_1) | instskip(SKIP_1) | instid1(VALU_DEP_3)
	v_add_co_u32 v10, vcc_lo, v34, v10
	v_and_b32_e32 v12, 0x2000, v30
	v_add_co_ci_u32_e32 v11, vcc_lo, v35, v11, vcc_lo
	s_mov_b32 s7, exec_lo
	ds_store_b64 v0, v[10:11] offset:728
	v_cmpx_ne_u32_e32 0, v12
	s_cbranch_execz .LBB4_1848
; %bb.1847:                             ;   in Loop: Header=BB4_1821 Depth=1
	ds_load_b64 v[10:11], v0 offset:584
	s_waitcnt lgkmcnt(0)
	v_add_co_u32 v10, vcc_lo, v10, 1
	v_add_co_ci_u32_e32 v11, vcc_lo, 0, v11, vcc_lo
	ds_store_b64 v0, v[10:11] offset:584
.LBB4_1848:                             ;   in Loop: Header=BB4_1821 Depth=1
	s_or_b32 exec_lo, exec_lo, s7
	v_add_co_u32 v8, vcc_lo, v8, 1
	v_add_co_ci_u32_e32 v9, vcc_lo, 0, v9, vcc_lo
.LBB4_1849:                             ;   in Loop: Header=BB4_1821 Depth=1
	s_or_b32 exec_lo, exec_lo, s10
	s_and_saveexec_b32 s7, s2
	s_cbranch_execz .LBB4_1871
; %bb.1850:                             ;   in Loop: Header=BB4_1821 Depth=1
	s_and_saveexec_b32 s10, s3
	s_delay_alu instid0(SALU_CYCLE_1)
	s_xor_b32 s10, exec_lo, s10
	s_cbranch_execz .LBB4_1868
; %bb.1851:                             ;   in Loop: Header=BB4_1821 Depth=1
	s_and_saveexec_b32 s21, s4
	s_cbranch_execz .LBB4_1867
; %bb.1852:                             ;   in Loop: Header=BB4_1821 Depth=1
	s_mov_b32 s23, exec_lo
	s_mov_b32 s22, exec_lo
	v_mbcnt_lo_u32_b32 v10, s23, 0
	s_waitcnt lgkmcnt(0)
	s_waitcnt_vscnt null, 0x0
	buffer_gl1_inv
	buffer_gl0_inv
	v_cmpx_eq_u32_e32 0, v10
	s_cbranch_execz .LBB4_1854
; %bb.1853:                             ;   in Loop: Header=BB4_1821 Depth=1
	s_bcnt1_i32_b32 s23, s23
	s_delay_alu instid0(SALU_CYCLE_1)
	v_mov_b32_e32 v50, s23
	ds_add_u64 v0, v[50:51]
	s_cbranch_execnz .LBB4_3923
.LBB4_1854:                             ;   in Loop: Header=BB4_1821 Depth=1
	s_or_b32 exec_lo, exec_lo, s22
	s_cbranch_execnz .LBB4_3911
; %bb.1855:                             ;   in Loop: Header=BB4_1821 Depth=1
	ds_load_b64 v[10:11], v0
	v_add_co_u32 v38, vcc_lo, v38, v70
	v_add_co_ci_u32_e32 v39, vcc_lo, 0, v39, vcc_lo
	s_mov_b32 s22, exec_lo
	s_waitcnt lgkmcnt(0)
	s_delay_alu instid0(VALU_DEP_1)
	v_cmpx_lt_u64_e64 v[10:11], v[38:39]
	s_cbranch_execz .LBB4_1866
; %bb.1856:                             ;   in Loop: Header=BB4_1821 Depth=1
	s_mov_b32 s23, 0
	s_mov_b32 s26, 0
                                        ; implicit-def: $sgpr24
                                        ; implicit-def: $sgpr25
	s_branch .LBB4_1858
.LBB4_1857:                             ;   in Loop: Header=BB4_1858 Depth=2
	s_or_b32 exec_lo, exec_lo, s29
	s_delay_alu instid0(SALU_CYCLE_1) | instskip(NEXT) | instid1(SALU_CYCLE_1)
	s_and_b32 s27, exec_lo, s28
	s_or_b32 s23, s27, s23
	s_and_not1_b32 s24, s24, exec_lo
	s_and_b32 s27, s25, exec_lo
	s_delay_alu instid0(SALU_CYCLE_1)
	s_or_b32 s24, s24, s27
	s_and_not1_b32 exec_lo, exec_lo, s23
	s_cbranch_execz .LBB4_1864
.LBB4_1858:                             ;   Parent Loop BB4_1821 Depth=1
                                        ; =>  This Inner Loop Header: Depth=2
	s_add_i32 s26, s26, 1
                                        ; implicit-def: $sgpr28
	s_delay_alu instid0(SALU_CYCLE_1) | instskip(SKIP_1) | instid1(SALU_CYCLE_1)
	s_cmpk_lg_i32 s26, 0x2710
	s_cselect_b32 s27, -1, 0
	s_and_b32 vcc_lo, exec_lo, s27
	s_cbranch_vccz .LBB4_1862
.LBB4_1859:                             ;   in Loop: Header=BB4_1858 Depth=2
	s_and_not1_b32 s25, s25, exec_lo
	s_and_b32 s29, s28, exec_lo
	s_mov_b32 s28, -1
	s_or_b32 s25, s25, s29
	s_and_saveexec_b32 s29, s27
	s_cbranch_execz .LBB4_1857
; %bb.1860:                             ;   in Loop: Header=BB4_1858 Depth=2
	s_sleep 1
	s_cbranch_execnz .LBB4_3955
; %bb.1861:                             ;   in Loop: Header=BB4_1858 Depth=2
	ds_load_b64 v[10:11], v0
	s_and_not1_b32 s25, s25, exec_lo
	s_waitcnt lgkmcnt(0)
	v_cmp_ge_u64_e32 vcc_lo, v[10:11], v[38:39]
	s_or_not1_b32 s28, vcc_lo, exec_lo
	s_branch .LBB4_1857
.LBB4_1862:                             ;   in Loop: Header=BB4_1858 Depth=2
	s_cbranch_execnz .LBB4_3967
; %bb.1863:                             ;   in Loop: Header=BB4_1858 Depth=2
	ds_load_b64 v[10:11], v0
	s_and_not1_b32 s27, s27, exec_lo
	s_mov_b32 s26, 0
	s_mov_b32 s28, -1
	s_waitcnt lgkmcnt(0)
	flat_load_b32 v10, v[10:11] glc
	s_waitcnt vmcnt(0) lgkmcnt(0)
	buffer_gl1_inv
	buffer_gl0_inv
	v_cmp_eq_u32_e32 vcc_lo, 0, v10
	s_and_b32 s29, vcc_lo, exec_lo
	s_delay_alu instid0(SALU_CYCLE_1)
	s_or_b32 s27, s27, s29
	s_branch .LBB4_1859
.LBB4_1864:                             ;   in Loop: Header=BB4_1821 Depth=1
	s_or_b32 exec_lo, exec_lo, s23
	s_and_saveexec_b32 s23, s24
	s_delay_alu instid0(SALU_CYCLE_1)
	s_xor_b32 s23, exec_lo, s23
	s_cbranch_execz .LBB4_1866
; %bb.1865:                             ;   in Loop: Header=BB4_1821 Depth=1
	ds_store_b32 v0, v100
	s_cbranch_execnz .LBB4_4041
.LBB4_1866:                             ;   in Loop: Header=BB4_1821 Depth=1
	s_or_b32 exec_lo, exec_lo, s22
	;;#ASMSTART
	s_wakeup
	;;#ASMEND
.LBB4_1867:                             ;   in Loop: Header=BB4_1821 Depth=1
	s_or_b32 exec_lo, exec_lo, s21
.LBB4_1868:                             ;   in Loop: Header=BB4_1821 Depth=1
	s_and_not1_saveexec_b32 s10, s10
	s_cbranch_execz .LBB4_1870
; %bb.1869:                             ;   in Loop: Header=BB4_1821 Depth=1
	s_waitcnt lgkmcnt(0)
	s_waitcnt_vscnt null, 0x0
	buffer_gl1_inv
	buffer_gl0_inv
	s_barrier
.LBB4_1870:                             ;   in Loop: Header=BB4_1821 Depth=1
	s_or_b32 exec_lo, exec_lo, s10
.LBB4_1871:                             ;   in Loop: Header=BB4_1821 Depth=1
	s_delay_alu instid0(SALU_CYCLE_1)
	s_or_b32 exec_lo, exec_lo, s7
	s_cbranch_execnz .LBB4_3848
; %bb.1872:                             ;   in Loop: Header=BB4_1821 Depth=1
	ds_load_b32 v10, v0
	v_and_b32_e32 v11, 0x4000, v30
	s_delay_alu instid0(VALU_DEP_1) | instskip(SKIP_1) | instid1(SALU_CYCLE_1)
	v_cmp_ne_u32_e32 vcc_lo, 0, v11
	s_and_b32 s10, s18, vcc_lo
	s_and_saveexec_b32 s7, s10
	s_cbranch_execz .LBB4_1894
; %bb.1873:                             ;   in Loop: Header=BB4_1821 Depth=1
	s_and_saveexec_b32 s10, s3
	s_delay_alu instid0(SALU_CYCLE_1)
	s_xor_b32 s10, exec_lo, s10
	s_cbranch_execz .LBB4_1891
; %bb.1874:                             ;   in Loop: Header=BB4_1821 Depth=1
	s_and_saveexec_b32 s21, s4
	s_cbranch_execz .LBB4_1890
; %bb.1875:                             ;   in Loop: Header=BB4_1821 Depth=1
	s_mov_b32 s23, exec_lo
	s_mov_b32 s22, exec_lo
	v_mbcnt_lo_u32_b32 v11, s23, 0
	s_waitcnt lgkmcnt(0)
	s_waitcnt_vscnt null, 0x0
	buffer_gl1_inv
	buffer_gl0_inv
	v_cmpx_eq_u32_e32 0, v11
	s_cbranch_execz .LBB4_1877
; %bb.1876:                             ;   in Loop: Header=BB4_1821 Depth=1
	s_bcnt1_i32_b32 s23, s23
	s_delay_alu instid0(SALU_CYCLE_1)
	v_mov_b32_e32 v50, s23
	ds_add_u64 v0, v[50:51]
	s_cbranch_execnz .LBB4_3951
.LBB4_1877:                             ;   in Loop: Header=BB4_1821 Depth=1
	s_or_b32 exec_lo, exec_lo, s22
	s_cbranch_execnz .LBB4_3937
; %bb.1878:                             ;   in Loop: Header=BB4_1821 Depth=1
	ds_load_b64 v[11:12], v0
	v_add_co_u32 v38, vcc_lo, v38, v70
	v_add_co_ci_u32_e32 v39, vcc_lo, 0, v39, vcc_lo
	s_mov_b32 s22, exec_lo
	s_waitcnt lgkmcnt(0)
	s_delay_alu instid0(VALU_DEP_1)
	v_cmpx_lt_u64_e64 v[11:12], v[38:39]
	s_cbranch_execz .LBB4_1889
; %bb.1879:                             ;   in Loop: Header=BB4_1821 Depth=1
	s_mov_b32 s23, 0
	s_mov_b32 s26, 0
                                        ; implicit-def: $sgpr24
                                        ; implicit-def: $sgpr25
	s_branch .LBB4_1881
.LBB4_1880:                             ;   in Loop: Header=BB4_1881 Depth=2
	s_or_b32 exec_lo, exec_lo, s29
	s_delay_alu instid0(SALU_CYCLE_1) | instskip(NEXT) | instid1(SALU_CYCLE_1)
	s_and_b32 s27, exec_lo, s28
	s_or_b32 s23, s27, s23
	s_and_not1_b32 s24, s24, exec_lo
	s_and_b32 s27, s25, exec_lo
	s_delay_alu instid0(SALU_CYCLE_1)
	s_or_b32 s24, s24, s27
	s_and_not1_b32 exec_lo, exec_lo, s23
	s_cbranch_execz .LBB4_1887
.LBB4_1881:                             ;   Parent Loop BB4_1821 Depth=1
                                        ; =>  This Inner Loop Header: Depth=2
	s_add_i32 s26, s26, 1
                                        ; implicit-def: $sgpr28
	s_delay_alu instid0(SALU_CYCLE_1) | instskip(SKIP_1) | instid1(SALU_CYCLE_1)
	s_cmpk_lg_i32 s26, 0x2710
	s_cselect_b32 s27, -1, 0
	s_and_b32 vcc_lo, exec_lo, s27
	s_cbranch_vccz .LBB4_1885
.LBB4_1882:                             ;   in Loop: Header=BB4_1881 Depth=2
	s_and_not1_b32 s25, s25, exec_lo
	s_and_b32 s29, s28, exec_lo
	s_mov_b32 s28, -1
	s_or_b32 s25, s25, s29
	s_and_saveexec_b32 s29, s27
	s_cbranch_execz .LBB4_1880
; %bb.1883:                             ;   in Loop: Header=BB4_1881 Depth=2
	s_sleep 1
	s_cbranch_execnz .LBB4_4003
; %bb.1884:                             ;   in Loop: Header=BB4_1881 Depth=2
	ds_load_b64 v[11:12], v0
	s_and_not1_b32 s25, s25, exec_lo
	s_waitcnt lgkmcnt(0)
	v_cmp_ge_u64_e32 vcc_lo, v[11:12], v[38:39]
	s_or_not1_b32 s28, vcc_lo, exec_lo
	s_branch .LBB4_1880
.LBB4_1885:                             ;   in Loop: Header=BB4_1881 Depth=2
	s_cbranch_execnz .LBB4_4013
; %bb.1886:                             ;   in Loop: Header=BB4_1881 Depth=2
	ds_load_b64 v[11:12], v0
	s_and_not1_b32 s27, s27, exec_lo
	s_mov_b32 s26, 0
	s_mov_b32 s28, -1
	s_waitcnt lgkmcnt(0)
	flat_load_b32 v11, v[11:12] glc
	s_waitcnt vmcnt(0) lgkmcnt(0)
	buffer_gl1_inv
	buffer_gl0_inv
	v_cmp_eq_u32_e32 vcc_lo, 0, v11
	s_and_b32 s29, vcc_lo, exec_lo
	s_delay_alu instid0(SALU_CYCLE_1)
	s_or_b32 s27, s27, s29
	s_branch .LBB4_1882
.LBB4_1887:                             ;   in Loop: Header=BB4_1821 Depth=1
	s_or_b32 exec_lo, exec_lo, s23
	s_and_saveexec_b32 s23, s24
	s_delay_alu instid0(SALU_CYCLE_1)
	s_xor_b32 s23, exec_lo, s23
	s_cbranch_execz .LBB4_1889
; %bb.1888:                             ;   in Loop: Header=BB4_1821 Depth=1
	ds_store_b32 v0, v100
	s_cbranch_execnz .LBB4_4051
.LBB4_1889:                             ;   in Loop: Header=BB4_1821 Depth=1
	s_or_b32 exec_lo, exec_lo, s22
	;;#ASMSTART
	s_wakeup
	;;#ASMEND
.LBB4_1890:                             ;   in Loop: Header=BB4_1821 Depth=1
	s_or_b32 exec_lo, exec_lo, s21
.LBB4_1891:                             ;   in Loop: Header=BB4_1821 Depth=1
	s_and_not1_saveexec_b32 s10, s10
	s_cbranch_execz .LBB4_1893
; %bb.1892:                             ;   in Loop: Header=BB4_1821 Depth=1
	s_waitcnt lgkmcnt(0)
	s_waitcnt_vscnt null, 0x0
	buffer_gl1_inv
	buffer_gl0_inv
	s_barrier
.LBB4_1893:                             ;   in Loop: Header=BB4_1821 Depth=1
	s_or_b32 exec_lo, exec_lo, s10
.LBB4_1894:                             ;   in Loop: Header=BB4_1821 Depth=1
	s_delay_alu instid0(SALU_CYCLE_1)
	s_or_b32 exec_lo, exec_lo, s7
	s_cbranch_execnz .LBB4_3881
; %bb.1895:                             ;   in Loop: Header=BB4_1821 Depth=1
	ds_load_b64 v[11:12], v0
	v_min_u32_e32 v55, v55, v54
	s_waitcnt lgkmcnt(0)
	v_cmp_eq_u64_e32 vcc_lo, 0, v[11:12]
	s_or_b32 s7, vcc_lo, vcc_lo
	s_delay_alu instid0(SALU_CYCLE_1)
	s_and_b32 vcc_lo, exec_lo, s7
	s_mov_b32 s7, 0
	s_cbranch_vccnz .LBB4_3488
; %bb.1896:                             ;   in Loop: Header=BB4_1821 Depth=1
	s_mov_b32 s7, -1
	s_and_saveexec_b32 s10, s5
	s_cbranch_execz .LBB4_1898
; %bb.1897:                             ;   in Loop: Header=BB4_1821 Depth=1
	ds_load_b32 v11, v0 offset:720
	s_waitcnt lgkmcnt(0)
	v_and_b32_e32 v11, 15, v11
	s_delay_alu instid0(VALU_DEP_1)
	v_cmp_eq_u32_e32 vcc_lo, 0, v11
	s_or_not1_b32 s7, vcc_lo, exec_lo
.LBB4_1898:                             ;   in Loop: Header=BB4_1821 Depth=1
	s_or_b32 exec_lo, exec_lo, s10
	s_and_saveexec_b32 s10, s6
	s_cbranch_execz .LBB4_1900
; %bb.1899:                             ;   in Loop: Header=BB4_1821 Depth=1
	ds_load_b32 v11, v0 offset:784
	s_waitcnt lgkmcnt(0)
	v_and_b32_e32 v11, 15, v11
	s_delay_alu instid0(VALU_DEP_1) | instskip(SKIP_3) | instid1(SALU_CYCLE_1)
	v_cmp_eq_u32_e32 vcc_lo, 0, v11
	s_and_b32 s21, s7, vcc_lo
	s_and_not1_b32 s7, s7, exec_lo
	s_and_b32 s21, s21, exec_lo
	s_or_b32 s7, s7, s21
.LBB4_1900:                             ;   in Loop: Header=BB4_1821 Depth=1
	s_or_b32 exec_lo, exec_lo, s10
	v_cmp_eq_u32_e32 vcc_lo, 0, v10
	s_xor_b32 s7, s7, -1
	v_mov_b32_e32 v18, v0
	v_cndmask_b32_e64 v11, 0, 1, s7
	;;#ASMSTART
	;;#ASMEND
	v_cndmask_b32_e32 v50, 0, v55, vcc_lo
	s_delay_alu instid0(VALU_DEP_2)
	v_cmp_ne_u32_e32 vcc_lo, 0, v11
	v_mov_b32_e32 v16, 0
	v_mov_b32_e32 v10, v82
	s_mov_b32 s7, -1
	v_mov_b32_e32 v17, v50
	s_cbranch_vccnz .LBB4_3068
; %bb.1901:                             ;   in Loop: Header=BB4_1821 Depth=1
	v_lshrrev_b32_e32 v10, 10, v50
	s_mov_b32 s10, exec_lo
	s_delay_alu instid0(VALU_DEP_1) | instskip(NEXT) | instid1(VALU_DEP_1)
	v_sub_nc_u32_e32 v101, v10, v82
	v_cmpx_lt_i32_e32 0, v101
	s_cbranch_execz .LBB4_2674
; %bb.1902:                             ;   in Loop: Header=BB4_1821 Depth=1
	s_cbranch_execnz .LBB4_3969
; %bb.1903:                             ;   in Loop: Header=BB4_1821 Depth=1
	ds_load_b128 v[10:13], v0
	ds_load_b64 v[14:15], v0
	s_mov_b32 s21, 0
	s_waitcnt lgkmcnt(1)
	v_add_co_u32 v64, vcc_lo, v10, v85
	v_add_co_ci_u32_e32 v65, vcc_lo, v11, v96, vcc_lo
	v_add_co_u32 v66, vcc_lo, v12, v85
	v_add_co_ci_u32_e32 v67, vcc_lo, v13, v96, vcc_lo
	s_waitcnt lgkmcnt(0)
	v_add_co_u32 v68, vcc_lo, v14, v85
	v_add_co_ci_u32_e32 v69, vcc_lo, v15, v96, vcc_lo
	s_branch .LBB4_1907
.LBB4_1904:                             ;   in Loop: Header=BB4_1907 Depth=2
	s_or_b32 exec_lo, exec_lo, s7
	s_delay_alu instid0(VALU_DEP_1) | instskip(NEXT) | instid1(VALU_DEP_2)
	v_lshrrev_b32_e32 v135, 21, v135
	v_cmp_gt_i32_e32 vcc_lo, 32, v17
	v_min_i32_e32 v144, 31, v17
	v_lshrrev_b32_e32 v13, 24, v13
	s_delay_alu instid0(VALU_DEP_2) | instskip(NEXT) | instid1(VALU_DEP_2)
	v_dual_cndmask_b32 v135, 3, v135 :: v_dual_lshlrev_b32 v144, 2, v144
	v_and_b32_e32 v13, 0x80, v13
	s_delay_alu instid0(VALU_DEP_2) | instskip(SKIP_1) | instid1(VALU_DEP_2)
	v_or_b32_e32 v17, v17, v135
	v_and_b32_e32 v145, 3, v135
	v_cmp_ne_u32_e32 vcc_lo, 0, v17
	v_and_b32_e32 v144, 0xfc, v144
	s_delay_alu instid0(VALU_DEP_1) | instskip(NEXT) | instid1(VALU_DEP_1)
	v_or3_b32 v13, v13, v144, v145
	v_lshlrev_b32_e32 v13, 8, v13
	s_delay_alu instid0(VALU_DEP_1)
	v_cndmask_b32_e32 v17, 0, v13, vcc_lo
.LBB4_1905:                             ;   in Loop: Header=BB4_1907 Depth=2
	s_or_b32 exec_lo, exec_lo, s23
.LBB4_1906:                             ;   in Loop: Header=BB4_1907 Depth=2
	s_delay_alu instid0(SALU_CYCLE_1)
	s_or_b32 exec_lo, exec_lo, s22
	v_or_b32_e32 v13, v19, v114
	v_and_b32_e32 v19, 0xff, v22
	v_and_b32_e32 v22, 0xff, v112
	v_lshlrev_b32_e32 v103, 8, v103
	v_and_b32_e32 v112, 0xff, v116
	v_lshlrev_b32_e32 v114, 8, v115
	v_lshlrev_b32_e32 v13, 16, v13
	;; [unrolled: 1-line block ×4, first 2 shown]
	v_perm_b32 v102, v103, v102, 0xc0c0500
	v_lshlrev_b32_e32 v20, 24, v20
	v_lshlrev_b32_e32 v103, 16, v112
	v_perm_b32 v23, v114, v23, 0xc0c0500
	v_or3_b32 v19, v113, v19, v13
	v_or_b32_e32 v13, v21, v118
	v_or3_b32 v18, v18, v22, v102
	v_or_b32_e32 v11, v11, v130
	v_or3_b32 v20, v20, v103, v23
	v_and_b32_e32 v21, 0xff, v24
	v_and_b32_e32 v22, 0xff, v128
	v_lshlrev_b32_e32 v23, 8, v119
	v_and_b32_e32 v24, 0xff, v132
	v_lshlrev_b32_e32 v102, 8, v131
	v_or_b32_e32 v17, v17, v134
	v_lshlrev_b32_e32 v13, 16, v13
	v_and_b32_e32 v14, 0xff, v14
	v_lshlrev_b32_e32 v11, 16, v11
	v_lshlrev_b32_e32 v10, 24, v10
	v_lshlrev_b32_e32 v22, 16, v22
	v_perm_b32 v23, v23, v25, 0xc0c0500
	v_lshlrev_b32_e32 v12, 24, v12
	v_lshlrev_b32_e32 v24, 16, v24
	v_perm_b32 v15, v102, v15, 0xc0c0500
	v_and_b32_e32 v16, 0xff, v16
	v_lshlrev_b32_e32 v17, 16, v17
	v_add_co_u32 v64, vcc_lo, v64, v86
	v_or3_b32 v21, v117, v21, v13
	v_sub_nc_u32_e32 v101, v101, v70
	v_or3_b32 v11, v129, v14, v11
	v_or3_b32 v10, v10, v22, v23
	;; [unrolled: 1-line block ×4, first 2 shown]
	v_add_co_ci_u32_e32 v65, vcc_lo, v65, v87, vcc_lo
	v_add_co_u32 v66, vcc_lo, v66, v86
	v_add_co_ci_u32_e32 v67, vcc_lo, v67, v87, vcc_lo
	s_clause 0x1
	global_store_b128 v[68:69], v[18:21], off glc slc dlc
	global_store_b128 v[68:69], v[10:13], off offset:512 glc slc dlc
	v_cmp_gt_i32_e32 vcc_lo, 1, v101
	v_add_co_u32 v68, s7, v68, v86
	s_delay_alu instid0(VALU_DEP_1) | instskip(SKIP_1) | instid1(SALU_CYCLE_1)
	v_add_co_ci_u32_e64 v69, s7, v69, v87, s7
	s_or_b32 s21, vcc_lo, s21
	s_and_not1_b32 exec_lo, exec_lo, s21
	s_cbranch_execz .LBB4_2673
.LBB4_1907:                             ;   Parent Loop BB4_1821 Depth=1
                                        ; =>  This Inner Loop Header: Depth=2
	s_clause 0x1
	global_load_b128 v[22:25], v[64:65], off slc dlc
	global_load_b128 v[14:17], v[64:65], off offset:512 slc dlc
	s_clause 0x1
	global_load_b128 v[18:21], v[66:67], off slc dlc
	global_load_b128 v[10:13], v[66:67], off offset:512 slc dlc
	s_mov_b32 s7, 0
	s_mov_b32 s23, exec_lo
                                        ; implicit-def: $sgpr22
	s_waitcnt vmcnt(3)
	v_and_b32_e32 v103, 0xff, v22
	s_delay_alu instid0(VALU_DEP_1)
	v_cmpx_lt_i16_e32 0x7f, v103
	s_xor_b32 s23, exec_lo, s23
	s_cbranch_execnz .LBB4_2417
; %bb.1908:                             ;   in Loop: Header=BB4_1907 Depth=2
	s_or_saveexec_b32 s23, s23
	v_mov_b32_e32 v102, s22
	s_xor_b32 exec_lo, exec_lo, s23
	s_cbranch_execnz .LBB4_2420
.LBB4_1909:                             ;   in Loop: Header=BB4_1907 Depth=2
	s_or_b32 exec_lo, exec_lo, s23
	s_and_saveexec_b32 s22, s7
	s_cbranch_execz .LBB4_1911
.LBB4_1910:                             ;   in Loop: Header=BB4_1907 Depth=2
	v_bfe_u32 v113, v22, 2, 5
	v_lshlrev_b32_e32 v114, 24, v22
	s_delay_alu instid0(VALU_DEP_2) | instskip(SKIP_1) | instid1(VALU_DEP_1)
	v_cmp_eq_u32_e32 vcc_lo, 0, v113
	v_and_b32_e32 v102, 3, v22
	v_clz_i32_u32_e32 v103, v102
	s_delay_alu instid0(VALU_DEP_1) | instskip(NEXT) | instid1(VALU_DEP_1)
	v_min_u32_e32 v103, 32, v103
	v_subrev_nc_u32_e32 v112, 29, v103
	v_sub_nc_u32_e32 v103, 30, v103
	s_delay_alu instid0(VALU_DEP_1) | instskip(NEXT) | instid1(VALU_DEP_1)
	v_dual_cndmask_b32 v103, v113, v103 :: v_dual_lshlrev_b32 v112, v112, v22
	v_and_b32_e32 v112, 3, v112
	s_delay_alu instid0(VALU_DEP_2) | instskip(NEXT) | instid1(VALU_DEP_2)
	v_lshl_add_u32 v103, v103, 23, 0x37800000
	v_cndmask_b32_e32 v102, v102, v112, vcc_lo
	v_and_b32_e32 v112, 0x80000000, v114
	s_delay_alu instid0(VALU_DEP_2) | instskip(NEXT) | instid1(VALU_DEP_1)
	v_lshlrev_b32_e32 v102, 21, v102
	v_or3_b32 v102, v112, v103, v102
.LBB4_1911:                             ;   in Loop: Header=BB4_1907 Depth=2
	s_or_b32 exec_lo, exec_lo, s22
	s_waitcnt vmcnt(1)
	v_and_b32_e32 v112, 0xff, v18
	s_mov_b32 s7, 0
	s_mov_b32 s23, exec_lo
                                        ; implicit-def: $sgpr22
	s_delay_alu instid0(VALU_DEP_1)
	v_cmpx_lt_i16_e32 0x7f, v112
	s_xor_b32 s23, exec_lo, s23
	s_cbranch_execnz .LBB4_2421
; %bb.1912:                             ;   in Loop: Header=BB4_1907 Depth=2
	s_or_saveexec_b32 s23, s23
	v_mov_b32_e32 v103, s22
	s_xor_b32 exec_lo, exec_lo, s23
	s_cbranch_execnz .LBB4_2424
.LBB4_1913:                             ;   in Loop: Header=BB4_1907 Depth=2
	s_or_b32 exec_lo, exec_lo, s23
	s_and_saveexec_b32 s22, s7
	s_cbranch_execz .LBB4_1915
.LBB4_1914:                             ;   in Loop: Header=BB4_1907 Depth=2
	v_bfe_u32 v114, v18, 2, 5
	v_lshlrev_b32_e32 v115, 24, v18
	s_delay_alu instid0(VALU_DEP_2) | instskip(SKIP_1) | instid1(VALU_DEP_1)
	v_cmp_eq_u32_e32 vcc_lo, 0, v114
	v_and_b32_e32 v103, 3, v18
	v_clz_i32_u32_e32 v112, v103
	s_delay_alu instid0(VALU_DEP_1) | instskip(NEXT) | instid1(VALU_DEP_1)
	v_min_u32_e32 v112, 32, v112
	v_subrev_nc_u32_e32 v113, 29, v112
	v_sub_nc_u32_e32 v112, 30, v112
	s_delay_alu instid0(VALU_DEP_1) | instskip(NEXT) | instid1(VALU_DEP_1)
	v_dual_cndmask_b32 v112, v114, v112 :: v_dual_lshlrev_b32 v113, v113, v18
	v_and_b32_e32 v113, 3, v113
	s_delay_alu instid0(VALU_DEP_2) | instskip(NEXT) | instid1(VALU_DEP_2)
	v_lshl_add_u32 v112, v112, 23, 0x37800000
	v_cndmask_b32_e32 v103, v103, v113, vcc_lo
	v_and_b32_e32 v113, 0x80000000, v115
	s_delay_alu instid0(VALU_DEP_2) | instskip(NEXT) | instid1(VALU_DEP_1)
	v_lshlrev_b32_e32 v103, 21, v103
	v_or3_b32 v103, v113, v112, v103
.LBB4_1915:                             ;   in Loop: Header=BB4_1907 Depth=2
	s_or_b32 exec_lo, exec_lo, s22
	s_delay_alu instid0(VALU_DEP_1) | instskip(NEXT) | instid1(VALU_DEP_1)
	v_mul_f32_e32 v103, v102, v103
	v_and_b32_e32 v102, 0x7f800000, v103
	s_delay_alu instid0(VALU_DEP_1)
	v_cmp_ne_u32_e32 vcc_lo, 0x7f800000, v102
	v_mov_b32_e32 v102, 0x80
	s_and_saveexec_b32 s22, vcc_lo
	s_cbranch_execz .LBB4_1923
; %bb.1916:                             ;   in Loop: Header=BB4_1907 Depth=2
	v_mov_b32_e32 v102, 0
	s_mov_b32 s23, exec_lo
	v_cmpx_ne_u32_e32 0, v103
	s_cbranch_execz .LBB4_1922
; %bb.1917:                             ;   in Loop: Header=BB4_1907 Depth=2
	v_bfe_u32 v102, v103, 23, 8
	s_delay_alu instid0(VALU_DEP_1) | instskip(SKIP_1) | instid1(VALU_DEP_2)
	v_sub_nc_u32_e32 v113, 0x70, v102
	v_cmp_gt_u32_e32 vcc_lo, 0x71, v102
	v_dual_cndmask_b32 v113, 0, v113 :: v_dual_and_b32 v112, 0x7fffff, v103
	s_delay_alu instid0(VALU_DEP_1) | instskip(SKIP_2) | instid1(VALU_DEP_4)
	v_or_b32_e32 v114, 0x800000, v112
	v_cmp_eq_u32_e32 vcc_lo, 0, v102
	v_add_nc_u32_e32 v102, 0xffffff91, v102
	v_cndmask_b32_e64 v113, v113, 0x6f, vcc_lo
	s_delay_alu instid0(VALU_DEP_2) | instskip(SKIP_1) | instid1(VALU_DEP_3)
	v_cndmask_b32_e64 v102, v102, 0xffffff92, vcc_lo
	v_cndmask_b32_e32 v112, v114, v112, vcc_lo
	v_lshl_add_u32 v114, 0x200000, v113, -1
	v_lshlrev_b32_e64 v117, v113, 0x100000
	s_delay_alu instid0(VALU_DEP_3) | instskip(SKIP_1) | instid1(VALU_DEP_4)
	v_lshrrev_b32_e32 v115, v113, v112
	v_add_nc_u32_e32 v113, v113, v102
	v_and_b32_e32 v112, v114, v112
	s_delay_alu instid0(VALU_DEP_3) | instskip(NEXT) | instid1(VALU_DEP_2)
	v_bfe_u32 v116, v115, 21, 1
	v_cmp_eq_u32_e64 s7, v112, v117
	s_delay_alu instid0(VALU_DEP_2) | instskip(NEXT) | instid1(VALU_DEP_1)
	v_add_nc_u32_e32 v114, -1, v116
	v_cndmask_b32_e64 v112, 0, v114, s7
	v_lshrrev_b32_e32 v114, 23, v115
	s_mov_b32 s7, exec_lo
	s_delay_alu instid0(VALU_DEP_2) | instskip(NEXT) | instid1(VALU_DEP_2)
	v_add_nc_u32_e32 v112, v112, v115
	v_xor_b32_e32 v114, 1, v114
	s_delay_alu instid0(VALU_DEP_2) | instskip(NEXT) | instid1(VALU_DEP_1)
	v_and_b32_e32 v102, 0x1fffff, v112
	v_add_nc_u32_e32 v112, v102, v115
                                        ; implicit-def: $vgpr102
	s_delay_alu instid0(VALU_DEP_3)
	v_cmpx_ne_u32_e64 v113, v114
	s_xor_b32 s7, exec_lo, s7
; %bb.1918:                             ;   in Loop: Header=BB4_1907 Depth=2
	s_delay_alu instid0(VALU_DEP_2) | instskip(SKIP_2) | instid1(VALU_DEP_2)
	v_cmp_lt_u32_e32 vcc_lo, 0xffffff, v112
	v_sub_nc_u32_e32 v102, v113, v114
	v_cndmask_b32_e64 v113, 0, 1, vcc_lo
	v_add_co_ci_u32_e32 v102, vcc_lo, 0, v102, vcc_lo
	s_delay_alu instid0(VALU_DEP_2)
	v_lshrrev_b32_e32 v112, v113, v112
; %bb.1919:                             ;   in Loop: Header=BB4_1907 Depth=2
	s_and_not1_saveexec_b32 s7, s7
; %bb.1920:                             ;   in Loop: Header=BB4_1907 Depth=2
	s_delay_alu instid0(VALU_DEP_1)
	v_bfe_u32 v102, v112, 23, 1
; %bb.1921:                             ;   in Loop: Header=BB4_1907 Depth=2
	s_or_b32 exec_lo, exec_lo, s7
	v_lshrrev_b32_e32 v112, 21, v112
	s_delay_alu instid0(VALU_DEP_2) | instskip(SKIP_2) | instid1(VALU_DEP_2)
	v_cmp_gt_i32_e32 vcc_lo, 32, v102
	v_lshrrev_b32_e32 v103, 24, v103
	v_min_i32_e32 v113, 31, v102
	v_dual_cndmask_b32 v112, 3, v112 :: v_dual_and_b32 v103, 0x80, v103
	s_delay_alu instid0(VALU_DEP_1) | instskip(SKIP_1) | instid1(VALU_DEP_2)
	v_or_b32_e32 v102, v102, v112
	v_and_b32_e32 v114, 3, v112
	v_cmp_ne_u32_e32 vcc_lo, 0, v102
	v_lshlrev_b32_e32 v113, 2, v113
	s_delay_alu instid0(VALU_DEP_1) | instskip(NEXT) | instid1(VALU_DEP_1)
	v_or3_b32 v103, v113, v103, v114
	v_cndmask_b32_e32 v102, 0, v103, vcc_lo
.LBB4_1922:                             ;   in Loop: Header=BB4_1907 Depth=2
	s_or_b32 exec_lo, exec_lo, s23
.LBB4_1923:                             ;   in Loop: Header=BB4_1907 Depth=2
	s_delay_alu instid0(SALU_CYCLE_1) | instskip(SKIP_3) | instid1(VALU_DEP_1)
	s_or_b32 exec_lo, exec_lo, s22
	v_lshrrev_b16 v112, 8, v22
	s_mov_b32 s7, 0
	s_mov_b32 s23, exec_lo
                                        ; implicit-def: $sgpr22
	v_cmpx_lt_i16_e32 0x7f, v112
	s_xor_b32 s23, exec_lo, s23
	s_cbranch_execnz .LBB4_2425
; %bb.1924:                             ;   in Loop: Header=BB4_1907 Depth=2
	s_or_saveexec_b32 s23, s23
	v_mov_b32_e32 v103, s22
	s_xor_b32 exec_lo, exec_lo, s23
	s_cbranch_execnz .LBB4_2428
.LBB4_1925:                             ;   in Loop: Header=BB4_1907 Depth=2
	s_or_b32 exec_lo, exec_lo, s23
	s_and_saveexec_b32 s22, s7
	s_cbranch_execz .LBB4_1927
.LBB4_1926:                             ;   in Loop: Header=BB4_1907 Depth=2
	v_and_b32_e32 v103, 0xffff, v112
	s_delay_alu instid0(VALU_DEP_1) | instskip(NEXT) | instid1(VALU_DEP_1)
	v_and_b32_e32 v113, 3, v103
	v_clz_i32_u32_e32 v114, v113
	s_delay_alu instid0(VALU_DEP_1) | instskip(NEXT) | instid1(VALU_DEP_1)
	v_min_u32_e32 v114, 32, v114
	v_subrev_nc_u32_e32 v115, 29, v114
	v_sub_nc_u32_e32 v114, 30, v114
	s_delay_alu instid0(VALU_DEP_2) | instskip(SKIP_1) | instid1(VALU_DEP_2)
	v_lshlrev_b32_e32 v115, v115, v103
	v_bfe_u32 v103, v103, 2, 5
	v_and_b32_e32 v115, 3, v115
	s_delay_alu instid0(VALU_DEP_2) | instskip(SKIP_1) | instid1(VALU_DEP_1)
	v_cmp_eq_u32_e32 vcc_lo, 0, v103
	v_dual_cndmask_b32 v103, v103, v114 :: v_dual_lshlrev_b32 v112, 24, v112
	v_dual_cndmask_b32 v113, v113, v115 :: v_dual_and_b32 v112, 0x80000000, v112
	s_delay_alu instid0(VALU_DEP_2) | instskip(NEXT) | instid1(VALU_DEP_2)
	v_lshl_add_u32 v103, v103, 23, 0x37800000
	v_lshlrev_b32_e32 v113, 21, v113
	s_delay_alu instid0(VALU_DEP_1)
	v_or3_b32 v103, v112, v103, v113
.LBB4_1927:                             ;   in Loop: Header=BB4_1907 Depth=2
	s_or_b32 exec_lo, exec_lo, s22
	v_lshrrev_b16 v112, 8, v18
	s_mov_b32 s7, 0
	s_mov_b32 s23, exec_lo
                                        ; implicit-def: $sgpr22
	s_delay_alu instid0(VALU_DEP_1)
	v_cmpx_lt_i16_e32 0x7f, v112
	s_xor_b32 s23, exec_lo, s23
	s_cbranch_execnz .LBB4_2429
; %bb.1928:                             ;   in Loop: Header=BB4_1907 Depth=2
	s_or_saveexec_b32 s23, s23
	v_mov_b32_e32 v113, s22
	s_xor_b32 exec_lo, exec_lo, s23
	s_cbranch_execnz .LBB4_2432
.LBB4_1929:                             ;   in Loop: Header=BB4_1907 Depth=2
	s_or_b32 exec_lo, exec_lo, s23
	s_and_saveexec_b32 s22, s7
	s_cbranch_execz .LBB4_1931
.LBB4_1930:                             ;   in Loop: Header=BB4_1907 Depth=2
	v_and_b32_e32 v113, 0xffff, v112
	v_lshlrev_b32_e32 v112, 24, v112
	s_delay_alu instid0(VALU_DEP_2) | instskip(NEXT) | instid1(VALU_DEP_2)
	v_and_b32_e32 v114, 3, v113
	v_and_b32_e32 v112, 0x80000000, v112
	s_delay_alu instid0(VALU_DEP_2) | instskip(NEXT) | instid1(VALU_DEP_1)
	v_clz_i32_u32_e32 v115, v114
	v_min_u32_e32 v115, 32, v115
	s_delay_alu instid0(VALU_DEP_1) | instskip(SKIP_1) | instid1(VALU_DEP_2)
	v_subrev_nc_u32_e32 v116, 29, v115
	v_sub_nc_u32_e32 v115, 30, v115
	v_lshlrev_b32_e32 v116, v116, v113
	v_bfe_u32 v113, v113, 2, 5
	s_delay_alu instid0(VALU_DEP_2) | instskip(NEXT) | instid1(VALU_DEP_2)
	v_and_b32_e32 v116, 3, v116
	v_cmp_eq_u32_e32 vcc_lo, 0, v113
	s_delay_alu instid0(VALU_DEP_2) | instskip(NEXT) | instid1(VALU_DEP_1)
	v_dual_cndmask_b32 v113, v113, v115 :: v_dual_cndmask_b32 v114, v114, v116
	v_lshl_add_u32 v113, v113, 23, 0x37800000
	s_delay_alu instid0(VALU_DEP_2) | instskip(NEXT) | instid1(VALU_DEP_1)
	v_lshlrev_b32_e32 v114, 21, v114
	v_or3_b32 v113, v112, v113, v114
.LBB4_1931:                             ;   in Loop: Header=BB4_1907 Depth=2
	s_or_b32 exec_lo, exec_lo, s22
	s_delay_alu instid0(VALU_DEP_1) | instskip(NEXT) | instid1(VALU_DEP_1)
	v_mul_f32_e32 v112, v103, v113
	v_and_b32_e32 v103, 0x7f800000, v112
	s_delay_alu instid0(VALU_DEP_1)
	v_cmp_ne_u32_e32 vcc_lo, 0x7f800000, v103
	v_mov_b32_e32 v103, 0x80
	s_and_saveexec_b32 s22, vcc_lo
	s_cbranch_execz .LBB4_1939
; %bb.1932:                             ;   in Loop: Header=BB4_1907 Depth=2
	v_mov_b32_e32 v103, 0
	s_mov_b32 s23, exec_lo
	v_cmpx_ne_u32_e32 0, v112
	s_cbranch_execz .LBB4_1938
; %bb.1933:                             ;   in Loop: Header=BB4_1907 Depth=2
	v_bfe_u32 v103, v112, 23, 8
	s_delay_alu instid0(VALU_DEP_1) | instskip(SKIP_1) | instid1(VALU_DEP_2)
	v_sub_nc_u32_e32 v114, 0x70, v103
	v_cmp_gt_u32_e32 vcc_lo, 0x71, v103
	v_dual_cndmask_b32 v114, 0, v114 :: v_dual_and_b32 v113, 0x7fffff, v112
	s_delay_alu instid0(VALU_DEP_1) | instskip(SKIP_2) | instid1(VALU_DEP_4)
	v_or_b32_e32 v115, 0x800000, v113
	v_cmp_eq_u32_e32 vcc_lo, 0, v103
	v_add_nc_u32_e32 v103, 0xffffff91, v103
	v_cndmask_b32_e64 v114, v114, 0x6f, vcc_lo
	s_delay_alu instid0(VALU_DEP_2) | instskip(SKIP_1) | instid1(VALU_DEP_3)
	v_cndmask_b32_e64 v103, v103, 0xffffff92, vcc_lo
	v_cndmask_b32_e32 v113, v115, v113, vcc_lo
	v_lshl_add_u32 v115, 0x200000, v114, -1
	v_lshlrev_b32_e64 v118, v114, 0x100000
	s_delay_alu instid0(VALU_DEP_3) | instskip(SKIP_1) | instid1(VALU_DEP_4)
	v_lshrrev_b32_e32 v116, v114, v113
	v_add_nc_u32_e32 v114, v114, v103
	v_and_b32_e32 v113, v115, v113
	s_delay_alu instid0(VALU_DEP_3) | instskip(NEXT) | instid1(VALU_DEP_2)
	v_bfe_u32 v117, v116, 21, 1
	v_cmp_eq_u32_e64 s7, v113, v118
	s_delay_alu instid0(VALU_DEP_2) | instskip(NEXT) | instid1(VALU_DEP_1)
	v_add_nc_u32_e32 v115, -1, v117
	v_cndmask_b32_e64 v113, 0, v115, s7
	v_lshrrev_b32_e32 v115, 23, v116
	s_mov_b32 s7, exec_lo
	s_delay_alu instid0(VALU_DEP_2) | instskip(NEXT) | instid1(VALU_DEP_2)
	v_add_nc_u32_e32 v113, v113, v116
	v_xor_b32_e32 v115, 1, v115
	s_delay_alu instid0(VALU_DEP_2) | instskip(NEXT) | instid1(VALU_DEP_1)
	v_and_b32_e32 v103, 0x1fffff, v113
	v_add_nc_u32_e32 v113, v103, v116
                                        ; implicit-def: $vgpr103
	s_delay_alu instid0(VALU_DEP_3)
	v_cmpx_ne_u32_e64 v114, v115
	s_xor_b32 s7, exec_lo, s7
; %bb.1934:                             ;   in Loop: Header=BB4_1907 Depth=2
	s_delay_alu instid0(VALU_DEP_2) | instskip(SKIP_2) | instid1(VALU_DEP_2)
	v_cmp_lt_u32_e32 vcc_lo, 0xffffff, v113
	v_sub_nc_u32_e32 v103, v114, v115
	v_cndmask_b32_e64 v114, 0, 1, vcc_lo
	v_add_co_ci_u32_e32 v103, vcc_lo, 0, v103, vcc_lo
	s_delay_alu instid0(VALU_DEP_2)
	v_lshrrev_b32_e32 v113, v114, v113
; %bb.1935:                             ;   in Loop: Header=BB4_1907 Depth=2
	s_and_not1_saveexec_b32 s7, s7
; %bb.1936:                             ;   in Loop: Header=BB4_1907 Depth=2
	s_delay_alu instid0(VALU_DEP_1)
	v_bfe_u32 v103, v113, 23, 1
; %bb.1937:                             ;   in Loop: Header=BB4_1907 Depth=2
	s_or_b32 exec_lo, exec_lo, s7
	v_lshrrev_b32_e32 v113, 21, v113
	s_delay_alu instid0(VALU_DEP_2) | instskip(SKIP_2) | instid1(VALU_DEP_2)
	v_cmp_gt_i32_e32 vcc_lo, 32, v103
	v_lshrrev_b32_e32 v112, 24, v112
	v_min_i32_e32 v114, 31, v103
	v_dual_cndmask_b32 v113, 3, v113 :: v_dual_and_b32 v112, 0x80, v112
	s_delay_alu instid0(VALU_DEP_1) | instskip(SKIP_1) | instid1(VALU_DEP_2)
	v_or_b32_e32 v103, v103, v113
	v_and_b32_e32 v115, 3, v113
	v_cmp_ne_u32_e32 vcc_lo, 0, v103
	v_lshlrev_b32_e32 v114, 2, v114
	s_delay_alu instid0(VALU_DEP_1) | instskip(NEXT) | instid1(VALU_DEP_1)
	v_or3_b32 v112, v114, v112, v115
	v_cndmask_b32_e32 v103, 0, v112, vcc_lo
.LBB4_1938:                             ;   in Loop: Header=BB4_1907 Depth=2
	s_or_b32 exec_lo, exec_lo, s23
.LBB4_1939:                             ;   in Loop: Header=BB4_1907 Depth=2
	s_delay_alu instid0(SALU_CYCLE_1) | instskip(SKIP_3) | instid1(VALU_DEP_1)
	s_or_b32 exec_lo, exec_lo, s22
	v_lshrrev_b32_e32 v113, 16, v22
	s_mov_b32 s7, 0
	s_mov_b32 s23, exec_lo
                                        ; implicit-def: $sgpr22
	v_and_b32_e32 v114, 0xff, v113
	s_delay_alu instid0(VALU_DEP_1)
	v_cmpx_lt_i16_e32 0x7f, v114
	s_xor_b32 s23, exec_lo, s23
	s_cbranch_execnz .LBB4_2433
; %bb.1940:                             ;   in Loop: Header=BB4_1907 Depth=2
	s_or_saveexec_b32 s23, s23
	v_mov_b32_e32 v112, s22
	s_xor_b32 exec_lo, exec_lo, s23
	s_cbranch_execnz .LBB4_2436
.LBB4_1941:                             ;   in Loop: Header=BB4_1907 Depth=2
	s_or_b32 exec_lo, exec_lo, s23
	s_and_saveexec_b32 s22, s7
	s_cbranch_execz .LBB4_1943
.LBB4_1942:                             ;   in Loop: Header=BB4_1907 Depth=2
	v_bfe_u32 v112, v22, 16, 2
	v_lshlrev_b32_e32 v116, 8, v22
	s_delay_alu instid0(VALU_DEP_2) | instskip(NEXT) | instid1(VALU_DEP_1)
	v_clz_i32_u32_e32 v114, v112
	v_min_u32_e32 v114, 32, v114
	s_delay_alu instid0(VALU_DEP_1) | instskip(SKIP_1) | instid1(VALU_DEP_2)
	v_subrev_nc_u32_e32 v115, 29, v114
	v_sub_nc_u32_e32 v114, 30, v114
	v_lshlrev_b32_e32 v113, v115, v113
	v_bfe_u32 v115, v22, 18, 5
	s_delay_alu instid0(VALU_DEP_1) | instskip(NEXT) | instid1(VALU_DEP_3)
	v_cmp_eq_u32_e32 vcc_lo, 0, v115
	v_dual_cndmask_b32 v114, v115, v114 :: v_dual_and_b32 v113, 3, v113
	s_delay_alu instid0(VALU_DEP_1) | instskip(NEXT) | instid1(VALU_DEP_2)
	v_dual_cndmask_b32 v112, v112, v113 :: v_dual_and_b32 v113, 0x80000000, v116
	v_lshl_add_u32 v114, v114, 23, 0x37800000
	s_delay_alu instid0(VALU_DEP_2) | instskip(NEXT) | instid1(VALU_DEP_1)
	v_lshlrev_b32_e32 v112, 21, v112
	v_or3_b32 v112, v113, v114, v112
.LBB4_1943:                             ;   in Loop: Header=BB4_1907 Depth=2
	s_or_b32 exec_lo, exec_lo, s22
	v_lshrrev_b32_e32 v113, 16, v18
	s_mov_b32 s7, 0
	s_mov_b32 s23, exec_lo
                                        ; implicit-def: $sgpr22
	s_delay_alu instid0(VALU_DEP_1) | instskip(NEXT) | instid1(VALU_DEP_1)
	v_and_b32_e32 v115, 0xff, v113
	v_cmpx_lt_i16_e32 0x7f, v115
	s_xor_b32 s23, exec_lo, s23
	s_cbranch_execnz .LBB4_2437
; %bb.1944:                             ;   in Loop: Header=BB4_1907 Depth=2
	s_or_saveexec_b32 s23, s23
	v_mov_b32_e32 v114, s22
	s_xor_b32 exec_lo, exec_lo, s23
	s_cbranch_execnz .LBB4_2440
.LBB4_1945:                             ;   in Loop: Header=BB4_1907 Depth=2
	s_or_b32 exec_lo, exec_lo, s23
	s_and_saveexec_b32 s22, s7
	s_cbranch_execz .LBB4_1947
.LBB4_1946:                             ;   in Loop: Header=BB4_1907 Depth=2
	v_bfe_u32 v114, v18, 16, 2
	v_lshlrev_b32_e32 v117, 8, v18
	s_delay_alu instid0(VALU_DEP_2) | instskip(NEXT) | instid1(VALU_DEP_1)
	v_clz_i32_u32_e32 v115, v114
	v_min_u32_e32 v115, 32, v115
	s_delay_alu instid0(VALU_DEP_1) | instskip(SKIP_1) | instid1(VALU_DEP_2)
	v_subrev_nc_u32_e32 v116, 29, v115
	v_sub_nc_u32_e32 v115, 30, v115
	v_lshlrev_b32_e32 v113, v116, v113
	v_bfe_u32 v116, v18, 18, 5
	s_delay_alu instid0(VALU_DEP_2) | instskip(NEXT) | instid1(VALU_DEP_2)
	v_and_b32_e32 v113, 3, v113
	v_cmp_eq_u32_e32 vcc_lo, 0, v116
	v_cndmask_b32_e32 v115, v116, v115, vcc_lo
	s_delay_alu instid0(VALU_DEP_3) | instskip(SKIP_1) | instid1(VALU_DEP_3)
	v_cndmask_b32_e32 v113, v114, v113, vcc_lo
	v_and_b32_e32 v114, 0x80000000, v117
	v_lshl_add_u32 v115, v115, 23, 0x37800000
	s_delay_alu instid0(VALU_DEP_3) | instskip(NEXT) | instid1(VALU_DEP_1)
	v_lshlrev_b32_e32 v113, 21, v113
	v_or3_b32 v114, v114, v115, v113
.LBB4_1947:                             ;   in Loop: Header=BB4_1907 Depth=2
	s_or_b32 exec_lo, exec_lo, s22
	s_delay_alu instid0(VALU_DEP_1) | instskip(NEXT) | instid1(VALU_DEP_1)
	v_mul_f32_e32 v113, v112, v114
	v_and_b32_e32 v112, 0x7f800000, v113
	s_delay_alu instid0(VALU_DEP_1)
	v_cmp_ne_u32_e32 vcc_lo, 0x7f800000, v112
	v_mov_b32_e32 v112, 0x80
	s_and_saveexec_b32 s22, vcc_lo
	s_cbranch_execz .LBB4_1955
; %bb.1948:                             ;   in Loop: Header=BB4_1907 Depth=2
	v_mov_b32_e32 v112, 0
	s_mov_b32 s23, exec_lo
	v_cmpx_ne_u32_e32 0, v113
	s_cbranch_execz .LBB4_1954
; %bb.1949:                             ;   in Loop: Header=BB4_1907 Depth=2
	v_bfe_u32 v112, v113, 23, 8
	s_delay_alu instid0(VALU_DEP_1) | instskip(SKIP_1) | instid1(VALU_DEP_2)
	v_sub_nc_u32_e32 v115, 0x70, v112
	v_cmp_gt_u32_e32 vcc_lo, 0x71, v112
	v_dual_cndmask_b32 v115, 0, v115 :: v_dual_and_b32 v114, 0x7fffff, v113
	s_delay_alu instid0(VALU_DEP_1) | instskip(SKIP_2) | instid1(VALU_DEP_4)
	v_or_b32_e32 v116, 0x800000, v114
	v_cmp_eq_u32_e32 vcc_lo, 0, v112
	v_add_nc_u32_e32 v112, 0xffffff91, v112
	v_cndmask_b32_e64 v115, v115, 0x6f, vcc_lo
	s_delay_alu instid0(VALU_DEP_2) | instskip(SKIP_1) | instid1(VALU_DEP_3)
	v_cndmask_b32_e64 v112, v112, 0xffffff92, vcc_lo
	v_cndmask_b32_e32 v114, v116, v114, vcc_lo
	v_lshl_add_u32 v116, 0x200000, v115, -1
	v_lshlrev_b32_e64 v119, v115, 0x100000
	s_delay_alu instid0(VALU_DEP_3) | instskip(SKIP_1) | instid1(VALU_DEP_4)
	v_lshrrev_b32_e32 v117, v115, v114
	v_add_nc_u32_e32 v115, v115, v112
	v_and_b32_e32 v114, v116, v114
	s_delay_alu instid0(VALU_DEP_3) | instskip(NEXT) | instid1(VALU_DEP_2)
	v_bfe_u32 v118, v117, 21, 1
	v_cmp_eq_u32_e64 s7, v114, v119
	s_delay_alu instid0(VALU_DEP_2) | instskip(NEXT) | instid1(VALU_DEP_1)
	v_add_nc_u32_e32 v116, -1, v118
	v_cndmask_b32_e64 v114, 0, v116, s7
	v_lshrrev_b32_e32 v116, 23, v117
	s_mov_b32 s7, exec_lo
	s_delay_alu instid0(VALU_DEP_2) | instskip(NEXT) | instid1(VALU_DEP_2)
	v_add_nc_u32_e32 v114, v114, v117
	v_xor_b32_e32 v116, 1, v116
	s_delay_alu instid0(VALU_DEP_2) | instskip(NEXT) | instid1(VALU_DEP_1)
	v_and_b32_e32 v112, 0x1fffff, v114
	v_add_nc_u32_e32 v114, v112, v117
                                        ; implicit-def: $vgpr112
	s_delay_alu instid0(VALU_DEP_3)
	v_cmpx_ne_u32_e64 v115, v116
	s_xor_b32 s7, exec_lo, s7
; %bb.1950:                             ;   in Loop: Header=BB4_1907 Depth=2
	s_delay_alu instid0(VALU_DEP_2) | instskip(SKIP_2) | instid1(VALU_DEP_2)
	v_cmp_lt_u32_e32 vcc_lo, 0xffffff, v114
	v_sub_nc_u32_e32 v112, v115, v116
	v_cndmask_b32_e64 v115, 0, 1, vcc_lo
	v_add_co_ci_u32_e32 v112, vcc_lo, 0, v112, vcc_lo
	s_delay_alu instid0(VALU_DEP_2)
	v_lshrrev_b32_e32 v114, v115, v114
; %bb.1951:                             ;   in Loop: Header=BB4_1907 Depth=2
	s_and_not1_saveexec_b32 s7, s7
; %bb.1952:                             ;   in Loop: Header=BB4_1907 Depth=2
	s_delay_alu instid0(VALU_DEP_1)
	v_bfe_u32 v112, v114, 23, 1
; %bb.1953:                             ;   in Loop: Header=BB4_1907 Depth=2
	s_or_b32 exec_lo, exec_lo, s7
	v_lshrrev_b32_e32 v114, 21, v114
	s_delay_alu instid0(VALU_DEP_2) | instskip(SKIP_2) | instid1(VALU_DEP_2)
	v_cmp_gt_i32_e32 vcc_lo, 32, v112
	v_lshrrev_b32_e32 v113, 24, v113
	v_min_i32_e32 v115, 31, v112
	v_dual_cndmask_b32 v114, 3, v114 :: v_dual_and_b32 v113, 0x80, v113
	s_delay_alu instid0(VALU_DEP_1) | instskip(SKIP_1) | instid1(VALU_DEP_2)
	v_or_b32_e32 v112, v112, v114
	v_and_b32_e32 v116, 3, v114
	v_cmp_ne_u32_e32 vcc_lo, 0, v112
	v_lshlrev_b32_e32 v115, 2, v115
	s_delay_alu instid0(VALU_DEP_1) | instskip(NEXT) | instid1(VALU_DEP_1)
	v_or3_b32 v113, v115, v113, v116
	v_cndmask_b32_e32 v112, 0, v113, vcc_lo
.LBB4_1954:                             ;   in Loop: Header=BB4_1907 Depth=2
	s_or_b32 exec_lo, exec_lo, s23
.LBB4_1955:                             ;   in Loop: Header=BB4_1907 Depth=2
	s_delay_alu instid0(SALU_CYCLE_1) | instskip(SKIP_3) | instid1(VALU_DEP_1)
	s_or_b32 exec_lo, exec_lo, s22
	v_lshrrev_b32_e32 v114, 24, v22
	s_mov_b32 s7, 0
	s_mov_b32 s23, exec_lo
                                        ; implicit-def: $sgpr22
	v_cmpx_lt_i16_e32 0x7f, v114
	s_xor_b32 s23, exec_lo, s23
	s_cbranch_execnz .LBB4_2441
; %bb.1956:                             ;   in Loop: Header=BB4_1907 Depth=2
	s_or_saveexec_b32 s23, s23
	v_mov_b32_e32 v113, s22
	s_xor_b32 exec_lo, exec_lo, s23
	s_cbranch_execnz .LBB4_2444
.LBB4_1957:                             ;   in Loop: Header=BB4_1907 Depth=2
	s_or_b32 exec_lo, exec_lo, s23
	s_and_saveexec_b32 s22, s7
	s_cbranch_execz .LBB4_1959
.LBB4_1958:                             ;   in Loop: Header=BB4_1907 Depth=2
	v_bfe_u32 v113, v22, 24, 2
	s_delay_alu instid0(VALU_DEP_1) | instskip(NEXT) | instid1(VALU_DEP_1)
	v_clz_i32_u32_e32 v115, v113
	v_min_u32_e32 v115, 32, v115
	s_delay_alu instid0(VALU_DEP_1) | instskip(SKIP_1) | instid1(VALU_DEP_2)
	v_subrev_nc_u32_e32 v116, 29, v115
	v_sub_nc_u32_e32 v115, 30, v115
	v_lshlrev_b32_e32 v114, v116, v114
	v_bfe_u32 v116, v22, 26, 5
	v_and_b32_e32 v22, 0x80000000, v22
	s_delay_alu instid0(VALU_DEP_2) | instskip(NEXT) | instid1(VALU_DEP_4)
	v_cmp_eq_u32_e32 vcc_lo, 0, v116
	v_dual_cndmask_b32 v115, v116, v115 :: v_dual_and_b32 v114, 3, v114
	s_delay_alu instid0(VALU_DEP_1) | instskip(NEXT) | instid1(VALU_DEP_2)
	v_cndmask_b32_e32 v113, v113, v114, vcc_lo
	v_lshl_add_u32 v114, v115, 23, 0x37800000
	s_delay_alu instid0(VALU_DEP_2) | instskip(NEXT) | instid1(VALU_DEP_1)
	v_lshlrev_b32_e32 v113, 21, v113
	v_or3_b32 v113, v22, v114, v113
.LBB4_1959:                             ;   in Loop: Header=BB4_1907 Depth=2
	s_or_b32 exec_lo, exec_lo, s22
	v_lshrrev_b32_e32 v22, 24, v18
	s_mov_b32 s7, 0
	s_mov_b32 s23, exec_lo
                                        ; implicit-def: $sgpr22
	s_delay_alu instid0(VALU_DEP_1)
	v_cmpx_lt_i16_e32 0x7f, v22
	s_xor_b32 s23, exec_lo, s23
	s_cbranch_execnz .LBB4_2445
; %bb.1960:                             ;   in Loop: Header=BB4_1907 Depth=2
	s_or_saveexec_b32 s23, s23
	v_mov_b32_e32 v114, s22
	s_xor_b32 exec_lo, exec_lo, s23
	s_cbranch_execnz .LBB4_2448
.LBB4_1961:                             ;   in Loop: Header=BB4_1907 Depth=2
	s_or_b32 exec_lo, exec_lo, s23
	s_and_saveexec_b32 s22, s7
	s_cbranch_execz .LBB4_1963
.LBB4_1962:                             ;   in Loop: Header=BB4_1907 Depth=2
	v_bfe_u32 v114, v18, 24, 2
	s_delay_alu instid0(VALU_DEP_1) | instskip(NEXT) | instid1(VALU_DEP_1)
	v_clz_i32_u32_e32 v115, v114
	v_min_u32_e32 v115, 32, v115
	s_delay_alu instid0(VALU_DEP_1) | instskip(SKIP_1) | instid1(VALU_DEP_2)
	v_subrev_nc_u32_e32 v116, 29, v115
	v_sub_nc_u32_e32 v115, 30, v115
	v_lshlrev_b32_e32 v22, v116, v22
	v_bfe_u32 v116, v18, 26, 5
	v_and_b32_e32 v18, 0x80000000, v18
	s_delay_alu instid0(VALU_DEP_2) | instskip(NEXT) | instid1(VALU_DEP_4)
	v_cmp_eq_u32_e32 vcc_lo, 0, v116
	v_dual_cndmask_b32 v115, v116, v115 :: v_dual_and_b32 v22, 3, v22
	s_delay_alu instid0(VALU_DEP_1) | instskip(NEXT) | instid1(VALU_DEP_2)
	v_cndmask_b32_e32 v22, v114, v22, vcc_lo
	v_lshl_add_u32 v114, v115, 23, 0x37800000
	s_delay_alu instid0(VALU_DEP_2) | instskip(NEXT) | instid1(VALU_DEP_1)
	v_lshlrev_b32_e32 v22, 21, v22
	v_or3_b32 v114, v18, v114, v22
.LBB4_1963:                             ;   in Loop: Header=BB4_1907 Depth=2
	s_or_b32 exec_lo, exec_lo, s22
	s_delay_alu instid0(VALU_DEP_1) | instskip(NEXT) | instid1(VALU_DEP_1)
	v_mul_f32_e32 v22, v113, v114
	v_and_b32_e32 v18, 0x7f800000, v22
	s_delay_alu instid0(VALU_DEP_1)
	v_cmp_ne_u32_e32 vcc_lo, 0x7f800000, v18
	v_mov_b32_e32 v18, 0x80
	s_and_saveexec_b32 s22, vcc_lo
	s_cbranch_execz .LBB4_1971
; %bb.1964:                             ;   in Loop: Header=BB4_1907 Depth=2
	v_mov_b32_e32 v18, 0
	s_mov_b32 s23, exec_lo
	v_cmpx_ne_u32_e32 0, v22
	s_cbranch_execz .LBB4_1970
; %bb.1965:                             ;   in Loop: Header=BB4_1907 Depth=2
	v_bfe_u32 v18, v22, 23, 8
	v_and_b32_e32 v113, 0x7fffff, v22
	s_delay_alu instid0(VALU_DEP_2) | instskip(SKIP_1) | instid1(VALU_DEP_3)
	v_sub_nc_u32_e32 v114, 0x70, v18
	v_cmp_gt_u32_e32 vcc_lo, 0x71, v18
	v_or_b32_e32 v115, 0x800000, v113
	s_delay_alu instid0(VALU_DEP_3) | instskip(SKIP_1) | instid1(VALU_DEP_3)
	v_cndmask_b32_e32 v114, 0, v114, vcc_lo
	v_cmp_eq_u32_e32 vcc_lo, 0, v18
	v_dual_cndmask_b32 v113, v115, v113 :: v_dual_add_nc_u32 v18, 0xffffff91, v18
	s_delay_alu instid0(VALU_DEP_3) | instskip(NEXT) | instid1(VALU_DEP_2)
	v_cndmask_b32_e64 v114, v114, 0x6f, vcc_lo
	v_cndmask_b32_e64 v18, v18, 0xffffff92, vcc_lo
	s_delay_alu instid0(VALU_DEP_2) | instskip(SKIP_2) | instid1(VALU_DEP_4)
	v_lshrrev_b32_e32 v116, v114, v113
	v_lshl_add_u32 v115, 0x200000, v114, -1
	v_lshlrev_b32_e64 v118, v114, 0x100000
	v_add_nc_u32_e32 v114, v114, v18
	s_delay_alu instid0(VALU_DEP_4) | instskip(NEXT) | instid1(VALU_DEP_4)
	v_bfe_u32 v117, v116, 21, 1
	v_and_b32_e32 v113, v115, v113
	s_delay_alu instid0(VALU_DEP_2) | instskip(NEXT) | instid1(VALU_DEP_2)
	v_add_nc_u32_e32 v115, -1, v117
	v_cmp_eq_u32_e64 s7, v113, v118
	s_delay_alu instid0(VALU_DEP_1) | instskip(SKIP_2) | instid1(VALU_DEP_2)
	v_cndmask_b32_e64 v113, 0, v115, s7
	v_lshrrev_b32_e32 v115, 23, v116
	s_mov_b32 s7, exec_lo
	v_add_nc_u32_e32 v113, v113, v116
	s_delay_alu instid0(VALU_DEP_2) | instskip(NEXT) | instid1(VALU_DEP_2)
	v_xor_b32_e32 v115, 1, v115
	v_and_b32_e32 v18, 0x1fffff, v113
	s_delay_alu instid0(VALU_DEP_1) | instskip(NEXT) | instid1(VALU_DEP_3)
	v_add_nc_u32_e32 v113, v18, v116
                                        ; implicit-def: $vgpr18
	v_cmpx_ne_u32_e64 v114, v115
	s_xor_b32 s7, exec_lo, s7
; %bb.1966:                             ;   in Loop: Header=BB4_1907 Depth=2
	s_delay_alu instid0(VALU_DEP_2) | instskip(SKIP_2) | instid1(VALU_DEP_2)
	v_cmp_lt_u32_e32 vcc_lo, 0xffffff, v113
	v_sub_nc_u32_e32 v18, v114, v115
	v_cndmask_b32_e64 v114, 0, 1, vcc_lo
	v_add_co_ci_u32_e32 v18, vcc_lo, 0, v18, vcc_lo
	s_delay_alu instid0(VALU_DEP_2)
	v_lshrrev_b32_e32 v113, v114, v113
; %bb.1967:                             ;   in Loop: Header=BB4_1907 Depth=2
	s_and_not1_saveexec_b32 s7, s7
; %bb.1968:                             ;   in Loop: Header=BB4_1907 Depth=2
	s_delay_alu instid0(VALU_DEP_1)
	v_bfe_u32 v18, v113, 23, 1
; %bb.1969:                             ;   in Loop: Header=BB4_1907 Depth=2
	s_or_b32 exec_lo, exec_lo, s7
	v_lshrrev_b32_e32 v113, 21, v113
	s_delay_alu instid0(VALU_DEP_2) | instskip(SKIP_2) | instid1(VALU_DEP_2)
	v_cmp_gt_i32_e32 vcc_lo, 32, v18
	v_lshrrev_b32_e32 v22, 24, v22
	v_min_i32_e32 v114, 31, v18
	v_dual_cndmask_b32 v113, 3, v113 :: v_dual_and_b32 v22, 0x80, v22
	s_delay_alu instid0(VALU_DEP_2) | instskip(NEXT) | instid1(VALU_DEP_2)
	v_lshlrev_b32_e32 v114, 2, v114
	v_or_b32_e32 v18, v18, v113
	s_delay_alu instid0(VALU_DEP_1) | instskip(SKIP_1) | instid1(VALU_DEP_1)
	v_cmp_ne_u32_e32 vcc_lo, 0, v18
	v_and_b32_e32 v115, 3, v113
	v_or3_b32 v22, v114, v22, v115
	s_delay_alu instid0(VALU_DEP_1)
	v_cndmask_b32_e32 v18, 0, v22, vcc_lo
.LBB4_1970:                             ;   in Loop: Header=BB4_1907 Depth=2
	s_or_b32 exec_lo, exec_lo, s23
.LBB4_1971:                             ;   in Loop: Header=BB4_1907 Depth=2
	s_delay_alu instid0(SALU_CYCLE_1) | instskip(SKIP_3) | instid1(VALU_DEP_1)
	s_or_b32 exec_lo, exec_lo, s22
	v_and_b32_e32 v113, 0xff, v23
	s_mov_b32 s7, 0
	s_mov_b32 s23, exec_lo
                                        ; implicit-def: $sgpr22
	v_cmpx_lt_i16_e32 0x7f, v113
	s_xor_b32 s23, exec_lo, s23
	s_cbranch_execnz .LBB4_2449
; %bb.1972:                             ;   in Loop: Header=BB4_1907 Depth=2
	s_or_saveexec_b32 s23, s23
	v_mov_b32_e32 v22, s22
	s_xor_b32 exec_lo, exec_lo, s23
	s_cbranch_execnz .LBB4_2452
.LBB4_1973:                             ;   in Loop: Header=BB4_1907 Depth=2
	s_or_b32 exec_lo, exec_lo, s23
	s_and_saveexec_b32 s22, s7
	s_cbranch_execz .LBB4_1975
.LBB4_1974:                             ;   in Loop: Header=BB4_1907 Depth=2
	v_bfe_u32 v115, v23, 2, 5
	v_lshlrev_b32_e32 v116, 24, v23
	s_delay_alu instid0(VALU_DEP_2) | instskip(SKIP_1) | instid1(VALU_DEP_1)
	v_cmp_eq_u32_e32 vcc_lo, 0, v115
	v_and_b32_e32 v22, 3, v23
	v_clz_i32_u32_e32 v113, v22
	s_delay_alu instid0(VALU_DEP_1) | instskip(NEXT) | instid1(VALU_DEP_1)
	v_min_u32_e32 v113, 32, v113
	v_subrev_nc_u32_e32 v114, 29, v113
	v_sub_nc_u32_e32 v113, 30, v113
	s_delay_alu instid0(VALU_DEP_1) | instskip(NEXT) | instid1(VALU_DEP_1)
	v_dual_cndmask_b32 v113, v115, v113 :: v_dual_lshlrev_b32 v114, v114, v23
	v_and_b32_e32 v114, 3, v114
	s_delay_alu instid0(VALU_DEP_2) | instskip(NEXT) | instid1(VALU_DEP_2)
	v_lshl_add_u32 v113, v113, 23, 0x37800000
	v_cndmask_b32_e32 v22, v22, v114, vcc_lo
	v_and_b32_e32 v114, 0x80000000, v116
	s_delay_alu instid0(VALU_DEP_2) | instskip(NEXT) | instid1(VALU_DEP_1)
	v_lshlrev_b32_e32 v22, 21, v22
	v_or3_b32 v22, v114, v113, v22
.LBB4_1975:                             ;   in Loop: Header=BB4_1907 Depth=2
	s_or_b32 exec_lo, exec_lo, s22
	v_and_b32_e32 v114, 0xff, v19
	s_mov_b32 s7, 0
	s_mov_b32 s23, exec_lo
                                        ; implicit-def: $sgpr22
	s_delay_alu instid0(VALU_DEP_1)
	v_cmpx_lt_i16_e32 0x7f, v114
	s_xor_b32 s23, exec_lo, s23
	s_cbranch_execnz .LBB4_2453
; %bb.1976:                             ;   in Loop: Header=BB4_1907 Depth=2
	s_or_saveexec_b32 s23, s23
	v_mov_b32_e32 v113, s22
	s_xor_b32 exec_lo, exec_lo, s23
	s_cbranch_execnz .LBB4_2456
.LBB4_1977:                             ;   in Loop: Header=BB4_1907 Depth=2
	s_or_b32 exec_lo, exec_lo, s23
	s_and_saveexec_b32 s22, s7
	s_cbranch_execz .LBB4_1979
.LBB4_1978:                             ;   in Loop: Header=BB4_1907 Depth=2
	v_bfe_u32 v116, v19, 2, 5
	v_lshlrev_b32_e32 v117, 24, v19
	s_delay_alu instid0(VALU_DEP_2) | instskip(SKIP_1) | instid1(VALU_DEP_1)
	v_cmp_eq_u32_e32 vcc_lo, 0, v116
	v_and_b32_e32 v113, 3, v19
	v_clz_i32_u32_e32 v114, v113
	s_delay_alu instid0(VALU_DEP_1) | instskip(NEXT) | instid1(VALU_DEP_1)
	v_min_u32_e32 v114, 32, v114
	v_subrev_nc_u32_e32 v115, 29, v114
	v_sub_nc_u32_e32 v114, 30, v114
	s_delay_alu instid0(VALU_DEP_1) | instskip(NEXT) | instid1(VALU_DEP_1)
	v_dual_cndmask_b32 v114, v116, v114 :: v_dual_lshlrev_b32 v115, v115, v19
	v_and_b32_e32 v115, 3, v115
	s_delay_alu instid0(VALU_DEP_2) | instskip(NEXT) | instid1(VALU_DEP_2)
	v_lshl_add_u32 v114, v114, 23, 0x37800000
	v_cndmask_b32_e32 v113, v113, v115, vcc_lo
	v_and_b32_e32 v115, 0x80000000, v117
	s_delay_alu instid0(VALU_DEP_2) | instskip(NEXT) | instid1(VALU_DEP_1)
	v_lshlrev_b32_e32 v113, 21, v113
	v_or3_b32 v113, v115, v114, v113
.LBB4_1979:                             ;   in Loop: Header=BB4_1907 Depth=2
	s_or_b32 exec_lo, exec_lo, s22
	s_delay_alu instid0(VALU_DEP_1) | instskip(NEXT) | instid1(VALU_DEP_1)
	v_mul_f32_e32 v113, v22, v113
	v_and_b32_e32 v22, 0x7f800000, v113
	s_delay_alu instid0(VALU_DEP_1)
	v_cmp_ne_u32_e32 vcc_lo, 0x7f800000, v22
	v_mov_b32_e32 v22, 0x80
	s_and_saveexec_b32 s22, vcc_lo
	s_cbranch_execz .LBB4_1987
; %bb.1980:                             ;   in Loop: Header=BB4_1907 Depth=2
	v_mov_b32_e32 v22, 0
	s_mov_b32 s23, exec_lo
	v_cmpx_ne_u32_e32 0, v113
	s_cbranch_execz .LBB4_1986
; %bb.1981:                             ;   in Loop: Header=BB4_1907 Depth=2
	v_bfe_u32 v22, v113, 23, 8
	s_delay_alu instid0(VALU_DEP_1) | instskip(SKIP_1) | instid1(VALU_DEP_2)
	v_sub_nc_u32_e32 v115, 0x70, v22
	v_cmp_gt_u32_e32 vcc_lo, 0x71, v22
	v_dual_cndmask_b32 v115, 0, v115 :: v_dual_and_b32 v114, 0x7fffff, v113
	s_delay_alu instid0(VALU_DEP_1) | instskip(SKIP_2) | instid1(VALU_DEP_4)
	v_or_b32_e32 v116, 0x800000, v114
	v_cmp_eq_u32_e32 vcc_lo, 0, v22
	v_add_nc_u32_e32 v22, 0xffffff91, v22
	v_cndmask_b32_e64 v115, v115, 0x6f, vcc_lo
	s_delay_alu instid0(VALU_DEP_4) | instskip(NEXT) | instid1(VALU_DEP_3)
	v_cndmask_b32_e32 v114, v116, v114, vcc_lo
	v_cndmask_b32_e64 v22, v22, 0xffffff92, vcc_lo
	s_delay_alu instid0(VALU_DEP_3) | instskip(NEXT) | instid1(VALU_DEP_3)
	v_lshl_add_u32 v116, 0x200000, v115, -1
	v_lshrrev_b32_e32 v117, v115, v114
	v_lshlrev_b32_e64 v119, v115, 0x100000
	s_delay_alu instid0(VALU_DEP_4) | instskip(NEXT) | instid1(VALU_DEP_4)
	v_add_nc_u32_e32 v115, v115, v22
	v_and_b32_e32 v114, v116, v114
	s_delay_alu instid0(VALU_DEP_4) | instskip(NEXT) | instid1(VALU_DEP_2)
	v_bfe_u32 v118, v117, 21, 1
	v_cmp_eq_u32_e64 s7, v114, v119
	s_delay_alu instid0(VALU_DEP_2) | instskip(NEXT) | instid1(VALU_DEP_1)
	v_add_nc_u32_e32 v116, -1, v118
	v_cndmask_b32_e64 v114, 0, v116, s7
	v_lshrrev_b32_e32 v116, 23, v117
	s_mov_b32 s7, exec_lo
	s_delay_alu instid0(VALU_DEP_2) | instskip(NEXT) | instid1(VALU_DEP_2)
	v_add_nc_u32_e32 v114, v114, v117
	v_xor_b32_e32 v116, 1, v116
	s_delay_alu instid0(VALU_DEP_2) | instskip(NEXT) | instid1(VALU_DEP_1)
	v_and_b32_e32 v22, 0x1fffff, v114
	v_add_nc_u32_e32 v114, v22, v117
                                        ; implicit-def: $vgpr22
	s_delay_alu instid0(VALU_DEP_3)
	v_cmpx_ne_u32_e64 v115, v116
	s_xor_b32 s7, exec_lo, s7
; %bb.1982:                             ;   in Loop: Header=BB4_1907 Depth=2
	s_delay_alu instid0(VALU_DEP_2) | instskip(SKIP_2) | instid1(VALU_DEP_2)
	v_cmp_lt_u32_e32 vcc_lo, 0xffffff, v114
	v_sub_nc_u32_e32 v22, v115, v116
	v_cndmask_b32_e64 v115, 0, 1, vcc_lo
	v_add_co_ci_u32_e32 v22, vcc_lo, 0, v22, vcc_lo
	s_delay_alu instid0(VALU_DEP_2)
	v_lshrrev_b32_e32 v114, v115, v114
; %bb.1983:                             ;   in Loop: Header=BB4_1907 Depth=2
	s_and_not1_saveexec_b32 s7, s7
; %bb.1984:                             ;   in Loop: Header=BB4_1907 Depth=2
	s_delay_alu instid0(VALU_DEP_1)
	v_bfe_u32 v22, v114, 23, 1
; %bb.1985:                             ;   in Loop: Header=BB4_1907 Depth=2
	s_or_b32 exec_lo, exec_lo, s7
	v_lshrrev_b32_e32 v114, 21, v114
	s_delay_alu instid0(VALU_DEP_2) | instskip(SKIP_2) | instid1(VALU_DEP_2)
	v_cmp_gt_i32_e32 vcc_lo, 32, v22
	v_lshrrev_b32_e32 v113, 24, v113
	v_min_i32_e32 v115, 31, v22
	v_dual_cndmask_b32 v114, 3, v114 :: v_dual_and_b32 v113, 0x80, v113
	s_delay_alu instid0(VALU_DEP_1) | instskip(SKIP_1) | instid1(VALU_DEP_2)
	v_or_b32_e32 v22, v22, v114
	v_and_b32_e32 v116, 3, v114
	v_cmp_ne_u32_e32 vcc_lo, 0, v22
	v_lshlrev_b32_e32 v115, 2, v115
	s_delay_alu instid0(VALU_DEP_1) | instskip(NEXT) | instid1(VALU_DEP_1)
	v_or3_b32 v113, v115, v113, v116
	v_cndmask_b32_e32 v22, 0, v113, vcc_lo
.LBB4_1986:                             ;   in Loop: Header=BB4_1907 Depth=2
	s_or_b32 exec_lo, exec_lo, s23
.LBB4_1987:                             ;   in Loop: Header=BB4_1907 Depth=2
	s_delay_alu instid0(SALU_CYCLE_1) | instskip(SKIP_3) | instid1(VALU_DEP_1)
	s_or_b32 exec_lo, exec_lo, s22
	v_lshrrev_b16 v114, 8, v23
	s_mov_b32 s7, 0
	s_mov_b32 s23, exec_lo
                                        ; implicit-def: $sgpr22
	v_cmpx_lt_i16_e32 0x7f, v114
	s_xor_b32 s23, exec_lo, s23
	s_cbranch_execnz .LBB4_2457
; %bb.1988:                             ;   in Loop: Header=BB4_1907 Depth=2
	s_or_saveexec_b32 s23, s23
	v_mov_b32_e32 v113, s22
	s_xor_b32 exec_lo, exec_lo, s23
	s_cbranch_execnz .LBB4_2460
.LBB4_1989:                             ;   in Loop: Header=BB4_1907 Depth=2
	s_or_b32 exec_lo, exec_lo, s23
	s_and_saveexec_b32 s22, s7
	s_cbranch_execz .LBB4_1991
.LBB4_1990:                             ;   in Loop: Header=BB4_1907 Depth=2
	v_and_b32_e32 v113, 0xffff, v114
	s_delay_alu instid0(VALU_DEP_1) | instskip(NEXT) | instid1(VALU_DEP_1)
	v_and_b32_e32 v115, 3, v113
	v_clz_i32_u32_e32 v116, v115
	s_delay_alu instid0(VALU_DEP_1) | instskip(NEXT) | instid1(VALU_DEP_1)
	v_min_u32_e32 v116, 32, v116
	v_subrev_nc_u32_e32 v117, 29, v116
	v_sub_nc_u32_e32 v116, 30, v116
	s_delay_alu instid0(VALU_DEP_2) | instskip(SKIP_1) | instid1(VALU_DEP_2)
	v_lshlrev_b32_e32 v117, v117, v113
	v_bfe_u32 v113, v113, 2, 5
	v_and_b32_e32 v117, 3, v117
	s_delay_alu instid0(VALU_DEP_2) | instskip(SKIP_1) | instid1(VALU_DEP_1)
	v_cmp_eq_u32_e32 vcc_lo, 0, v113
	v_dual_cndmask_b32 v113, v113, v116 :: v_dual_lshlrev_b32 v114, 24, v114
	v_dual_cndmask_b32 v115, v115, v117 :: v_dual_and_b32 v114, 0x80000000, v114
	s_delay_alu instid0(VALU_DEP_2) | instskip(NEXT) | instid1(VALU_DEP_2)
	v_lshl_add_u32 v113, v113, 23, 0x37800000
	v_lshlrev_b32_e32 v115, 21, v115
	s_delay_alu instid0(VALU_DEP_1)
	v_or3_b32 v113, v114, v113, v115
.LBB4_1991:                             ;   in Loop: Header=BB4_1907 Depth=2
	s_or_b32 exec_lo, exec_lo, s22
	v_lshrrev_b16 v114, 8, v19
	s_mov_b32 s7, 0
	s_mov_b32 s23, exec_lo
                                        ; implicit-def: $sgpr22
	s_delay_alu instid0(VALU_DEP_1)
	v_cmpx_lt_i16_e32 0x7f, v114
	s_xor_b32 s23, exec_lo, s23
	s_cbranch_execnz .LBB4_2461
; %bb.1992:                             ;   in Loop: Header=BB4_1907 Depth=2
	s_or_saveexec_b32 s23, s23
	v_mov_b32_e32 v115, s22
	s_xor_b32 exec_lo, exec_lo, s23
	s_cbranch_execnz .LBB4_2464
.LBB4_1993:                             ;   in Loop: Header=BB4_1907 Depth=2
	s_or_b32 exec_lo, exec_lo, s23
	s_and_saveexec_b32 s22, s7
	s_cbranch_execz .LBB4_1995
.LBB4_1994:                             ;   in Loop: Header=BB4_1907 Depth=2
	v_and_b32_e32 v115, 0xffff, v114
	v_lshlrev_b32_e32 v114, 24, v114
	s_delay_alu instid0(VALU_DEP_2) | instskip(NEXT) | instid1(VALU_DEP_2)
	v_and_b32_e32 v116, 3, v115
	v_and_b32_e32 v114, 0x80000000, v114
	s_delay_alu instid0(VALU_DEP_2) | instskip(NEXT) | instid1(VALU_DEP_1)
	v_clz_i32_u32_e32 v117, v116
	v_min_u32_e32 v117, 32, v117
	s_delay_alu instid0(VALU_DEP_1) | instskip(SKIP_1) | instid1(VALU_DEP_2)
	v_subrev_nc_u32_e32 v118, 29, v117
	v_sub_nc_u32_e32 v117, 30, v117
	v_lshlrev_b32_e32 v118, v118, v115
	v_bfe_u32 v115, v115, 2, 5
	s_delay_alu instid0(VALU_DEP_2) | instskip(NEXT) | instid1(VALU_DEP_2)
	v_and_b32_e32 v118, 3, v118
	v_cmp_eq_u32_e32 vcc_lo, 0, v115
	s_delay_alu instid0(VALU_DEP_2) | instskip(NEXT) | instid1(VALU_DEP_1)
	v_dual_cndmask_b32 v115, v115, v117 :: v_dual_cndmask_b32 v116, v116, v118
	v_lshl_add_u32 v115, v115, 23, 0x37800000
	s_delay_alu instid0(VALU_DEP_2) | instskip(NEXT) | instid1(VALU_DEP_1)
	v_lshlrev_b32_e32 v116, 21, v116
	v_or3_b32 v115, v114, v115, v116
.LBB4_1995:                             ;   in Loop: Header=BB4_1907 Depth=2
	s_or_b32 exec_lo, exec_lo, s22
	s_delay_alu instid0(VALU_DEP_1) | instskip(NEXT) | instid1(VALU_DEP_1)
	v_mul_f32_e32 v114, v113, v115
	v_and_b32_e32 v113, 0x7f800000, v114
	s_delay_alu instid0(VALU_DEP_1)
	v_cmp_ne_u32_e32 vcc_lo, 0x7f800000, v113
	v_mov_b32_e32 v113, 0x8000
	s_and_saveexec_b32 s22, vcc_lo
	s_cbranch_execz .LBB4_2003
; %bb.1996:                             ;   in Loop: Header=BB4_1907 Depth=2
	v_mov_b32_e32 v113, 0
	s_mov_b32 s23, exec_lo
	v_cmpx_ne_u32_e32 0, v114
	s_cbranch_execz .LBB4_2002
; %bb.1997:                             ;   in Loop: Header=BB4_1907 Depth=2
	v_bfe_u32 v113, v114, 23, 8
	s_delay_alu instid0(VALU_DEP_1) | instskip(SKIP_1) | instid1(VALU_DEP_2)
	v_sub_nc_u32_e32 v116, 0x70, v113
	v_cmp_gt_u32_e32 vcc_lo, 0x71, v113
	v_dual_cndmask_b32 v116, 0, v116 :: v_dual_and_b32 v115, 0x7fffff, v114
	s_delay_alu instid0(VALU_DEP_1) | instskip(SKIP_2) | instid1(VALU_DEP_4)
	v_or_b32_e32 v117, 0x800000, v115
	v_cmp_eq_u32_e32 vcc_lo, 0, v113
	v_add_nc_u32_e32 v113, 0xffffff91, v113
	v_cndmask_b32_e64 v116, v116, 0x6f, vcc_lo
	s_delay_alu instid0(VALU_DEP_2) | instskip(SKIP_1) | instid1(VALU_DEP_3)
	v_cndmask_b32_e64 v113, v113, 0xffffff92, vcc_lo
	v_cndmask_b32_e32 v115, v117, v115, vcc_lo
	v_lshl_add_u32 v117, 0x200000, v116, -1
	v_lshlrev_b32_e64 v128, v116, 0x100000
	s_delay_alu instid0(VALU_DEP_3) | instskip(SKIP_1) | instid1(VALU_DEP_4)
	v_lshrrev_b32_e32 v118, v116, v115
	v_add_nc_u32_e32 v116, v116, v113
	v_and_b32_e32 v115, v117, v115
	s_delay_alu instid0(VALU_DEP_3) | instskip(NEXT) | instid1(VALU_DEP_2)
	v_bfe_u32 v119, v118, 21, 1
	v_cmp_eq_u32_e64 s7, v115, v128
	s_delay_alu instid0(VALU_DEP_2) | instskip(NEXT) | instid1(VALU_DEP_1)
	v_add_nc_u32_e32 v117, -1, v119
	v_cndmask_b32_e64 v115, 0, v117, s7
	v_lshrrev_b32_e32 v117, 23, v118
	s_mov_b32 s7, exec_lo
	s_delay_alu instid0(VALU_DEP_2) | instskip(NEXT) | instid1(VALU_DEP_2)
	v_add_nc_u32_e32 v115, v115, v118
	v_xor_b32_e32 v117, 1, v117
	s_delay_alu instid0(VALU_DEP_2) | instskip(NEXT) | instid1(VALU_DEP_1)
	v_and_b32_e32 v113, 0x1fffff, v115
	v_add_nc_u32_e32 v115, v113, v118
                                        ; implicit-def: $vgpr113
	s_delay_alu instid0(VALU_DEP_3)
	v_cmpx_ne_u32_e64 v116, v117
	s_xor_b32 s7, exec_lo, s7
; %bb.1998:                             ;   in Loop: Header=BB4_1907 Depth=2
	s_delay_alu instid0(VALU_DEP_2) | instskip(SKIP_2) | instid1(VALU_DEP_2)
	v_cmp_lt_u32_e32 vcc_lo, 0xffffff, v115
	v_sub_nc_u32_e32 v113, v116, v117
	v_cndmask_b32_e64 v116, 0, 1, vcc_lo
	v_add_co_ci_u32_e32 v113, vcc_lo, 0, v113, vcc_lo
	s_delay_alu instid0(VALU_DEP_2)
	v_lshrrev_b32_e32 v115, v116, v115
; %bb.1999:                             ;   in Loop: Header=BB4_1907 Depth=2
	s_and_not1_saveexec_b32 s7, s7
; %bb.2000:                             ;   in Loop: Header=BB4_1907 Depth=2
	s_delay_alu instid0(VALU_DEP_1)
	v_bfe_u32 v113, v115, 23, 1
; %bb.2001:                             ;   in Loop: Header=BB4_1907 Depth=2
	s_or_b32 exec_lo, exec_lo, s7
	v_lshrrev_b32_e32 v115, 21, v115
	s_delay_alu instid0(VALU_DEP_2) | instskip(SKIP_2) | instid1(VALU_DEP_2)
	v_cmp_gt_i32_e32 vcc_lo, 32, v113
	v_min_i32_e32 v116, 31, v113
	v_lshrrev_b32_e32 v114, 24, v114
	v_dual_cndmask_b32 v115, 3, v115 :: v_dual_lshlrev_b32 v116, 2, v116
	s_delay_alu instid0(VALU_DEP_2) | instskip(NEXT) | instid1(VALU_DEP_2)
	v_and_b32_e32 v114, 0x80, v114
	v_or_b32_e32 v113, v113, v115
	v_and_b32_e32 v117, 3, v115
	s_delay_alu instid0(VALU_DEP_2) | instskip(SKIP_1) | instid1(VALU_DEP_1)
	v_cmp_ne_u32_e32 vcc_lo, 0, v113
	v_and_b32_e32 v116, 0xfc, v116
	v_or3_b32 v114, v114, v116, v117
	s_delay_alu instid0(VALU_DEP_1) | instskip(NEXT) | instid1(VALU_DEP_1)
	v_lshlrev_b32_e32 v114, 8, v114
	v_cndmask_b32_e32 v113, 0, v114, vcc_lo
.LBB4_2002:                             ;   in Loop: Header=BB4_1907 Depth=2
	s_or_b32 exec_lo, exec_lo, s23
.LBB4_2003:                             ;   in Loop: Header=BB4_1907 Depth=2
	s_delay_alu instid0(SALU_CYCLE_1) | instskip(SKIP_3) | instid1(VALU_DEP_1)
	s_or_b32 exec_lo, exec_lo, s22
	v_lshrrev_b32_e32 v115, 16, v23
	s_mov_b32 s7, 0
	s_mov_b32 s23, exec_lo
                                        ; implicit-def: $sgpr22
	v_and_b32_e32 v116, 0xff, v115
	s_delay_alu instid0(VALU_DEP_1)
	v_cmpx_lt_i16_e32 0x7f, v116
	s_xor_b32 s23, exec_lo, s23
	s_cbranch_execnz .LBB4_2465
; %bb.2004:                             ;   in Loop: Header=BB4_1907 Depth=2
	s_or_saveexec_b32 s23, s23
	v_mov_b32_e32 v114, s22
	s_xor_b32 exec_lo, exec_lo, s23
	s_cbranch_execnz .LBB4_2468
.LBB4_2005:                             ;   in Loop: Header=BB4_1907 Depth=2
	s_or_b32 exec_lo, exec_lo, s23
	s_and_saveexec_b32 s22, s7
	s_cbranch_execz .LBB4_2007
.LBB4_2006:                             ;   in Loop: Header=BB4_1907 Depth=2
	v_bfe_u32 v114, v23, 16, 2
	v_lshlrev_b32_e32 v118, 8, v23
	s_delay_alu instid0(VALU_DEP_2) | instskip(NEXT) | instid1(VALU_DEP_1)
	v_clz_i32_u32_e32 v116, v114
	v_min_u32_e32 v116, 32, v116
	s_delay_alu instid0(VALU_DEP_1) | instskip(SKIP_1) | instid1(VALU_DEP_2)
	v_subrev_nc_u32_e32 v117, 29, v116
	v_sub_nc_u32_e32 v116, 30, v116
	v_lshlrev_b32_e32 v115, v117, v115
	v_bfe_u32 v117, v23, 18, 5
	s_delay_alu instid0(VALU_DEP_1) | instskip(NEXT) | instid1(VALU_DEP_3)
	v_cmp_eq_u32_e32 vcc_lo, 0, v117
	v_dual_cndmask_b32 v116, v117, v116 :: v_dual_and_b32 v115, 3, v115
	s_delay_alu instid0(VALU_DEP_1) | instskip(NEXT) | instid1(VALU_DEP_2)
	v_dual_cndmask_b32 v114, v114, v115 :: v_dual_and_b32 v115, 0x80000000, v118
	v_lshl_add_u32 v116, v116, 23, 0x37800000
	s_delay_alu instid0(VALU_DEP_2) | instskip(NEXT) | instid1(VALU_DEP_1)
	v_lshlrev_b32_e32 v114, 21, v114
	v_or3_b32 v114, v115, v116, v114
.LBB4_2007:                             ;   in Loop: Header=BB4_1907 Depth=2
	s_or_b32 exec_lo, exec_lo, s22
	v_lshrrev_b32_e32 v115, 16, v19
	s_mov_b32 s7, 0
	s_mov_b32 s23, exec_lo
                                        ; implicit-def: $sgpr22
	s_delay_alu instid0(VALU_DEP_1) | instskip(NEXT) | instid1(VALU_DEP_1)
	v_and_b32_e32 v117, 0xff, v115
	v_cmpx_lt_i16_e32 0x7f, v117
	s_xor_b32 s23, exec_lo, s23
	s_cbranch_execnz .LBB4_2469
; %bb.2008:                             ;   in Loop: Header=BB4_1907 Depth=2
	s_or_saveexec_b32 s23, s23
	v_mov_b32_e32 v116, s22
	s_xor_b32 exec_lo, exec_lo, s23
	s_cbranch_execnz .LBB4_2472
.LBB4_2009:                             ;   in Loop: Header=BB4_1907 Depth=2
	s_or_b32 exec_lo, exec_lo, s23
	s_and_saveexec_b32 s22, s7
	s_cbranch_execz .LBB4_2011
.LBB4_2010:                             ;   in Loop: Header=BB4_1907 Depth=2
	v_bfe_u32 v116, v19, 16, 2
	v_lshlrev_b32_e32 v119, 8, v19
	s_delay_alu instid0(VALU_DEP_2) | instskip(NEXT) | instid1(VALU_DEP_1)
	v_clz_i32_u32_e32 v117, v116
	v_min_u32_e32 v117, 32, v117
	s_delay_alu instid0(VALU_DEP_1) | instskip(SKIP_1) | instid1(VALU_DEP_2)
	v_subrev_nc_u32_e32 v118, 29, v117
	v_sub_nc_u32_e32 v117, 30, v117
	v_lshlrev_b32_e32 v115, v118, v115
	v_bfe_u32 v118, v19, 18, 5
	s_delay_alu instid0(VALU_DEP_2) | instskip(NEXT) | instid1(VALU_DEP_2)
	v_and_b32_e32 v115, 3, v115
	v_cmp_eq_u32_e32 vcc_lo, 0, v118
	v_cndmask_b32_e32 v117, v118, v117, vcc_lo
	s_delay_alu instid0(VALU_DEP_3) | instskip(SKIP_1) | instid1(VALU_DEP_3)
	v_cndmask_b32_e32 v115, v116, v115, vcc_lo
	v_and_b32_e32 v116, 0x80000000, v119
	v_lshl_add_u32 v117, v117, 23, 0x37800000
	s_delay_alu instid0(VALU_DEP_3) | instskip(NEXT) | instid1(VALU_DEP_1)
	v_lshlrev_b32_e32 v115, 21, v115
	v_or3_b32 v116, v116, v117, v115
.LBB4_2011:                             ;   in Loop: Header=BB4_1907 Depth=2
	s_or_b32 exec_lo, exec_lo, s22
	s_delay_alu instid0(VALU_DEP_1) | instskip(NEXT) | instid1(VALU_DEP_1)
	v_mul_f32_e32 v115, v114, v116
	v_and_b32_e32 v114, 0x7f800000, v115
	s_delay_alu instid0(VALU_DEP_1)
	v_cmp_ne_u32_e32 vcc_lo, 0x7f800000, v114
	v_mov_b32_e32 v114, 0x80
	s_and_saveexec_b32 s22, vcc_lo
	s_cbranch_execz .LBB4_2019
; %bb.2012:                             ;   in Loop: Header=BB4_1907 Depth=2
	v_mov_b32_e32 v114, 0
	s_mov_b32 s23, exec_lo
	v_cmpx_ne_u32_e32 0, v115
	s_cbranch_execz .LBB4_2018
; %bb.2013:                             ;   in Loop: Header=BB4_1907 Depth=2
	v_bfe_u32 v114, v115, 23, 8
	s_delay_alu instid0(VALU_DEP_1) | instskip(SKIP_1) | instid1(VALU_DEP_2)
	v_sub_nc_u32_e32 v117, 0x70, v114
	v_cmp_gt_u32_e32 vcc_lo, 0x71, v114
	v_dual_cndmask_b32 v117, 0, v117 :: v_dual_and_b32 v116, 0x7fffff, v115
	s_delay_alu instid0(VALU_DEP_1) | instskip(SKIP_2) | instid1(VALU_DEP_4)
	v_or_b32_e32 v118, 0x800000, v116
	v_cmp_eq_u32_e32 vcc_lo, 0, v114
	v_add_nc_u32_e32 v114, 0xffffff91, v114
	v_cndmask_b32_e64 v117, v117, 0x6f, vcc_lo
	s_delay_alu instid0(VALU_DEP_2) | instskip(SKIP_1) | instid1(VALU_DEP_3)
	v_cndmask_b32_e64 v114, v114, 0xffffff92, vcc_lo
	v_cndmask_b32_e32 v116, v118, v116, vcc_lo
	v_lshl_add_u32 v118, 0x200000, v117, -1
	v_lshlrev_b32_e64 v129, v117, 0x100000
	s_delay_alu instid0(VALU_DEP_3) | instskip(SKIP_1) | instid1(VALU_DEP_4)
	v_lshrrev_b32_e32 v119, v117, v116
	v_add_nc_u32_e32 v117, v117, v114
	v_and_b32_e32 v116, v118, v116
	s_delay_alu instid0(VALU_DEP_3) | instskip(NEXT) | instid1(VALU_DEP_2)
	v_bfe_u32 v128, v119, 21, 1
	v_cmp_eq_u32_e64 s7, v116, v129
	s_delay_alu instid0(VALU_DEP_2) | instskip(NEXT) | instid1(VALU_DEP_1)
	v_add_nc_u32_e32 v118, -1, v128
	v_cndmask_b32_e64 v116, 0, v118, s7
	v_lshrrev_b32_e32 v118, 23, v119
	s_mov_b32 s7, exec_lo
	s_delay_alu instid0(VALU_DEP_2) | instskip(NEXT) | instid1(VALU_DEP_2)
	v_add_nc_u32_e32 v116, v116, v119
	v_xor_b32_e32 v118, 1, v118
	s_delay_alu instid0(VALU_DEP_2) | instskip(NEXT) | instid1(VALU_DEP_1)
	v_and_b32_e32 v114, 0x1fffff, v116
	v_add_nc_u32_e32 v116, v114, v119
                                        ; implicit-def: $vgpr114
	s_delay_alu instid0(VALU_DEP_3)
	v_cmpx_ne_u32_e64 v117, v118
	s_xor_b32 s7, exec_lo, s7
; %bb.2014:                             ;   in Loop: Header=BB4_1907 Depth=2
	s_delay_alu instid0(VALU_DEP_2) | instskip(SKIP_2) | instid1(VALU_DEP_2)
	v_cmp_lt_u32_e32 vcc_lo, 0xffffff, v116
	v_sub_nc_u32_e32 v114, v117, v118
	v_cndmask_b32_e64 v117, 0, 1, vcc_lo
	v_add_co_ci_u32_e32 v114, vcc_lo, 0, v114, vcc_lo
	s_delay_alu instid0(VALU_DEP_2)
	v_lshrrev_b32_e32 v116, v117, v116
; %bb.2015:                             ;   in Loop: Header=BB4_1907 Depth=2
	s_and_not1_saveexec_b32 s7, s7
; %bb.2016:                             ;   in Loop: Header=BB4_1907 Depth=2
	s_delay_alu instid0(VALU_DEP_1)
	v_bfe_u32 v114, v116, 23, 1
; %bb.2017:                             ;   in Loop: Header=BB4_1907 Depth=2
	s_or_b32 exec_lo, exec_lo, s7
	v_lshrrev_b32_e32 v116, 21, v116
	s_delay_alu instid0(VALU_DEP_2) | instskip(SKIP_2) | instid1(VALU_DEP_2)
	v_cmp_gt_i32_e32 vcc_lo, 32, v114
	v_min_i32_e32 v117, 31, v114
	v_lshrrev_b32_e32 v115, 24, v115
	v_dual_cndmask_b32 v116, 3, v116 :: v_dual_lshlrev_b32 v117, 2, v117
	s_delay_alu instid0(VALU_DEP_2) | instskip(NEXT) | instid1(VALU_DEP_2)
	v_and_b32_e32 v115, 0x80, v115
	v_or_b32_e32 v114, v114, v116
	v_and_b32_e32 v118, 3, v116
	s_delay_alu instid0(VALU_DEP_2) | instskip(SKIP_1) | instid1(VALU_DEP_1)
	v_cmp_ne_u32_e32 vcc_lo, 0, v114
	v_and_b32_e32 v117, 0xfc, v117
	v_or3_b32 v115, v117, v115, v118
	s_delay_alu instid0(VALU_DEP_1)
	v_cndmask_b32_e32 v114, 0, v115, vcc_lo
.LBB4_2018:                             ;   in Loop: Header=BB4_1907 Depth=2
	s_or_b32 exec_lo, exec_lo, s23
.LBB4_2019:                             ;   in Loop: Header=BB4_1907 Depth=2
	s_delay_alu instid0(SALU_CYCLE_1) | instskip(SKIP_3) | instid1(VALU_DEP_1)
	s_or_b32 exec_lo, exec_lo, s22
	v_lshrrev_b32_e32 v116, 24, v23
	s_mov_b32 s7, 0
	s_mov_b32 s23, exec_lo
                                        ; implicit-def: $sgpr22
	v_cmpx_lt_i16_e32 0x7f, v116
	s_xor_b32 s23, exec_lo, s23
	s_cbranch_execnz .LBB4_2473
; %bb.2020:                             ;   in Loop: Header=BB4_1907 Depth=2
	s_or_saveexec_b32 s23, s23
	v_mov_b32_e32 v115, s22
	s_xor_b32 exec_lo, exec_lo, s23
	s_cbranch_execnz .LBB4_2476
.LBB4_2021:                             ;   in Loop: Header=BB4_1907 Depth=2
	s_or_b32 exec_lo, exec_lo, s23
	s_and_saveexec_b32 s22, s7
	s_cbranch_execz .LBB4_2023
.LBB4_2022:                             ;   in Loop: Header=BB4_1907 Depth=2
	v_bfe_u32 v115, v23, 24, 2
	s_delay_alu instid0(VALU_DEP_1) | instskip(NEXT) | instid1(VALU_DEP_1)
	v_clz_i32_u32_e32 v117, v115
	v_min_u32_e32 v117, 32, v117
	s_delay_alu instid0(VALU_DEP_1) | instskip(SKIP_1) | instid1(VALU_DEP_2)
	v_subrev_nc_u32_e32 v118, 29, v117
	v_sub_nc_u32_e32 v117, 30, v117
	v_lshlrev_b32_e32 v116, v118, v116
	v_bfe_u32 v118, v23, 26, 5
	v_and_b32_e32 v23, 0x80000000, v23
	s_delay_alu instid0(VALU_DEP_2) | instskip(NEXT) | instid1(VALU_DEP_4)
	v_cmp_eq_u32_e32 vcc_lo, 0, v118
	v_dual_cndmask_b32 v117, v118, v117 :: v_dual_and_b32 v116, 3, v116
	s_delay_alu instid0(VALU_DEP_1) | instskip(NEXT) | instid1(VALU_DEP_2)
	v_cndmask_b32_e32 v115, v115, v116, vcc_lo
	v_lshl_add_u32 v116, v117, 23, 0x37800000
	s_delay_alu instid0(VALU_DEP_2) | instskip(NEXT) | instid1(VALU_DEP_1)
	v_lshlrev_b32_e32 v115, 21, v115
	v_or3_b32 v115, v23, v116, v115
.LBB4_2023:                             ;   in Loop: Header=BB4_1907 Depth=2
	s_or_b32 exec_lo, exec_lo, s22
	v_lshrrev_b32_e32 v23, 24, v19
	s_mov_b32 s7, 0
	s_mov_b32 s23, exec_lo
                                        ; implicit-def: $sgpr22
	s_delay_alu instid0(VALU_DEP_1)
	v_cmpx_lt_i16_e32 0x7f, v23
	s_xor_b32 s23, exec_lo, s23
	s_cbranch_execnz .LBB4_2477
; %bb.2024:                             ;   in Loop: Header=BB4_1907 Depth=2
	s_or_saveexec_b32 s23, s23
	v_mov_b32_e32 v116, s22
	s_xor_b32 exec_lo, exec_lo, s23
	s_cbranch_execnz .LBB4_2480
.LBB4_2025:                             ;   in Loop: Header=BB4_1907 Depth=2
	s_or_b32 exec_lo, exec_lo, s23
	s_and_saveexec_b32 s22, s7
	s_cbranch_execz .LBB4_2027
.LBB4_2026:                             ;   in Loop: Header=BB4_1907 Depth=2
	v_bfe_u32 v116, v19, 24, 2
	s_delay_alu instid0(VALU_DEP_1) | instskip(NEXT) | instid1(VALU_DEP_1)
	v_clz_i32_u32_e32 v117, v116
	v_min_u32_e32 v117, 32, v117
	s_delay_alu instid0(VALU_DEP_1) | instskip(SKIP_1) | instid1(VALU_DEP_2)
	v_subrev_nc_u32_e32 v118, 29, v117
	v_sub_nc_u32_e32 v117, 30, v117
	v_lshlrev_b32_e32 v23, v118, v23
	v_bfe_u32 v118, v19, 26, 5
	v_and_b32_e32 v19, 0x80000000, v19
	s_delay_alu instid0(VALU_DEP_3) | instskip(NEXT) | instid1(VALU_DEP_3)
	v_and_b32_e32 v23, 3, v23
	v_cmp_eq_u32_e32 vcc_lo, 0, v118
	v_cndmask_b32_e32 v117, v118, v117, vcc_lo
	s_delay_alu instid0(VALU_DEP_3) | instskip(NEXT) | instid1(VALU_DEP_2)
	v_cndmask_b32_e32 v23, v116, v23, vcc_lo
	v_lshl_add_u32 v116, v117, 23, 0x37800000
	s_delay_alu instid0(VALU_DEP_2) | instskip(NEXT) | instid1(VALU_DEP_1)
	v_lshlrev_b32_e32 v23, 21, v23
	v_or3_b32 v116, v19, v116, v23
.LBB4_2027:                             ;   in Loop: Header=BB4_1907 Depth=2
	s_or_b32 exec_lo, exec_lo, s22
	s_delay_alu instid0(VALU_DEP_1) | instskip(NEXT) | instid1(VALU_DEP_1)
	v_mul_f32_e32 v23, v115, v116
	v_and_b32_e32 v19, 0x7f800000, v23
	s_delay_alu instid0(VALU_DEP_1)
	v_cmp_ne_u32_e32 vcc_lo, 0x7f800000, v19
	v_mov_b32_e32 v19, 0x8000
	s_and_saveexec_b32 s22, vcc_lo
	s_cbranch_execz .LBB4_2035
; %bb.2028:                             ;   in Loop: Header=BB4_1907 Depth=2
	v_mov_b32_e32 v19, 0
	s_mov_b32 s23, exec_lo
	v_cmpx_ne_u32_e32 0, v23
	s_cbranch_execz .LBB4_2034
; %bb.2029:                             ;   in Loop: Header=BB4_1907 Depth=2
	v_bfe_u32 v19, v23, 23, 8
	s_delay_alu instid0(VALU_DEP_1) | instskip(SKIP_1) | instid1(VALU_DEP_2)
	v_sub_nc_u32_e32 v116, 0x70, v19
	v_cmp_gt_u32_e32 vcc_lo, 0x71, v19
	v_dual_cndmask_b32 v116, 0, v116 :: v_dual_and_b32 v115, 0x7fffff, v23
	s_delay_alu instid0(VALU_DEP_1) | instskip(SKIP_2) | instid1(VALU_DEP_4)
	v_or_b32_e32 v117, 0x800000, v115
	v_cmp_eq_u32_e32 vcc_lo, 0, v19
	v_add_nc_u32_e32 v19, 0xffffff91, v19
	v_cndmask_b32_e64 v116, v116, 0x6f, vcc_lo
	s_delay_alu instid0(VALU_DEP_4) | instskip(NEXT) | instid1(VALU_DEP_3)
	v_cndmask_b32_e32 v115, v117, v115, vcc_lo
	v_cndmask_b32_e64 v19, v19, 0xffffff92, vcc_lo
	s_delay_alu instid0(VALU_DEP_3) | instskip(NEXT) | instid1(VALU_DEP_3)
	v_lshl_add_u32 v117, 0x200000, v116, -1
	v_lshrrev_b32_e32 v118, v116, v115
	v_lshlrev_b32_e64 v128, v116, 0x100000
	s_delay_alu instid0(VALU_DEP_4) | instskip(NEXT) | instid1(VALU_DEP_4)
	v_add_nc_u32_e32 v116, v116, v19
	v_and_b32_e32 v115, v117, v115
	s_delay_alu instid0(VALU_DEP_4) | instskip(NEXT) | instid1(VALU_DEP_2)
	v_bfe_u32 v119, v118, 21, 1
	v_cmp_eq_u32_e64 s7, v115, v128
	s_delay_alu instid0(VALU_DEP_2) | instskip(NEXT) | instid1(VALU_DEP_1)
	v_add_nc_u32_e32 v117, -1, v119
	v_cndmask_b32_e64 v115, 0, v117, s7
	v_lshrrev_b32_e32 v117, 23, v118
	s_mov_b32 s7, exec_lo
	s_delay_alu instid0(VALU_DEP_2) | instskip(NEXT) | instid1(VALU_DEP_2)
	v_add_nc_u32_e32 v115, v115, v118
	v_xor_b32_e32 v117, 1, v117
	s_delay_alu instid0(VALU_DEP_2) | instskip(NEXT) | instid1(VALU_DEP_1)
	v_and_b32_e32 v19, 0x1fffff, v115
	v_add_nc_u32_e32 v115, v19, v118
                                        ; implicit-def: $vgpr19
	s_delay_alu instid0(VALU_DEP_3)
	v_cmpx_ne_u32_e64 v116, v117
	s_xor_b32 s7, exec_lo, s7
; %bb.2030:                             ;   in Loop: Header=BB4_1907 Depth=2
	s_delay_alu instid0(VALU_DEP_2) | instskip(SKIP_2) | instid1(VALU_DEP_2)
	v_cmp_lt_u32_e32 vcc_lo, 0xffffff, v115
	v_sub_nc_u32_e32 v19, v116, v117
	v_cndmask_b32_e64 v116, 0, 1, vcc_lo
	v_add_co_ci_u32_e32 v19, vcc_lo, 0, v19, vcc_lo
	s_delay_alu instid0(VALU_DEP_2)
	v_lshrrev_b32_e32 v115, v116, v115
; %bb.2031:                             ;   in Loop: Header=BB4_1907 Depth=2
	s_and_not1_saveexec_b32 s7, s7
; %bb.2032:                             ;   in Loop: Header=BB4_1907 Depth=2
	s_delay_alu instid0(VALU_DEP_1)
	v_bfe_u32 v19, v115, 23, 1
; %bb.2033:                             ;   in Loop: Header=BB4_1907 Depth=2
	s_or_b32 exec_lo, exec_lo, s7
	v_lshrrev_b32_e32 v115, 21, v115
	s_delay_alu instid0(VALU_DEP_2) | instskip(SKIP_2) | instid1(VALU_DEP_2)
	v_cmp_gt_i32_e32 vcc_lo, 32, v19
	v_min_i32_e32 v116, 31, v19
	v_lshrrev_b32_e32 v23, 24, v23
	v_dual_cndmask_b32 v115, 3, v115 :: v_dual_lshlrev_b32 v116, 2, v116
	s_delay_alu instid0(VALU_DEP_2) | instskip(NEXT) | instid1(VALU_DEP_2)
	v_and_b32_e32 v23, 0x80, v23
	v_or_b32_e32 v19, v19, v115
	v_and_b32_e32 v117, 3, v115
	s_delay_alu instid0(VALU_DEP_2) | instskip(SKIP_1) | instid1(VALU_DEP_1)
	v_cmp_ne_u32_e32 vcc_lo, 0, v19
	v_and_b32_e32 v116, 0xfc, v116
	v_or3_b32 v23, v23, v116, v117
	s_delay_alu instid0(VALU_DEP_1) | instskip(NEXT) | instid1(VALU_DEP_1)
	v_lshlrev_b32_e32 v23, 8, v23
	v_cndmask_b32_e32 v19, 0, v23, vcc_lo
.LBB4_2034:                             ;   in Loop: Header=BB4_1907 Depth=2
	s_or_b32 exec_lo, exec_lo, s23
.LBB4_2035:                             ;   in Loop: Header=BB4_1907 Depth=2
	s_delay_alu instid0(SALU_CYCLE_1) | instskip(SKIP_3) | instid1(VALU_DEP_1)
	s_or_b32 exec_lo, exec_lo, s22
	v_and_b32_e32 v115, 0xff, v24
	s_mov_b32 s7, 0
	s_mov_b32 s23, exec_lo
                                        ; implicit-def: $sgpr22
	v_cmpx_lt_i16_e32 0x7f, v115
	s_xor_b32 s23, exec_lo, s23
	s_cbranch_execnz .LBB4_2481
; %bb.2036:                             ;   in Loop: Header=BB4_1907 Depth=2
	s_or_saveexec_b32 s23, s23
	v_mov_b32_e32 v23, s22
	s_xor_b32 exec_lo, exec_lo, s23
	s_cbranch_execnz .LBB4_2484
.LBB4_2037:                             ;   in Loop: Header=BB4_1907 Depth=2
	s_or_b32 exec_lo, exec_lo, s23
	s_and_saveexec_b32 s22, s7
	s_cbranch_execz .LBB4_2039
.LBB4_2038:                             ;   in Loop: Header=BB4_1907 Depth=2
	v_and_b32_e32 v23, 3, v24
	v_bfe_u32 v117, v24, 2, 5
	v_lshlrev_b32_e32 v118, 24, v24
	s_delay_alu instid0(VALU_DEP_3) | instskip(NEXT) | instid1(VALU_DEP_3)
	v_clz_i32_u32_e32 v115, v23
	v_cmp_eq_u32_e32 vcc_lo, 0, v117
	s_delay_alu instid0(VALU_DEP_2) | instskip(NEXT) | instid1(VALU_DEP_1)
	v_min_u32_e32 v115, 32, v115
	v_subrev_nc_u32_e32 v116, 29, v115
	v_sub_nc_u32_e32 v115, 30, v115
	s_delay_alu instid0(VALU_DEP_1) | instskip(NEXT) | instid1(VALU_DEP_1)
	v_dual_cndmask_b32 v115, v117, v115 :: v_dual_lshlrev_b32 v116, v116, v24
	v_and_b32_e32 v116, 3, v116
	s_delay_alu instid0(VALU_DEP_2) | instskip(NEXT) | instid1(VALU_DEP_2)
	v_lshl_add_u32 v115, v115, 23, 0x37800000
	v_dual_cndmask_b32 v23, v23, v116 :: v_dual_and_b32 v116, 0x80000000, v118
	s_delay_alu instid0(VALU_DEP_1) | instskip(NEXT) | instid1(VALU_DEP_1)
	v_lshlrev_b32_e32 v23, 21, v23
	v_or3_b32 v23, v116, v115, v23
.LBB4_2039:                             ;   in Loop: Header=BB4_1907 Depth=2
	s_or_b32 exec_lo, exec_lo, s22
	v_and_b32_e32 v116, 0xff, v20
	s_mov_b32 s7, 0
	s_mov_b32 s23, exec_lo
                                        ; implicit-def: $sgpr22
	s_delay_alu instid0(VALU_DEP_1)
	v_cmpx_lt_i16_e32 0x7f, v116
	s_xor_b32 s23, exec_lo, s23
	s_cbranch_execnz .LBB4_2485
; %bb.2040:                             ;   in Loop: Header=BB4_1907 Depth=2
	s_or_saveexec_b32 s23, s23
	v_mov_b32_e32 v115, s22
	s_xor_b32 exec_lo, exec_lo, s23
	s_cbranch_execnz .LBB4_2488
.LBB4_2041:                             ;   in Loop: Header=BB4_1907 Depth=2
	s_or_b32 exec_lo, exec_lo, s23
	s_and_saveexec_b32 s22, s7
	s_cbranch_execz .LBB4_2043
.LBB4_2042:                             ;   in Loop: Header=BB4_1907 Depth=2
	v_and_b32_e32 v115, 3, v20
	v_bfe_u32 v118, v20, 2, 5
	v_lshlrev_b32_e32 v119, 24, v20
	s_delay_alu instid0(VALU_DEP_3) | instskip(NEXT) | instid1(VALU_DEP_3)
	v_clz_i32_u32_e32 v116, v115
	v_cmp_eq_u32_e32 vcc_lo, 0, v118
	s_delay_alu instid0(VALU_DEP_2) | instskip(NEXT) | instid1(VALU_DEP_1)
	v_min_u32_e32 v116, 32, v116
	v_subrev_nc_u32_e32 v117, 29, v116
	v_sub_nc_u32_e32 v116, 30, v116
	s_delay_alu instid0(VALU_DEP_2) | instskip(NEXT) | instid1(VALU_DEP_1)
	v_lshlrev_b32_e32 v117, v117, v20
	v_dual_cndmask_b32 v116, v118, v116 :: v_dual_and_b32 v117, 3, v117
	s_delay_alu instid0(VALU_DEP_1) | instskip(NEXT) | instid1(VALU_DEP_2)
	v_lshl_add_u32 v116, v116, 23, 0x37800000
	v_cndmask_b32_e32 v115, v115, v117, vcc_lo
	v_and_b32_e32 v117, 0x80000000, v119
	s_delay_alu instid0(VALU_DEP_2) | instskip(NEXT) | instid1(VALU_DEP_1)
	v_lshlrev_b32_e32 v115, 21, v115
	v_or3_b32 v115, v117, v116, v115
.LBB4_2043:                             ;   in Loop: Header=BB4_1907 Depth=2
	s_or_b32 exec_lo, exec_lo, s22
	s_delay_alu instid0(VALU_DEP_1) | instskip(NEXT) | instid1(VALU_DEP_1)
	v_mul_f32_e32 v115, v23, v115
	v_and_b32_e32 v23, 0x7f800000, v115
	s_delay_alu instid0(VALU_DEP_1)
	v_cmp_ne_u32_e32 vcc_lo, 0x7f800000, v23
	v_mov_b32_e32 v23, 0x80
	s_and_saveexec_b32 s22, vcc_lo
	s_cbranch_execz .LBB4_2051
; %bb.2044:                             ;   in Loop: Header=BB4_1907 Depth=2
	v_mov_b32_e32 v23, 0
	s_mov_b32 s23, exec_lo
	v_cmpx_ne_u32_e32 0, v115
	s_cbranch_execz .LBB4_2050
; %bb.2045:                             ;   in Loop: Header=BB4_1907 Depth=2
	v_bfe_u32 v23, v115, 23, 8
	s_delay_alu instid0(VALU_DEP_1) | instskip(SKIP_1) | instid1(VALU_DEP_2)
	v_sub_nc_u32_e32 v117, 0x70, v23
	v_cmp_gt_u32_e32 vcc_lo, 0x71, v23
	v_dual_cndmask_b32 v117, 0, v117 :: v_dual_and_b32 v116, 0x7fffff, v115
	s_delay_alu instid0(VALU_DEP_1) | instskip(SKIP_2) | instid1(VALU_DEP_4)
	v_or_b32_e32 v118, 0x800000, v116
	v_cmp_eq_u32_e32 vcc_lo, 0, v23
	v_add_nc_u32_e32 v23, 0xffffff91, v23
	v_cndmask_b32_e64 v117, v117, 0x6f, vcc_lo
	s_delay_alu instid0(VALU_DEP_4) | instskip(NEXT) | instid1(VALU_DEP_3)
	v_cndmask_b32_e32 v116, v118, v116, vcc_lo
	v_cndmask_b32_e64 v23, v23, 0xffffff92, vcc_lo
	s_delay_alu instid0(VALU_DEP_3) | instskip(NEXT) | instid1(VALU_DEP_3)
	v_lshl_add_u32 v118, 0x200000, v117, -1
	v_lshrrev_b32_e32 v119, v117, v116
	v_lshlrev_b32_e64 v129, v117, 0x100000
	s_delay_alu instid0(VALU_DEP_4) | instskip(NEXT) | instid1(VALU_DEP_4)
	v_add_nc_u32_e32 v117, v117, v23
	v_and_b32_e32 v116, v118, v116
	s_delay_alu instid0(VALU_DEP_4) | instskip(NEXT) | instid1(VALU_DEP_2)
	v_bfe_u32 v128, v119, 21, 1
	v_cmp_eq_u32_e64 s7, v116, v129
	s_delay_alu instid0(VALU_DEP_2) | instskip(NEXT) | instid1(VALU_DEP_1)
	v_add_nc_u32_e32 v118, -1, v128
	v_cndmask_b32_e64 v116, 0, v118, s7
	v_lshrrev_b32_e32 v118, 23, v119
	s_mov_b32 s7, exec_lo
	s_delay_alu instid0(VALU_DEP_2) | instskip(NEXT) | instid1(VALU_DEP_2)
	v_add_nc_u32_e32 v116, v116, v119
	v_xor_b32_e32 v118, 1, v118
	s_delay_alu instid0(VALU_DEP_2) | instskip(NEXT) | instid1(VALU_DEP_1)
	v_and_b32_e32 v23, 0x1fffff, v116
	v_add_nc_u32_e32 v116, v23, v119
                                        ; implicit-def: $vgpr23
	s_delay_alu instid0(VALU_DEP_3)
	v_cmpx_ne_u32_e64 v117, v118
	s_xor_b32 s7, exec_lo, s7
; %bb.2046:                             ;   in Loop: Header=BB4_1907 Depth=2
	s_delay_alu instid0(VALU_DEP_2) | instskip(SKIP_2) | instid1(VALU_DEP_2)
	v_cmp_lt_u32_e32 vcc_lo, 0xffffff, v116
	v_sub_nc_u32_e32 v23, v117, v118
	v_cndmask_b32_e64 v117, 0, 1, vcc_lo
	v_add_co_ci_u32_e32 v23, vcc_lo, 0, v23, vcc_lo
	s_delay_alu instid0(VALU_DEP_2)
	v_lshrrev_b32_e32 v116, v117, v116
; %bb.2047:                             ;   in Loop: Header=BB4_1907 Depth=2
	s_and_not1_saveexec_b32 s7, s7
; %bb.2048:                             ;   in Loop: Header=BB4_1907 Depth=2
	s_delay_alu instid0(VALU_DEP_1)
	v_bfe_u32 v23, v116, 23, 1
; %bb.2049:                             ;   in Loop: Header=BB4_1907 Depth=2
	s_or_b32 exec_lo, exec_lo, s7
	v_lshrrev_b32_e32 v116, 21, v116
	s_delay_alu instid0(VALU_DEP_2) | instskip(SKIP_2) | instid1(VALU_DEP_2)
	v_cmp_gt_i32_e32 vcc_lo, 32, v23
	v_lshrrev_b32_e32 v115, 24, v115
	v_min_i32_e32 v117, 31, v23
	v_dual_cndmask_b32 v116, 3, v116 :: v_dual_and_b32 v115, 0x80, v115
	s_delay_alu instid0(VALU_DEP_2) | instskip(NEXT) | instid1(VALU_DEP_2)
	v_lshlrev_b32_e32 v117, 2, v117
	v_or_b32_e32 v23, v23, v116
	s_delay_alu instid0(VALU_DEP_1) | instskip(SKIP_1) | instid1(VALU_DEP_1)
	v_cmp_ne_u32_e32 vcc_lo, 0, v23
	v_and_b32_e32 v118, 3, v116
	v_or3_b32 v115, v117, v115, v118
	s_delay_alu instid0(VALU_DEP_1)
	v_cndmask_b32_e32 v23, 0, v115, vcc_lo
.LBB4_2050:                             ;   in Loop: Header=BB4_1907 Depth=2
	s_or_b32 exec_lo, exec_lo, s23
.LBB4_2051:                             ;   in Loop: Header=BB4_1907 Depth=2
	s_delay_alu instid0(SALU_CYCLE_1) | instskip(SKIP_3) | instid1(VALU_DEP_1)
	s_or_b32 exec_lo, exec_lo, s22
	v_lshrrev_b16 v116, 8, v24
	s_mov_b32 s7, 0
	s_mov_b32 s23, exec_lo
                                        ; implicit-def: $sgpr22
	v_cmpx_lt_i16_e32 0x7f, v116
	s_xor_b32 s23, exec_lo, s23
	s_cbranch_execnz .LBB4_2489
; %bb.2052:                             ;   in Loop: Header=BB4_1907 Depth=2
	s_or_saveexec_b32 s23, s23
	v_mov_b32_e32 v115, s22
	s_xor_b32 exec_lo, exec_lo, s23
	s_cbranch_execnz .LBB4_2492
.LBB4_2053:                             ;   in Loop: Header=BB4_1907 Depth=2
	s_or_b32 exec_lo, exec_lo, s23
	s_and_saveexec_b32 s22, s7
	s_cbranch_execz .LBB4_2055
.LBB4_2054:                             ;   in Loop: Header=BB4_1907 Depth=2
	v_and_b32_e32 v115, 0xffff, v116
	s_delay_alu instid0(VALU_DEP_1) | instskip(NEXT) | instid1(VALU_DEP_1)
	v_and_b32_e32 v117, 3, v115
	v_clz_i32_u32_e32 v118, v117
	s_delay_alu instid0(VALU_DEP_1) | instskip(NEXT) | instid1(VALU_DEP_1)
	v_min_u32_e32 v118, 32, v118
	v_subrev_nc_u32_e32 v119, 29, v118
	v_sub_nc_u32_e32 v118, 30, v118
	s_delay_alu instid0(VALU_DEP_2) | instskip(SKIP_1) | instid1(VALU_DEP_2)
	v_lshlrev_b32_e32 v119, v119, v115
	v_bfe_u32 v115, v115, 2, 5
	v_and_b32_e32 v119, 3, v119
	s_delay_alu instid0(VALU_DEP_2) | instskip(SKIP_1) | instid1(VALU_DEP_1)
	v_cmp_eq_u32_e32 vcc_lo, 0, v115
	v_dual_cndmask_b32 v115, v115, v118 :: v_dual_lshlrev_b32 v116, 24, v116
	v_dual_cndmask_b32 v117, v117, v119 :: v_dual_and_b32 v116, 0x80000000, v116
	s_delay_alu instid0(VALU_DEP_2) | instskip(NEXT) | instid1(VALU_DEP_2)
	v_lshl_add_u32 v115, v115, 23, 0x37800000
	v_lshlrev_b32_e32 v117, 21, v117
	s_delay_alu instid0(VALU_DEP_1)
	v_or3_b32 v115, v116, v115, v117
.LBB4_2055:                             ;   in Loop: Header=BB4_1907 Depth=2
	s_or_b32 exec_lo, exec_lo, s22
	v_lshrrev_b16 v116, 8, v20
	s_mov_b32 s7, 0
	s_mov_b32 s23, exec_lo
                                        ; implicit-def: $sgpr22
	s_delay_alu instid0(VALU_DEP_1)
	v_cmpx_lt_i16_e32 0x7f, v116
	s_xor_b32 s23, exec_lo, s23
	s_cbranch_execnz .LBB4_2493
; %bb.2056:                             ;   in Loop: Header=BB4_1907 Depth=2
	s_or_saveexec_b32 s23, s23
	v_mov_b32_e32 v117, s22
	s_xor_b32 exec_lo, exec_lo, s23
	s_cbranch_execnz .LBB4_2496
.LBB4_2057:                             ;   in Loop: Header=BB4_1907 Depth=2
	s_or_b32 exec_lo, exec_lo, s23
	s_and_saveexec_b32 s22, s7
	s_cbranch_execz .LBB4_2059
.LBB4_2058:                             ;   in Loop: Header=BB4_1907 Depth=2
	v_and_b32_e32 v117, 0xffff, v116
	v_lshlrev_b32_e32 v116, 24, v116
	s_delay_alu instid0(VALU_DEP_2) | instskip(NEXT) | instid1(VALU_DEP_2)
	v_and_b32_e32 v118, 3, v117
	v_and_b32_e32 v116, 0x80000000, v116
	s_delay_alu instid0(VALU_DEP_2) | instskip(NEXT) | instid1(VALU_DEP_1)
	v_clz_i32_u32_e32 v119, v118
	v_min_u32_e32 v119, 32, v119
	s_delay_alu instid0(VALU_DEP_1) | instskip(SKIP_1) | instid1(VALU_DEP_2)
	v_subrev_nc_u32_e32 v128, 29, v119
	v_sub_nc_u32_e32 v119, 30, v119
	v_lshlrev_b32_e32 v128, v128, v117
	v_bfe_u32 v117, v117, 2, 5
	s_delay_alu instid0(VALU_DEP_2) | instskip(NEXT) | instid1(VALU_DEP_2)
	v_and_b32_e32 v128, 3, v128
	v_cmp_eq_u32_e32 vcc_lo, 0, v117
	s_delay_alu instid0(VALU_DEP_2) | instskip(NEXT) | instid1(VALU_DEP_1)
	v_dual_cndmask_b32 v117, v117, v119 :: v_dual_cndmask_b32 v118, v118, v128
	v_lshl_add_u32 v117, v117, 23, 0x37800000
	s_delay_alu instid0(VALU_DEP_2) | instskip(NEXT) | instid1(VALU_DEP_1)
	v_lshlrev_b32_e32 v118, 21, v118
	v_or3_b32 v117, v116, v117, v118
.LBB4_2059:                             ;   in Loop: Header=BB4_1907 Depth=2
	s_or_b32 exec_lo, exec_lo, s22
	s_delay_alu instid0(VALU_DEP_1) | instskip(NEXT) | instid1(VALU_DEP_1)
	v_mul_f32_e32 v116, v115, v117
	v_and_b32_e32 v115, 0x7f800000, v116
	s_delay_alu instid0(VALU_DEP_1)
	v_cmp_ne_u32_e32 vcc_lo, 0x7f800000, v115
	v_mov_b32_e32 v115, 0x80
	s_and_saveexec_b32 s22, vcc_lo
	s_cbranch_execz .LBB4_2067
; %bb.2060:                             ;   in Loop: Header=BB4_1907 Depth=2
	v_mov_b32_e32 v115, 0
	s_mov_b32 s23, exec_lo
	v_cmpx_ne_u32_e32 0, v116
	s_cbranch_execz .LBB4_2066
; %bb.2061:                             ;   in Loop: Header=BB4_1907 Depth=2
	v_bfe_u32 v115, v116, 23, 8
	s_delay_alu instid0(VALU_DEP_1) | instskip(SKIP_1) | instid1(VALU_DEP_2)
	v_sub_nc_u32_e32 v118, 0x70, v115
	v_cmp_gt_u32_e32 vcc_lo, 0x71, v115
	v_dual_cndmask_b32 v118, 0, v118 :: v_dual_and_b32 v117, 0x7fffff, v116
	s_delay_alu instid0(VALU_DEP_1) | instskip(SKIP_2) | instid1(VALU_DEP_4)
	v_or_b32_e32 v119, 0x800000, v117
	v_cmp_eq_u32_e32 vcc_lo, 0, v115
	v_add_nc_u32_e32 v115, 0xffffff91, v115
	v_cndmask_b32_e64 v118, v118, 0x6f, vcc_lo
	s_delay_alu instid0(VALU_DEP_2) | instskip(SKIP_1) | instid1(VALU_DEP_3)
	v_cndmask_b32_e64 v115, v115, 0xffffff92, vcc_lo
	v_cndmask_b32_e32 v117, v119, v117, vcc_lo
	v_lshl_add_u32 v119, 0x200000, v118, -1
	v_lshlrev_b32_e64 v130, v118, 0x100000
	s_delay_alu instid0(VALU_DEP_3) | instskip(SKIP_1) | instid1(VALU_DEP_4)
	v_lshrrev_b32_e32 v128, v118, v117
	v_add_nc_u32_e32 v118, v118, v115
	v_and_b32_e32 v117, v119, v117
	s_delay_alu instid0(VALU_DEP_3) | instskip(NEXT) | instid1(VALU_DEP_2)
	v_bfe_u32 v129, v128, 21, 1
	v_cmp_eq_u32_e64 s7, v117, v130
	s_delay_alu instid0(VALU_DEP_2) | instskip(NEXT) | instid1(VALU_DEP_1)
	v_add_nc_u32_e32 v119, -1, v129
	v_cndmask_b32_e64 v117, 0, v119, s7
	v_lshrrev_b32_e32 v119, 23, v128
	s_mov_b32 s7, exec_lo
	s_delay_alu instid0(VALU_DEP_2) | instskip(NEXT) | instid1(VALU_DEP_2)
	v_add_nc_u32_e32 v117, v117, v128
	v_xor_b32_e32 v119, 1, v119
	s_delay_alu instid0(VALU_DEP_2) | instskip(NEXT) | instid1(VALU_DEP_1)
	v_and_b32_e32 v115, 0x1fffff, v117
	v_add_nc_u32_e32 v117, v115, v128
                                        ; implicit-def: $vgpr115
	s_delay_alu instid0(VALU_DEP_3)
	v_cmpx_ne_u32_e64 v118, v119
	s_xor_b32 s7, exec_lo, s7
; %bb.2062:                             ;   in Loop: Header=BB4_1907 Depth=2
	s_delay_alu instid0(VALU_DEP_2) | instskip(SKIP_2) | instid1(VALU_DEP_2)
	v_cmp_lt_u32_e32 vcc_lo, 0xffffff, v117
	v_sub_nc_u32_e32 v115, v118, v119
	v_cndmask_b32_e64 v118, 0, 1, vcc_lo
	v_add_co_ci_u32_e32 v115, vcc_lo, 0, v115, vcc_lo
	s_delay_alu instid0(VALU_DEP_2)
	v_lshrrev_b32_e32 v117, v118, v117
; %bb.2063:                             ;   in Loop: Header=BB4_1907 Depth=2
	s_and_not1_saveexec_b32 s7, s7
; %bb.2064:                             ;   in Loop: Header=BB4_1907 Depth=2
	s_delay_alu instid0(VALU_DEP_1)
	v_bfe_u32 v115, v117, 23, 1
; %bb.2065:                             ;   in Loop: Header=BB4_1907 Depth=2
	s_or_b32 exec_lo, exec_lo, s7
	v_lshrrev_b32_e32 v117, 21, v117
	s_delay_alu instid0(VALU_DEP_2) | instskip(SKIP_2) | instid1(VALU_DEP_2)
	v_cmp_gt_i32_e32 vcc_lo, 32, v115
	v_lshrrev_b32_e32 v116, 24, v116
	v_min_i32_e32 v118, 31, v115
	v_dual_cndmask_b32 v117, 3, v117 :: v_dual_and_b32 v116, 0x80, v116
	s_delay_alu instid0(VALU_DEP_1) | instskip(SKIP_1) | instid1(VALU_DEP_2)
	v_or_b32_e32 v115, v115, v117
	v_and_b32_e32 v119, 3, v117
	v_cmp_ne_u32_e32 vcc_lo, 0, v115
	v_lshlrev_b32_e32 v118, 2, v118
	s_delay_alu instid0(VALU_DEP_1) | instskip(NEXT) | instid1(VALU_DEP_1)
	v_or3_b32 v116, v118, v116, v119
	v_cndmask_b32_e32 v115, 0, v116, vcc_lo
.LBB4_2066:                             ;   in Loop: Header=BB4_1907 Depth=2
	s_or_b32 exec_lo, exec_lo, s23
.LBB4_2067:                             ;   in Loop: Header=BB4_1907 Depth=2
	s_delay_alu instid0(SALU_CYCLE_1) | instskip(SKIP_3) | instid1(VALU_DEP_1)
	s_or_b32 exec_lo, exec_lo, s22
	v_lshrrev_b32_e32 v117, 16, v24
	s_mov_b32 s7, 0
	s_mov_b32 s23, exec_lo
                                        ; implicit-def: $sgpr22
	v_and_b32_e32 v118, 0xff, v117
	s_delay_alu instid0(VALU_DEP_1)
	v_cmpx_lt_i16_e32 0x7f, v118
	s_xor_b32 s23, exec_lo, s23
	s_cbranch_execnz .LBB4_2497
; %bb.2068:                             ;   in Loop: Header=BB4_1907 Depth=2
	s_or_saveexec_b32 s23, s23
	v_mov_b32_e32 v116, s22
	s_xor_b32 exec_lo, exec_lo, s23
	s_cbranch_execnz .LBB4_2500
.LBB4_2069:                             ;   in Loop: Header=BB4_1907 Depth=2
	s_or_b32 exec_lo, exec_lo, s23
	s_and_saveexec_b32 s22, s7
	s_cbranch_execz .LBB4_2071
.LBB4_2070:                             ;   in Loop: Header=BB4_1907 Depth=2
	v_bfe_u32 v116, v24, 16, 2
	v_lshlrev_b32_e32 v128, 8, v24
	s_delay_alu instid0(VALU_DEP_2) | instskip(NEXT) | instid1(VALU_DEP_1)
	v_clz_i32_u32_e32 v118, v116
	v_min_u32_e32 v118, 32, v118
	s_delay_alu instid0(VALU_DEP_1) | instskip(SKIP_1) | instid1(VALU_DEP_2)
	v_subrev_nc_u32_e32 v119, 29, v118
	v_sub_nc_u32_e32 v118, 30, v118
	v_lshlrev_b32_e32 v117, v119, v117
	v_bfe_u32 v119, v24, 18, 5
	s_delay_alu instid0(VALU_DEP_1) | instskip(NEXT) | instid1(VALU_DEP_3)
	v_cmp_eq_u32_e32 vcc_lo, 0, v119
	v_dual_cndmask_b32 v118, v119, v118 :: v_dual_and_b32 v117, 3, v117
	s_delay_alu instid0(VALU_DEP_1) | instskip(NEXT) | instid1(VALU_DEP_2)
	v_dual_cndmask_b32 v116, v116, v117 :: v_dual_and_b32 v117, 0x80000000, v128
	v_lshl_add_u32 v118, v118, 23, 0x37800000
	s_delay_alu instid0(VALU_DEP_2) | instskip(NEXT) | instid1(VALU_DEP_1)
	v_lshlrev_b32_e32 v116, 21, v116
	v_or3_b32 v116, v117, v118, v116
.LBB4_2071:                             ;   in Loop: Header=BB4_1907 Depth=2
	s_or_b32 exec_lo, exec_lo, s22
	v_lshrrev_b32_e32 v117, 16, v20
	s_mov_b32 s7, 0
	s_mov_b32 s23, exec_lo
                                        ; implicit-def: $sgpr22
	s_delay_alu instid0(VALU_DEP_1) | instskip(NEXT) | instid1(VALU_DEP_1)
	v_and_b32_e32 v119, 0xff, v117
	v_cmpx_lt_i16_e32 0x7f, v119
	s_xor_b32 s23, exec_lo, s23
	s_cbranch_execnz .LBB4_2501
; %bb.2072:                             ;   in Loop: Header=BB4_1907 Depth=2
	s_or_saveexec_b32 s23, s23
	v_mov_b32_e32 v118, s22
	s_xor_b32 exec_lo, exec_lo, s23
	s_cbranch_execnz .LBB4_2504
.LBB4_2073:                             ;   in Loop: Header=BB4_1907 Depth=2
	s_or_b32 exec_lo, exec_lo, s23
	s_and_saveexec_b32 s22, s7
	s_cbranch_execz .LBB4_2075
.LBB4_2074:                             ;   in Loop: Header=BB4_1907 Depth=2
	v_bfe_u32 v118, v20, 16, 2
	v_lshlrev_b32_e32 v129, 8, v20
	s_delay_alu instid0(VALU_DEP_2) | instskip(NEXT) | instid1(VALU_DEP_1)
	v_clz_i32_u32_e32 v119, v118
	v_min_u32_e32 v119, 32, v119
	s_delay_alu instid0(VALU_DEP_1) | instskip(SKIP_1) | instid1(VALU_DEP_2)
	v_subrev_nc_u32_e32 v128, 29, v119
	v_sub_nc_u32_e32 v119, 30, v119
	v_lshlrev_b32_e32 v117, v128, v117
	v_bfe_u32 v128, v20, 18, 5
	s_delay_alu instid0(VALU_DEP_2) | instskip(NEXT) | instid1(VALU_DEP_2)
	v_and_b32_e32 v117, 3, v117
	v_cmp_eq_u32_e32 vcc_lo, 0, v128
	v_cndmask_b32_e32 v119, v128, v119, vcc_lo
	s_delay_alu instid0(VALU_DEP_3) | instskip(SKIP_1) | instid1(VALU_DEP_3)
	v_cndmask_b32_e32 v117, v118, v117, vcc_lo
	v_and_b32_e32 v118, 0x80000000, v129
	v_lshl_add_u32 v119, v119, 23, 0x37800000
	s_delay_alu instid0(VALU_DEP_3) | instskip(NEXT) | instid1(VALU_DEP_1)
	v_lshlrev_b32_e32 v117, 21, v117
	v_or3_b32 v118, v118, v119, v117
.LBB4_2075:                             ;   in Loop: Header=BB4_1907 Depth=2
	s_or_b32 exec_lo, exec_lo, s22
	s_delay_alu instid0(VALU_DEP_1) | instskip(NEXT) | instid1(VALU_DEP_1)
	v_mul_f32_e32 v117, v116, v118
	v_and_b32_e32 v116, 0x7f800000, v117
	s_delay_alu instid0(VALU_DEP_1)
	v_cmp_ne_u32_e32 vcc_lo, 0x7f800000, v116
	v_mov_b32_e32 v116, 0x80
	s_and_saveexec_b32 s22, vcc_lo
	s_cbranch_execz .LBB4_2083
; %bb.2076:                             ;   in Loop: Header=BB4_1907 Depth=2
	v_mov_b32_e32 v116, 0
	s_mov_b32 s23, exec_lo
	v_cmpx_ne_u32_e32 0, v117
	s_cbranch_execz .LBB4_2082
; %bb.2077:                             ;   in Loop: Header=BB4_1907 Depth=2
	v_bfe_u32 v116, v117, 23, 8
	s_delay_alu instid0(VALU_DEP_1) | instskip(SKIP_1) | instid1(VALU_DEP_2)
	v_sub_nc_u32_e32 v119, 0x70, v116
	v_cmp_gt_u32_e32 vcc_lo, 0x71, v116
	v_dual_cndmask_b32 v119, 0, v119 :: v_dual_and_b32 v118, 0x7fffff, v117
	s_delay_alu instid0(VALU_DEP_1) | instskip(SKIP_2) | instid1(VALU_DEP_4)
	v_or_b32_e32 v128, 0x800000, v118
	v_cmp_eq_u32_e32 vcc_lo, 0, v116
	v_add_nc_u32_e32 v116, 0xffffff91, v116
	v_cndmask_b32_e64 v119, v119, 0x6f, vcc_lo
	s_delay_alu instid0(VALU_DEP_2) | instskip(SKIP_1) | instid1(VALU_DEP_3)
	v_cndmask_b32_e64 v116, v116, 0xffffff92, vcc_lo
	v_cndmask_b32_e32 v118, v128, v118, vcc_lo
	v_lshl_add_u32 v128, 0x200000, v119, -1
	v_lshlrev_b32_e64 v131, v119, 0x100000
	s_delay_alu instid0(VALU_DEP_3) | instskip(SKIP_1) | instid1(VALU_DEP_4)
	v_lshrrev_b32_e32 v129, v119, v118
	v_add_nc_u32_e32 v119, v119, v116
	v_and_b32_e32 v118, v128, v118
	s_delay_alu instid0(VALU_DEP_3) | instskip(NEXT) | instid1(VALU_DEP_2)
	v_bfe_u32 v130, v129, 21, 1
	v_cmp_eq_u32_e64 s7, v118, v131
	s_delay_alu instid0(VALU_DEP_2) | instskip(NEXT) | instid1(VALU_DEP_1)
	v_add_nc_u32_e32 v128, -1, v130
	v_cndmask_b32_e64 v118, 0, v128, s7
	v_lshrrev_b32_e32 v128, 23, v129
	s_mov_b32 s7, exec_lo
	s_delay_alu instid0(VALU_DEP_2) | instskip(NEXT) | instid1(VALU_DEP_2)
	v_add_nc_u32_e32 v118, v118, v129
	v_xor_b32_e32 v128, 1, v128
	s_delay_alu instid0(VALU_DEP_2) | instskip(NEXT) | instid1(VALU_DEP_1)
	v_and_b32_e32 v116, 0x1fffff, v118
	v_add_nc_u32_e32 v118, v116, v129
                                        ; implicit-def: $vgpr116
	s_delay_alu instid0(VALU_DEP_3)
	v_cmpx_ne_u32_e64 v119, v128
	s_xor_b32 s7, exec_lo, s7
; %bb.2078:                             ;   in Loop: Header=BB4_1907 Depth=2
	s_delay_alu instid0(VALU_DEP_2) | instskip(SKIP_2) | instid1(VALU_DEP_2)
	v_cmp_lt_u32_e32 vcc_lo, 0xffffff, v118
	v_sub_nc_u32_e32 v116, v119, v128
	v_cndmask_b32_e64 v119, 0, 1, vcc_lo
	v_add_co_ci_u32_e32 v116, vcc_lo, 0, v116, vcc_lo
	s_delay_alu instid0(VALU_DEP_2)
	v_lshrrev_b32_e32 v118, v119, v118
; %bb.2079:                             ;   in Loop: Header=BB4_1907 Depth=2
	s_and_not1_saveexec_b32 s7, s7
; %bb.2080:                             ;   in Loop: Header=BB4_1907 Depth=2
	s_delay_alu instid0(VALU_DEP_1)
	v_bfe_u32 v116, v118, 23, 1
; %bb.2081:                             ;   in Loop: Header=BB4_1907 Depth=2
	s_or_b32 exec_lo, exec_lo, s7
	v_lshrrev_b32_e32 v118, 21, v118
	s_delay_alu instid0(VALU_DEP_2) | instskip(SKIP_2) | instid1(VALU_DEP_2)
	v_cmp_gt_i32_e32 vcc_lo, 32, v116
	v_lshrrev_b32_e32 v117, 24, v117
	v_min_i32_e32 v119, 31, v116
	v_dual_cndmask_b32 v118, 3, v118 :: v_dual_and_b32 v117, 0x80, v117
	s_delay_alu instid0(VALU_DEP_1) | instskip(SKIP_1) | instid1(VALU_DEP_2)
	v_or_b32_e32 v116, v116, v118
	v_and_b32_e32 v128, 3, v118
	v_cmp_ne_u32_e32 vcc_lo, 0, v116
	v_lshlrev_b32_e32 v119, 2, v119
	s_delay_alu instid0(VALU_DEP_1) | instskip(NEXT) | instid1(VALU_DEP_1)
	v_or3_b32 v117, v119, v117, v128
	v_cndmask_b32_e32 v116, 0, v117, vcc_lo
.LBB4_2082:                             ;   in Loop: Header=BB4_1907 Depth=2
	s_or_b32 exec_lo, exec_lo, s23
.LBB4_2083:                             ;   in Loop: Header=BB4_1907 Depth=2
	s_delay_alu instid0(SALU_CYCLE_1) | instskip(SKIP_3) | instid1(VALU_DEP_1)
	s_or_b32 exec_lo, exec_lo, s22
	v_lshrrev_b32_e32 v118, 24, v24
	s_mov_b32 s7, 0
	s_mov_b32 s23, exec_lo
                                        ; implicit-def: $sgpr22
	v_cmpx_lt_i16_e32 0x7f, v118
	s_xor_b32 s23, exec_lo, s23
	s_cbranch_execnz .LBB4_2505
; %bb.2084:                             ;   in Loop: Header=BB4_1907 Depth=2
	s_or_saveexec_b32 s23, s23
	v_mov_b32_e32 v117, s22
	s_xor_b32 exec_lo, exec_lo, s23
	s_cbranch_execnz .LBB4_2508
.LBB4_2085:                             ;   in Loop: Header=BB4_1907 Depth=2
	s_or_b32 exec_lo, exec_lo, s23
	s_and_saveexec_b32 s22, s7
	s_cbranch_execz .LBB4_2087
.LBB4_2086:                             ;   in Loop: Header=BB4_1907 Depth=2
	v_bfe_u32 v117, v24, 24, 2
	s_delay_alu instid0(VALU_DEP_1) | instskip(NEXT) | instid1(VALU_DEP_1)
	v_clz_i32_u32_e32 v119, v117
	v_min_u32_e32 v119, 32, v119
	s_delay_alu instid0(VALU_DEP_1) | instskip(SKIP_1) | instid1(VALU_DEP_2)
	v_subrev_nc_u32_e32 v128, 29, v119
	v_sub_nc_u32_e32 v119, 30, v119
	v_lshlrev_b32_e32 v118, v128, v118
	v_bfe_u32 v128, v24, 26, 5
	v_and_b32_e32 v24, 0x80000000, v24
	s_delay_alu instid0(VALU_DEP_2) | instskip(NEXT) | instid1(VALU_DEP_4)
	v_cmp_eq_u32_e32 vcc_lo, 0, v128
	v_dual_cndmask_b32 v119, v128, v119 :: v_dual_and_b32 v118, 3, v118
	s_delay_alu instid0(VALU_DEP_1) | instskip(NEXT) | instid1(VALU_DEP_2)
	v_cndmask_b32_e32 v117, v117, v118, vcc_lo
	v_lshl_add_u32 v118, v119, 23, 0x37800000
	s_delay_alu instid0(VALU_DEP_2) | instskip(NEXT) | instid1(VALU_DEP_1)
	v_lshlrev_b32_e32 v117, 21, v117
	v_or3_b32 v117, v24, v118, v117
.LBB4_2087:                             ;   in Loop: Header=BB4_1907 Depth=2
	s_or_b32 exec_lo, exec_lo, s22
	v_lshrrev_b32_e32 v24, 24, v20
	s_mov_b32 s7, 0
	s_mov_b32 s23, exec_lo
                                        ; implicit-def: $sgpr22
	s_delay_alu instid0(VALU_DEP_1)
	v_cmpx_lt_i16_e32 0x7f, v24
	s_xor_b32 s23, exec_lo, s23
	s_cbranch_execnz .LBB4_2509
; %bb.2088:                             ;   in Loop: Header=BB4_1907 Depth=2
	s_or_saveexec_b32 s23, s23
	v_mov_b32_e32 v118, s22
	s_xor_b32 exec_lo, exec_lo, s23
	s_cbranch_execnz .LBB4_2512
.LBB4_2089:                             ;   in Loop: Header=BB4_1907 Depth=2
	s_or_b32 exec_lo, exec_lo, s23
	s_and_saveexec_b32 s22, s7
	s_cbranch_execz .LBB4_2091
.LBB4_2090:                             ;   in Loop: Header=BB4_1907 Depth=2
	v_bfe_u32 v118, v20, 24, 2
	s_delay_alu instid0(VALU_DEP_1) | instskip(NEXT) | instid1(VALU_DEP_1)
	v_clz_i32_u32_e32 v119, v118
	v_min_u32_e32 v119, 32, v119
	s_delay_alu instid0(VALU_DEP_1) | instskip(SKIP_1) | instid1(VALU_DEP_2)
	v_subrev_nc_u32_e32 v128, 29, v119
	v_sub_nc_u32_e32 v119, 30, v119
	v_lshlrev_b32_e32 v24, v128, v24
	v_bfe_u32 v128, v20, 26, 5
	v_and_b32_e32 v20, 0x80000000, v20
	s_delay_alu instid0(VALU_DEP_2) | instskip(NEXT) | instid1(VALU_DEP_4)
	v_cmp_eq_u32_e32 vcc_lo, 0, v128
	v_dual_cndmask_b32 v119, v128, v119 :: v_dual_and_b32 v24, 3, v24
	s_delay_alu instid0(VALU_DEP_1) | instskip(NEXT) | instid1(VALU_DEP_2)
	v_cndmask_b32_e32 v24, v118, v24, vcc_lo
	v_lshl_add_u32 v118, v119, 23, 0x37800000
	s_delay_alu instid0(VALU_DEP_2) | instskip(NEXT) | instid1(VALU_DEP_1)
	v_lshlrev_b32_e32 v24, 21, v24
	v_or3_b32 v118, v20, v118, v24
.LBB4_2091:                             ;   in Loop: Header=BB4_1907 Depth=2
	s_or_b32 exec_lo, exec_lo, s22
	s_delay_alu instid0(VALU_DEP_1) | instskip(NEXT) | instid1(VALU_DEP_1)
	v_mul_f32_e32 v24, v117, v118
	v_and_b32_e32 v20, 0x7f800000, v24
	s_delay_alu instid0(VALU_DEP_1)
	v_cmp_ne_u32_e32 vcc_lo, 0x7f800000, v20
	v_mov_b32_e32 v20, 0x80
	s_and_saveexec_b32 s22, vcc_lo
	s_cbranch_execz .LBB4_2099
; %bb.2092:                             ;   in Loop: Header=BB4_1907 Depth=2
	v_mov_b32_e32 v20, 0
	s_mov_b32 s23, exec_lo
	v_cmpx_ne_u32_e32 0, v24
	s_cbranch_execz .LBB4_2098
; %bb.2093:                             ;   in Loop: Header=BB4_1907 Depth=2
	v_bfe_u32 v20, v24, 23, 8
	s_delay_alu instid0(VALU_DEP_1) | instskip(SKIP_1) | instid1(VALU_DEP_2)
	v_sub_nc_u32_e32 v118, 0x70, v20
	v_cmp_gt_u32_e32 vcc_lo, 0x71, v20
	v_dual_cndmask_b32 v118, 0, v118 :: v_dual_and_b32 v117, 0x7fffff, v24
	s_delay_alu instid0(VALU_DEP_1) | instskip(SKIP_2) | instid1(VALU_DEP_4)
	v_or_b32_e32 v119, 0x800000, v117
	v_cmp_eq_u32_e32 vcc_lo, 0, v20
	v_add_nc_u32_e32 v20, 0xffffff91, v20
	v_cndmask_b32_e64 v118, v118, 0x6f, vcc_lo
	s_delay_alu instid0(VALU_DEP_4) | instskip(NEXT) | instid1(VALU_DEP_3)
	v_cndmask_b32_e32 v117, v119, v117, vcc_lo
	v_cndmask_b32_e64 v20, v20, 0xffffff92, vcc_lo
	s_delay_alu instid0(VALU_DEP_3) | instskip(NEXT) | instid1(VALU_DEP_3)
	v_lshl_add_u32 v119, 0x200000, v118, -1
	v_lshrrev_b32_e32 v128, v118, v117
	v_lshlrev_b32_e64 v130, v118, 0x100000
	s_delay_alu instid0(VALU_DEP_4) | instskip(NEXT) | instid1(VALU_DEP_4)
	v_add_nc_u32_e32 v118, v118, v20
	v_and_b32_e32 v117, v119, v117
	s_delay_alu instid0(VALU_DEP_4) | instskip(NEXT) | instid1(VALU_DEP_2)
	v_bfe_u32 v129, v128, 21, 1
	v_cmp_eq_u32_e64 s7, v117, v130
	s_delay_alu instid0(VALU_DEP_2) | instskip(NEXT) | instid1(VALU_DEP_1)
	v_add_nc_u32_e32 v119, -1, v129
	v_cndmask_b32_e64 v117, 0, v119, s7
	v_lshrrev_b32_e32 v119, 23, v128
	s_mov_b32 s7, exec_lo
	s_delay_alu instid0(VALU_DEP_2) | instskip(NEXT) | instid1(VALU_DEP_2)
	v_add_nc_u32_e32 v117, v117, v128
	v_xor_b32_e32 v119, 1, v119
	s_delay_alu instid0(VALU_DEP_2) | instskip(NEXT) | instid1(VALU_DEP_1)
	v_and_b32_e32 v20, 0x1fffff, v117
	v_add_nc_u32_e32 v117, v20, v128
                                        ; implicit-def: $vgpr20
	s_delay_alu instid0(VALU_DEP_3)
	v_cmpx_ne_u32_e64 v118, v119
	s_xor_b32 s7, exec_lo, s7
; %bb.2094:                             ;   in Loop: Header=BB4_1907 Depth=2
	s_delay_alu instid0(VALU_DEP_2) | instskip(SKIP_2) | instid1(VALU_DEP_2)
	v_cmp_lt_u32_e32 vcc_lo, 0xffffff, v117
	v_sub_nc_u32_e32 v20, v118, v119
	v_cndmask_b32_e64 v118, 0, 1, vcc_lo
	v_add_co_ci_u32_e32 v20, vcc_lo, 0, v20, vcc_lo
	s_delay_alu instid0(VALU_DEP_2)
	v_lshrrev_b32_e32 v117, v118, v117
; %bb.2095:                             ;   in Loop: Header=BB4_1907 Depth=2
	s_and_not1_saveexec_b32 s7, s7
; %bb.2096:                             ;   in Loop: Header=BB4_1907 Depth=2
	s_delay_alu instid0(VALU_DEP_1)
	v_bfe_u32 v20, v117, 23, 1
; %bb.2097:                             ;   in Loop: Header=BB4_1907 Depth=2
	s_or_b32 exec_lo, exec_lo, s7
	v_lshrrev_b32_e32 v117, 21, v117
	s_delay_alu instid0(VALU_DEP_2) | instskip(SKIP_2) | instid1(VALU_DEP_2)
	v_cmp_gt_i32_e32 vcc_lo, 32, v20
	v_lshrrev_b32_e32 v24, 24, v24
	v_min_i32_e32 v118, 31, v20
	v_dual_cndmask_b32 v117, 3, v117 :: v_dual_and_b32 v24, 0x80, v24
	s_delay_alu instid0(VALU_DEP_2) | instskip(NEXT) | instid1(VALU_DEP_2)
	v_lshlrev_b32_e32 v118, 2, v118
	v_or_b32_e32 v20, v20, v117
	s_delay_alu instid0(VALU_DEP_1) | instskip(SKIP_1) | instid1(VALU_DEP_1)
	v_cmp_ne_u32_e32 vcc_lo, 0, v20
	v_and_b32_e32 v119, 3, v117
	v_or3_b32 v24, v118, v24, v119
	s_delay_alu instid0(VALU_DEP_1)
	v_cndmask_b32_e32 v20, 0, v24, vcc_lo
.LBB4_2098:                             ;   in Loop: Header=BB4_1907 Depth=2
	s_or_b32 exec_lo, exec_lo, s23
.LBB4_2099:                             ;   in Loop: Header=BB4_1907 Depth=2
	s_delay_alu instid0(SALU_CYCLE_1) | instskip(SKIP_3) | instid1(VALU_DEP_1)
	s_or_b32 exec_lo, exec_lo, s22
	v_and_b32_e32 v117, 0xff, v25
	s_mov_b32 s7, 0
	s_mov_b32 s23, exec_lo
                                        ; implicit-def: $sgpr22
	v_cmpx_lt_i16_e32 0x7f, v117
	s_xor_b32 s23, exec_lo, s23
	s_cbranch_execnz .LBB4_2513
; %bb.2100:                             ;   in Loop: Header=BB4_1907 Depth=2
	s_or_saveexec_b32 s23, s23
	v_mov_b32_e32 v24, s22
	s_xor_b32 exec_lo, exec_lo, s23
	s_cbranch_execnz .LBB4_2516
.LBB4_2101:                             ;   in Loop: Header=BB4_1907 Depth=2
	s_or_b32 exec_lo, exec_lo, s23
	s_and_saveexec_b32 s22, s7
	s_cbranch_execz .LBB4_2103
.LBB4_2102:                             ;   in Loop: Header=BB4_1907 Depth=2
	v_and_b32_e32 v24, 3, v25
	v_bfe_u32 v119, v25, 2, 5
	v_lshlrev_b32_e32 v128, 24, v25
	s_delay_alu instid0(VALU_DEP_3) | instskip(NEXT) | instid1(VALU_DEP_3)
	v_clz_i32_u32_e32 v117, v24
	v_cmp_eq_u32_e32 vcc_lo, 0, v119
	s_delay_alu instid0(VALU_DEP_2) | instskip(NEXT) | instid1(VALU_DEP_1)
	v_min_u32_e32 v117, 32, v117
	v_subrev_nc_u32_e32 v118, 29, v117
	v_sub_nc_u32_e32 v117, 30, v117
	s_delay_alu instid0(VALU_DEP_2) | instskip(NEXT) | instid1(VALU_DEP_1)
	v_lshlrev_b32_e32 v118, v118, v25
	v_dual_cndmask_b32 v117, v119, v117 :: v_dual_and_b32 v118, 3, v118
	s_delay_alu instid0(VALU_DEP_1) | instskip(NEXT) | instid1(VALU_DEP_2)
	v_lshl_add_u32 v117, v117, 23, 0x37800000
	v_cndmask_b32_e32 v24, v24, v118, vcc_lo
	v_and_b32_e32 v118, 0x80000000, v128
	s_delay_alu instid0(VALU_DEP_2) | instskip(NEXT) | instid1(VALU_DEP_1)
	v_lshlrev_b32_e32 v24, 21, v24
	v_or3_b32 v24, v118, v117, v24
.LBB4_2103:                             ;   in Loop: Header=BB4_1907 Depth=2
	s_or_b32 exec_lo, exec_lo, s22
	v_and_b32_e32 v118, 0xff, v21
	s_mov_b32 s7, 0
	s_mov_b32 s23, exec_lo
                                        ; implicit-def: $sgpr22
	s_delay_alu instid0(VALU_DEP_1)
	v_cmpx_lt_i16_e32 0x7f, v118
	s_xor_b32 s23, exec_lo, s23
	s_cbranch_execnz .LBB4_2517
; %bb.2104:                             ;   in Loop: Header=BB4_1907 Depth=2
	s_or_saveexec_b32 s23, s23
	v_mov_b32_e32 v117, s22
	s_xor_b32 exec_lo, exec_lo, s23
	s_cbranch_execnz .LBB4_2520
.LBB4_2105:                             ;   in Loop: Header=BB4_1907 Depth=2
	s_or_b32 exec_lo, exec_lo, s23
	s_and_saveexec_b32 s22, s7
	s_cbranch_execz .LBB4_2107
.LBB4_2106:                             ;   in Loop: Header=BB4_1907 Depth=2
	v_bfe_u32 v128, v21, 2, 5
	v_lshlrev_b32_e32 v129, 24, v21
	s_delay_alu instid0(VALU_DEP_2) | instskip(SKIP_1) | instid1(VALU_DEP_1)
	v_cmp_eq_u32_e32 vcc_lo, 0, v128
	v_and_b32_e32 v117, 3, v21
	v_clz_i32_u32_e32 v118, v117
	s_delay_alu instid0(VALU_DEP_1) | instskip(NEXT) | instid1(VALU_DEP_1)
	v_min_u32_e32 v118, 32, v118
	v_subrev_nc_u32_e32 v119, 29, v118
	v_sub_nc_u32_e32 v118, 30, v118
	s_delay_alu instid0(VALU_DEP_1) | instskip(NEXT) | instid1(VALU_DEP_1)
	v_dual_cndmask_b32 v118, v128, v118 :: v_dual_lshlrev_b32 v119, v119, v21
	v_and_b32_e32 v119, 3, v119
	s_delay_alu instid0(VALU_DEP_2) | instskip(NEXT) | instid1(VALU_DEP_2)
	v_lshl_add_u32 v118, v118, 23, 0x37800000
	v_cndmask_b32_e32 v117, v117, v119, vcc_lo
	v_and_b32_e32 v119, 0x80000000, v129
	s_delay_alu instid0(VALU_DEP_2) | instskip(NEXT) | instid1(VALU_DEP_1)
	v_lshlrev_b32_e32 v117, 21, v117
	v_or3_b32 v117, v119, v118, v117
.LBB4_2107:                             ;   in Loop: Header=BB4_1907 Depth=2
	s_or_b32 exec_lo, exec_lo, s22
	s_delay_alu instid0(VALU_DEP_1) | instskip(NEXT) | instid1(VALU_DEP_1)
	v_mul_f32_e32 v117, v24, v117
	v_and_b32_e32 v24, 0x7f800000, v117
	s_delay_alu instid0(VALU_DEP_1)
	v_cmp_ne_u32_e32 vcc_lo, 0x7f800000, v24
	v_mov_b32_e32 v24, 0x80
	s_and_saveexec_b32 s22, vcc_lo
	s_cbranch_execz .LBB4_2115
; %bb.2108:                             ;   in Loop: Header=BB4_1907 Depth=2
	v_mov_b32_e32 v24, 0
	s_mov_b32 s23, exec_lo
	v_cmpx_ne_u32_e32 0, v117
	s_cbranch_execz .LBB4_2114
; %bb.2109:                             ;   in Loop: Header=BB4_1907 Depth=2
	v_bfe_u32 v24, v117, 23, 8
	s_delay_alu instid0(VALU_DEP_1) | instskip(SKIP_1) | instid1(VALU_DEP_2)
	v_sub_nc_u32_e32 v119, 0x70, v24
	v_cmp_gt_u32_e32 vcc_lo, 0x71, v24
	v_dual_cndmask_b32 v119, 0, v119 :: v_dual_and_b32 v118, 0x7fffff, v117
	s_delay_alu instid0(VALU_DEP_1) | instskip(SKIP_2) | instid1(VALU_DEP_4)
	v_or_b32_e32 v128, 0x800000, v118
	v_cmp_eq_u32_e32 vcc_lo, 0, v24
	v_add_nc_u32_e32 v24, 0xffffff91, v24
	v_cndmask_b32_e64 v119, v119, 0x6f, vcc_lo
	s_delay_alu instid0(VALU_DEP_2) | instskip(SKIP_1) | instid1(VALU_DEP_3)
	v_cndmask_b32_e64 v24, v24, 0xffffff92, vcc_lo
	v_cndmask_b32_e32 v118, v128, v118, vcc_lo
	v_lshl_add_u32 v128, 0x200000, v119, -1
	v_lshlrev_b32_e64 v131, v119, 0x100000
	s_delay_alu instid0(VALU_DEP_3) | instskip(SKIP_1) | instid1(VALU_DEP_4)
	v_lshrrev_b32_e32 v129, v119, v118
	v_add_nc_u32_e32 v119, v119, v24
	v_and_b32_e32 v118, v128, v118
	s_delay_alu instid0(VALU_DEP_3) | instskip(NEXT) | instid1(VALU_DEP_2)
	v_bfe_u32 v130, v129, 21, 1
	v_cmp_eq_u32_e64 s7, v118, v131
	s_delay_alu instid0(VALU_DEP_2) | instskip(NEXT) | instid1(VALU_DEP_1)
	v_add_nc_u32_e32 v128, -1, v130
	v_cndmask_b32_e64 v118, 0, v128, s7
	v_lshrrev_b32_e32 v128, 23, v129
	s_mov_b32 s7, exec_lo
	s_delay_alu instid0(VALU_DEP_2) | instskip(NEXT) | instid1(VALU_DEP_2)
	v_add_nc_u32_e32 v118, v118, v129
	v_xor_b32_e32 v128, 1, v128
	s_delay_alu instid0(VALU_DEP_2) | instskip(NEXT) | instid1(VALU_DEP_1)
	v_and_b32_e32 v24, 0x1fffff, v118
	v_add_nc_u32_e32 v118, v24, v129
                                        ; implicit-def: $vgpr24
	s_delay_alu instid0(VALU_DEP_3)
	v_cmpx_ne_u32_e64 v119, v128
	s_xor_b32 s7, exec_lo, s7
; %bb.2110:                             ;   in Loop: Header=BB4_1907 Depth=2
	s_delay_alu instid0(VALU_DEP_2) | instskip(SKIP_2) | instid1(VALU_DEP_2)
	v_cmp_lt_u32_e32 vcc_lo, 0xffffff, v118
	v_sub_nc_u32_e32 v24, v119, v128
	v_cndmask_b32_e64 v119, 0, 1, vcc_lo
	v_add_co_ci_u32_e32 v24, vcc_lo, 0, v24, vcc_lo
	s_delay_alu instid0(VALU_DEP_2)
	v_lshrrev_b32_e32 v118, v119, v118
; %bb.2111:                             ;   in Loop: Header=BB4_1907 Depth=2
	s_and_not1_saveexec_b32 s7, s7
; %bb.2112:                             ;   in Loop: Header=BB4_1907 Depth=2
	s_delay_alu instid0(VALU_DEP_1)
	v_bfe_u32 v24, v118, 23, 1
; %bb.2113:                             ;   in Loop: Header=BB4_1907 Depth=2
	s_or_b32 exec_lo, exec_lo, s7
	v_lshrrev_b32_e32 v118, 21, v118
	s_delay_alu instid0(VALU_DEP_2) | instskip(SKIP_2) | instid1(VALU_DEP_2)
	v_cmp_gt_i32_e32 vcc_lo, 32, v24
	v_lshrrev_b32_e32 v117, 24, v117
	v_min_i32_e32 v119, 31, v24
	v_dual_cndmask_b32 v118, 3, v118 :: v_dual_and_b32 v117, 0x80, v117
	s_delay_alu instid0(VALU_DEP_1) | instskip(SKIP_1) | instid1(VALU_DEP_2)
	v_or_b32_e32 v24, v24, v118
	v_and_b32_e32 v128, 3, v118
	v_cmp_ne_u32_e32 vcc_lo, 0, v24
	v_lshlrev_b32_e32 v119, 2, v119
	s_delay_alu instid0(VALU_DEP_1) | instskip(NEXT) | instid1(VALU_DEP_1)
	v_or3_b32 v117, v119, v117, v128
	v_cndmask_b32_e32 v24, 0, v117, vcc_lo
.LBB4_2114:                             ;   in Loop: Header=BB4_1907 Depth=2
	s_or_b32 exec_lo, exec_lo, s23
.LBB4_2115:                             ;   in Loop: Header=BB4_1907 Depth=2
	s_delay_alu instid0(SALU_CYCLE_1) | instskip(SKIP_3) | instid1(VALU_DEP_1)
	s_or_b32 exec_lo, exec_lo, s22
	v_lshrrev_b16 v118, 8, v25
	s_mov_b32 s7, 0
	s_mov_b32 s23, exec_lo
                                        ; implicit-def: $sgpr22
	v_cmpx_lt_i16_e32 0x7f, v118
	s_xor_b32 s23, exec_lo, s23
	s_cbranch_execnz .LBB4_2521
; %bb.2116:                             ;   in Loop: Header=BB4_1907 Depth=2
	s_or_saveexec_b32 s23, s23
	v_mov_b32_e32 v117, s22
	s_xor_b32 exec_lo, exec_lo, s23
	s_cbranch_execnz .LBB4_2524
.LBB4_2117:                             ;   in Loop: Header=BB4_1907 Depth=2
	s_or_b32 exec_lo, exec_lo, s23
	s_and_saveexec_b32 s22, s7
	s_cbranch_execz .LBB4_2119
.LBB4_2118:                             ;   in Loop: Header=BB4_1907 Depth=2
	v_and_b32_e32 v117, 0xffff, v118
	s_delay_alu instid0(VALU_DEP_1) | instskip(NEXT) | instid1(VALU_DEP_1)
	v_and_b32_e32 v119, 3, v117
	v_clz_i32_u32_e32 v128, v119
	s_delay_alu instid0(VALU_DEP_1) | instskip(NEXT) | instid1(VALU_DEP_1)
	v_min_u32_e32 v128, 32, v128
	v_subrev_nc_u32_e32 v129, 29, v128
	v_sub_nc_u32_e32 v128, 30, v128
	s_delay_alu instid0(VALU_DEP_2) | instskip(SKIP_1) | instid1(VALU_DEP_2)
	v_lshlrev_b32_e32 v129, v129, v117
	v_bfe_u32 v117, v117, 2, 5
	v_and_b32_e32 v129, 3, v129
	s_delay_alu instid0(VALU_DEP_2) | instskip(SKIP_1) | instid1(VALU_DEP_1)
	v_cmp_eq_u32_e32 vcc_lo, 0, v117
	v_dual_cndmask_b32 v117, v117, v128 :: v_dual_lshlrev_b32 v118, 24, v118
	v_dual_cndmask_b32 v119, v119, v129 :: v_dual_and_b32 v118, 0x80000000, v118
	s_delay_alu instid0(VALU_DEP_2) | instskip(NEXT) | instid1(VALU_DEP_2)
	v_lshl_add_u32 v117, v117, 23, 0x37800000
	v_lshlrev_b32_e32 v119, 21, v119
	s_delay_alu instid0(VALU_DEP_1)
	v_or3_b32 v117, v118, v117, v119
.LBB4_2119:                             ;   in Loop: Header=BB4_1907 Depth=2
	s_or_b32 exec_lo, exec_lo, s22
	v_lshrrev_b16 v118, 8, v21
	s_mov_b32 s7, 0
	s_mov_b32 s23, exec_lo
                                        ; implicit-def: $sgpr22
	s_delay_alu instid0(VALU_DEP_1)
	v_cmpx_lt_i16_e32 0x7f, v118
	s_xor_b32 s23, exec_lo, s23
	s_cbranch_execnz .LBB4_2525
; %bb.2120:                             ;   in Loop: Header=BB4_1907 Depth=2
	s_or_saveexec_b32 s23, s23
	v_mov_b32_e32 v119, s22
	s_xor_b32 exec_lo, exec_lo, s23
	s_cbranch_execnz .LBB4_2528
.LBB4_2121:                             ;   in Loop: Header=BB4_1907 Depth=2
	s_or_b32 exec_lo, exec_lo, s23
	s_and_saveexec_b32 s22, s7
	s_cbranch_execz .LBB4_2123
.LBB4_2122:                             ;   in Loop: Header=BB4_1907 Depth=2
	v_and_b32_e32 v119, 0xffff, v118
	v_lshlrev_b32_e32 v118, 24, v118
	s_delay_alu instid0(VALU_DEP_2) | instskip(NEXT) | instid1(VALU_DEP_2)
	v_and_b32_e32 v128, 3, v119
	v_and_b32_e32 v118, 0x80000000, v118
	s_delay_alu instid0(VALU_DEP_2) | instskip(NEXT) | instid1(VALU_DEP_1)
	v_clz_i32_u32_e32 v129, v128
	v_min_u32_e32 v129, 32, v129
	s_delay_alu instid0(VALU_DEP_1) | instskip(SKIP_1) | instid1(VALU_DEP_2)
	v_subrev_nc_u32_e32 v130, 29, v129
	v_sub_nc_u32_e32 v129, 30, v129
	v_lshlrev_b32_e32 v130, v130, v119
	v_bfe_u32 v119, v119, 2, 5
	s_delay_alu instid0(VALU_DEP_2) | instskip(NEXT) | instid1(VALU_DEP_2)
	v_and_b32_e32 v130, 3, v130
	v_cmp_eq_u32_e32 vcc_lo, 0, v119
	s_delay_alu instid0(VALU_DEP_2) | instskip(NEXT) | instid1(VALU_DEP_1)
	v_dual_cndmask_b32 v119, v119, v129 :: v_dual_cndmask_b32 v128, v128, v130
	v_lshl_add_u32 v119, v119, 23, 0x37800000
	s_delay_alu instid0(VALU_DEP_2) | instskip(NEXT) | instid1(VALU_DEP_1)
	v_lshlrev_b32_e32 v128, 21, v128
	v_or3_b32 v119, v118, v119, v128
.LBB4_2123:                             ;   in Loop: Header=BB4_1907 Depth=2
	s_or_b32 exec_lo, exec_lo, s22
	s_delay_alu instid0(VALU_DEP_1) | instskip(NEXT) | instid1(VALU_DEP_1)
	v_mul_f32_e32 v118, v117, v119
	v_and_b32_e32 v117, 0x7f800000, v118
	s_delay_alu instid0(VALU_DEP_1)
	v_cmp_ne_u32_e32 vcc_lo, 0x7f800000, v117
	v_mov_b32_e32 v117, 0x8000
	s_and_saveexec_b32 s22, vcc_lo
	s_cbranch_execz .LBB4_2131
; %bb.2124:                             ;   in Loop: Header=BB4_1907 Depth=2
	v_mov_b32_e32 v117, 0
	s_mov_b32 s23, exec_lo
	v_cmpx_ne_u32_e32 0, v118
	s_cbranch_execz .LBB4_2130
; %bb.2125:                             ;   in Loop: Header=BB4_1907 Depth=2
	v_bfe_u32 v117, v118, 23, 8
	s_delay_alu instid0(VALU_DEP_1) | instskip(SKIP_1) | instid1(VALU_DEP_2)
	v_sub_nc_u32_e32 v128, 0x70, v117
	v_cmp_gt_u32_e32 vcc_lo, 0x71, v117
	v_dual_cndmask_b32 v128, 0, v128 :: v_dual_and_b32 v119, 0x7fffff, v118
	s_delay_alu instid0(VALU_DEP_1) | instskip(SKIP_2) | instid1(VALU_DEP_4)
	v_or_b32_e32 v129, 0x800000, v119
	v_cmp_eq_u32_e32 vcc_lo, 0, v117
	v_add_nc_u32_e32 v117, 0xffffff91, v117
	v_cndmask_b32_e64 v128, v128, 0x6f, vcc_lo
	s_delay_alu instid0(VALU_DEP_2) | instskip(SKIP_1) | instid1(VALU_DEP_3)
	v_cndmask_b32_e64 v117, v117, 0xffffff92, vcc_lo
	v_cndmask_b32_e32 v119, v129, v119, vcc_lo
	v_lshl_add_u32 v129, 0x200000, v128, -1
	v_lshlrev_b32_e64 v132, v128, 0x100000
	s_delay_alu instid0(VALU_DEP_3) | instskip(SKIP_1) | instid1(VALU_DEP_4)
	v_lshrrev_b32_e32 v130, v128, v119
	v_add_nc_u32_e32 v128, v128, v117
	v_and_b32_e32 v119, v129, v119
	s_delay_alu instid0(VALU_DEP_3) | instskip(NEXT) | instid1(VALU_DEP_2)
	v_bfe_u32 v131, v130, 21, 1
	v_cmp_eq_u32_e64 s7, v119, v132
	s_delay_alu instid0(VALU_DEP_2) | instskip(NEXT) | instid1(VALU_DEP_1)
	v_add_nc_u32_e32 v129, -1, v131
	v_cndmask_b32_e64 v119, 0, v129, s7
	v_lshrrev_b32_e32 v129, 23, v130
	s_mov_b32 s7, exec_lo
	s_delay_alu instid0(VALU_DEP_2) | instskip(NEXT) | instid1(VALU_DEP_2)
	v_add_nc_u32_e32 v119, v119, v130
	v_xor_b32_e32 v129, 1, v129
	s_delay_alu instid0(VALU_DEP_2) | instskip(NEXT) | instid1(VALU_DEP_1)
	v_and_b32_e32 v117, 0x1fffff, v119
	v_add_nc_u32_e32 v119, v117, v130
                                        ; implicit-def: $vgpr117
	s_delay_alu instid0(VALU_DEP_3)
	v_cmpx_ne_u32_e64 v128, v129
	s_xor_b32 s7, exec_lo, s7
; %bb.2126:                             ;   in Loop: Header=BB4_1907 Depth=2
	s_delay_alu instid0(VALU_DEP_2) | instskip(SKIP_2) | instid1(VALU_DEP_2)
	v_cmp_lt_u32_e32 vcc_lo, 0xffffff, v119
	v_sub_nc_u32_e32 v117, v128, v129
	v_cndmask_b32_e64 v128, 0, 1, vcc_lo
	v_add_co_ci_u32_e32 v117, vcc_lo, 0, v117, vcc_lo
	s_delay_alu instid0(VALU_DEP_2)
	v_lshrrev_b32_e32 v119, v128, v119
; %bb.2127:                             ;   in Loop: Header=BB4_1907 Depth=2
	s_and_not1_saveexec_b32 s7, s7
; %bb.2128:                             ;   in Loop: Header=BB4_1907 Depth=2
	s_delay_alu instid0(VALU_DEP_1)
	v_bfe_u32 v117, v119, 23, 1
; %bb.2129:                             ;   in Loop: Header=BB4_1907 Depth=2
	s_or_b32 exec_lo, exec_lo, s7
	v_lshrrev_b32_e32 v119, 21, v119
	s_delay_alu instid0(VALU_DEP_2) | instskip(SKIP_2) | instid1(VALU_DEP_2)
	v_cmp_gt_i32_e32 vcc_lo, 32, v117
	v_min_i32_e32 v128, 31, v117
	v_lshrrev_b32_e32 v118, 24, v118
	v_dual_cndmask_b32 v119, 3, v119 :: v_dual_lshlrev_b32 v128, 2, v128
	s_delay_alu instid0(VALU_DEP_2) | instskip(NEXT) | instid1(VALU_DEP_2)
	v_and_b32_e32 v118, 0x80, v118
	v_or_b32_e32 v117, v117, v119
	v_and_b32_e32 v129, 3, v119
	s_delay_alu instid0(VALU_DEP_2) | instskip(SKIP_1) | instid1(VALU_DEP_1)
	v_cmp_ne_u32_e32 vcc_lo, 0, v117
	v_and_b32_e32 v128, 0xfc, v128
	v_or3_b32 v118, v118, v128, v129
	s_delay_alu instid0(VALU_DEP_1) | instskip(NEXT) | instid1(VALU_DEP_1)
	v_lshlrev_b32_e32 v118, 8, v118
	v_cndmask_b32_e32 v117, 0, v118, vcc_lo
.LBB4_2130:                             ;   in Loop: Header=BB4_1907 Depth=2
	s_or_b32 exec_lo, exec_lo, s23
.LBB4_2131:                             ;   in Loop: Header=BB4_1907 Depth=2
	s_delay_alu instid0(SALU_CYCLE_1) | instskip(SKIP_3) | instid1(VALU_DEP_1)
	s_or_b32 exec_lo, exec_lo, s22
	v_lshrrev_b32_e32 v119, 16, v25
	s_mov_b32 s7, 0
	s_mov_b32 s23, exec_lo
                                        ; implicit-def: $sgpr22
	v_and_b32_e32 v128, 0xff, v119
	s_delay_alu instid0(VALU_DEP_1)
	v_cmpx_lt_i16_e64 0x7f, v128
	s_xor_b32 s23, exec_lo, s23
	s_cbranch_execnz .LBB4_2529
; %bb.2132:                             ;   in Loop: Header=BB4_1907 Depth=2
	s_or_saveexec_b32 s23, s23
	v_mov_b32_e32 v118, s22
	s_xor_b32 exec_lo, exec_lo, s23
	s_cbranch_execnz .LBB4_2532
.LBB4_2133:                             ;   in Loop: Header=BB4_1907 Depth=2
	s_or_b32 exec_lo, exec_lo, s23
	s_and_saveexec_b32 s22, s7
	s_cbranch_execz .LBB4_2135
.LBB4_2134:                             ;   in Loop: Header=BB4_1907 Depth=2
	v_bfe_u32 v118, v25, 16, 2
	v_lshlrev_b32_e32 v130, 8, v25
	s_delay_alu instid0(VALU_DEP_2) | instskip(NEXT) | instid1(VALU_DEP_1)
	v_clz_i32_u32_e32 v128, v118
	v_min_u32_e32 v128, 32, v128
	s_delay_alu instid0(VALU_DEP_1) | instskip(SKIP_1) | instid1(VALU_DEP_2)
	v_subrev_nc_u32_e32 v129, 29, v128
	v_sub_nc_u32_e32 v128, 30, v128
	v_lshlrev_b32_e32 v119, v129, v119
	v_bfe_u32 v129, v25, 18, 5
	s_delay_alu instid0(VALU_DEP_1) | instskip(NEXT) | instid1(VALU_DEP_3)
	v_cmp_eq_u32_e32 vcc_lo, 0, v129
	v_dual_cndmask_b32 v128, v129, v128 :: v_dual_and_b32 v119, 3, v119
	s_delay_alu instid0(VALU_DEP_1) | instskip(NEXT) | instid1(VALU_DEP_2)
	v_dual_cndmask_b32 v118, v118, v119 :: v_dual_and_b32 v119, 0x80000000, v130
	v_lshl_add_u32 v128, v128, 23, 0x37800000
	s_delay_alu instid0(VALU_DEP_2) | instskip(NEXT) | instid1(VALU_DEP_1)
	v_lshlrev_b32_e32 v118, 21, v118
	v_or3_b32 v118, v119, v128, v118
.LBB4_2135:                             ;   in Loop: Header=BB4_1907 Depth=2
	s_or_b32 exec_lo, exec_lo, s22
	v_lshrrev_b32_e32 v119, 16, v21
	s_mov_b32 s7, 0
	s_mov_b32 s23, exec_lo
                                        ; implicit-def: $sgpr22
	s_delay_alu instid0(VALU_DEP_1) | instskip(NEXT) | instid1(VALU_DEP_1)
	v_and_b32_e32 v129, 0xff, v119
	v_cmpx_lt_i16_e64 0x7f, v129
	s_xor_b32 s23, exec_lo, s23
	s_cbranch_execnz .LBB4_2533
; %bb.2136:                             ;   in Loop: Header=BB4_1907 Depth=2
	s_or_saveexec_b32 s23, s23
	v_mov_b32_e32 v128, s22
	s_xor_b32 exec_lo, exec_lo, s23
	s_cbranch_execnz .LBB4_2536
.LBB4_2137:                             ;   in Loop: Header=BB4_1907 Depth=2
	s_or_b32 exec_lo, exec_lo, s23
	s_and_saveexec_b32 s22, s7
	s_cbranch_execz .LBB4_2139
.LBB4_2138:                             ;   in Loop: Header=BB4_1907 Depth=2
	v_bfe_u32 v128, v21, 16, 2
	v_lshlrev_b32_e32 v131, 8, v21
	s_delay_alu instid0(VALU_DEP_2) | instskip(NEXT) | instid1(VALU_DEP_1)
	v_clz_i32_u32_e32 v129, v128
	v_min_u32_e32 v129, 32, v129
	s_delay_alu instid0(VALU_DEP_1) | instskip(SKIP_1) | instid1(VALU_DEP_2)
	v_subrev_nc_u32_e32 v130, 29, v129
	v_sub_nc_u32_e32 v129, 30, v129
	v_lshlrev_b32_e32 v119, v130, v119
	v_bfe_u32 v130, v21, 18, 5
	s_delay_alu instid0(VALU_DEP_2) | instskip(NEXT) | instid1(VALU_DEP_2)
	v_and_b32_e32 v119, 3, v119
	v_cmp_eq_u32_e32 vcc_lo, 0, v130
	v_cndmask_b32_e32 v129, v130, v129, vcc_lo
	s_delay_alu instid0(VALU_DEP_3) | instskip(SKIP_1) | instid1(VALU_DEP_3)
	v_cndmask_b32_e32 v119, v128, v119, vcc_lo
	v_and_b32_e32 v128, 0x80000000, v131
	v_lshl_add_u32 v129, v129, 23, 0x37800000
	s_delay_alu instid0(VALU_DEP_3) | instskip(NEXT) | instid1(VALU_DEP_1)
	v_lshlrev_b32_e32 v119, 21, v119
	v_or3_b32 v128, v128, v129, v119
.LBB4_2139:                             ;   in Loop: Header=BB4_1907 Depth=2
	s_or_b32 exec_lo, exec_lo, s22
	s_delay_alu instid0(VALU_DEP_1) | instskip(NEXT) | instid1(VALU_DEP_1)
	v_mul_f32_e32 v119, v118, v128
	v_and_b32_e32 v118, 0x7f800000, v119
	s_delay_alu instid0(VALU_DEP_1)
	v_cmp_ne_u32_e32 vcc_lo, 0x7f800000, v118
	v_mov_b32_e32 v118, 0x80
	s_and_saveexec_b32 s22, vcc_lo
	s_cbranch_execz .LBB4_2147
; %bb.2140:                             ;   in Loop: Header=BB4_1907 Depth=2
	v_mov_b32_e32 v118, 0
	s_mov_b32 s23, exec_lo
	v_cmpx_ne_u32_e32 0, v119
	s_cbranch_execz .LBB4_2146
; %bb.2141:                             ;   in Loop: Header=BB4_1907 Depth=2
	v_bfe_u32 v118, v119, 23, 8
	s_delay_alu instid0(VALU_DEP_1) | instskip(SKIP_1) | instid1(VALU_DEP_2)
	v_sub_nc_u32_e32 v129, 0x70, v118
	v_cmp_gt_u32_e32 vcc_lo, 0x71, v118
	v_dual_cndmask_b32 v129, 0, v129 :: v_dual_and_b32 v128, 0x7fffff, v119
	s_delay_alu instid0(VALU_DEP_1) | instskip(SKIP_2) | instid1(VALU_DEP_4)
	v_or_b32_e32 v130, 0x800000, v128
	v_cmp_eq_u32_e32 vcc_lo, 0, v118
	v_add_nc_u32_e32 v118, 0xffffff91, v118
	v_cndmask_b32_e64 v129, v129, 0x6f, vcc_lo
	s_delay_alu instid0(VALU_DEP_2) | instskip(SKIP_1) | instid1(VALU_DEP_3)
	v_cndmask_b32_e64 v118, v118, 0xffffff92, vcc_lo
	v_cndmask_b32_e32 v128, v130, v128, vcc_lo
	v_lshl_add_u32 v130, 0x200000, v129, -1
	v_lshlrev_b32_e64 v133, v129, 0x100000
	s_delay_alu instid0(VALU_DEP_3) | instskip(SKIP_1) | instid1(VALU_DEP_4)
	v_lshrrev_b32_e32 v131, v129, v128
	v_add_nc_u32_e32 v129, v129, v118
	v_and_b32_e32 v128, v130, v128
	s_delay_alu instid0(VALU_DEP_3) | instskip(NEXT) | instid1(VALU_DEP_2)
	v_bfe_u32 v132, v131, 21, 1
	v_cmp_eq_u32_e64 s7, v128, v133
	s_delay_alu instid0(VALU_DEP_2) | instskip(NEXT) | instid1(VALU_DEP_1)
	v_add_nc_u32_e32 v130, -1, v132
	v_cndmask_b32_e64 v128, 0, v130, s7
	v_lshrrev_b32_e32 v130, 23, v131
	s_mov_b32 s7, exec_lo
	s_delay_alu instid0(VALU_DEP_2) | instskip(NEXT) | instid1(VALU_DEP_2)
	v_add_nc_u32_e32 v128, v128, v131
	v_xor_b32_e32 v130, 1, v130
	s_delay_alu instid0(VALU_DEP_2) | instskip(NEXT) | instid1(VALU_DEP_1)
	v_and_b32_e32 v118, 0x1fffff, v128
	v_add_nc_u32_e32 v128, v118, v131
                                        ; implicit-def: $vgpr118
	s_delay_alu instid0(VALU_DEP_3)
	v_cmpx_ne_u32_e64 v129, v130
	s_xor_b32 s7, exec_lo, s7
; %bb.2142:                             ;   in Loop: Header=BB4_1907 Depth=2
	s_delay_alu instid0(VALU_DEP_2) | instskip(SKIP_2) | instid1(VALU_DEP_2)
	v_cmp_lt_u32_e32 vcc_lo, 0xffffff, v128
	v_sub_nc_u32_e32 v118, v129, v130
	v_cndmask_b32_e64 v129, 0, 1, vcc_lo
	v_add_co_ci_u32_e32 v118, vcc_lo, 0, v118, vcc_lo
	s_delay_alu instid0(VALU_DEP_2)
	v_lshrrev_b32_e32 v128, v129, v128
; %bb.2143:                             ;   in Loop: Header=BB4_1907 Depth=2
	s_and_not1_saveexec_b32 s7, s7
; %bb.2144:                             ;   in Loop: Header=BB4_1907 Depth=2
	s_delay_alu instid0(VALU_DEP_1)
	v_bfe_u32 v118, v128, 23, 1
; %bb.2145:                             ;   in Loop: Header=BB4_1907 Depth=2
	s_or_b32 exec_lo, exec_lo, s7
	v_lshrrev_b32_e32 v128, 21, v128
	s_delay_alu instid0(VALU_DEP_2) | instskip(SKIP_2) | instid1(VALU_DEP_2)
	v_cmp_gt_i32_e32 vcc_lo, 32, v118
	v_min_i32_e32 v129, 31, v118
	v_lshrrev_b32_e32 v119, 24, v119
	v_dual_cndmask_b32 v128, 3, v128 :: v_dual_lshlrev_b32 v129, 2, v129
	s_delay_alu instid0(VALU_DEP_2) | instskip(NEXT) | instid1(VALU_DEP_2)
	v_and_b32_e32 v119, 0x80, v119
	v_or_b32_e32 v118, v118, v128
	v_and_b32_e32 v130, 3, v128
	s_delay_alu instid0(VALU_DEP_2) | instskip(SKIP_1) | instid1(VALU_DEP_1)
	v_cmp_ne_u32_e32 vcc_lo, 0, v118
	v_and_b32_e32 v129, 0xfc, v129
	v_or3_b32 v119, v129, v119, v130
	s_delay_alu instid0(VALU_DEP_1)
	v_cndmask_b32_e32 v118, 0, v119, vcc_lo
.LBB4_2146:                             ;   in Loop: Header=BB4_1907 Depth=2
	s_or_b32 exec_lo, exec_lo, s23
.LBB4_2147:                             ;   in Loop: Header=BB4_1907 Depth=2
	s_delay_alu instid0(SALU_CYCLE_1) | instskip(SKIP_3) | instid1(VALU_DEP_1)
	s_or_b32 exec_lo, exec_lo, s22
	v_lshrrev_b32_e32 v128, 24, v25
	s_mov_b32 s7, 0
	s_mov_b32 s23, exec_lo
                                        ; implicit-def: $sgpr22
	v_cmpx_lt_i16_e64 0x7f, v128
	s_xor_b32 s23, exec_lo, s23
	s_cbranch_execnz .LBB4_2537
; %bb.2148:                             ;   in Loop: Header=BB4_1907 Depth=2
	s_or_saveexec_b32 s23, s23
	v_mov_b32_e32 v119, s22
	s_xor_b32 exec_lo, exec_lo, s23
	s_cbranch_execnz .LBB4_2540
.LBB4_2149:                             ;   in Loop: Header=BB4_1907 Depth=2
	s_or_b32 exec_lo, exec_lo, s23
	s_and_saveexec_b32 s22, s7
	s_cbranch_execz .LBB4_2151
.LBB4_2150:                             ;   in Loop: Header=BB4_1907 Depth=2
	v_bfe_u32 v119, v25, 24, 2
	s_delay_alu instid0(VALU_DEP_1) | instskip(NEXT) | instid1(VALU_DEP_1)
	v_clz_i32_u32_e32 v129, v119
	v_min_u32_e32 v129, 32, v129
	s_delay_alu instid0(VALU_DEP_1) | instskip(SKIP_1) | instid1(VALU_DEP_2)
	v_subrev_nc_u32_e32 v130, 29, v129
	v_sub_nc_u32_e32 v129, 30, v129
	v_lshlrev_b32_e32 v128, v130, v128
	v_bfe_u32 v130, v25, 26, 5
	v_and_b32_e32 v25, 0x80000000, v25
	s_delay_alu instid0(VALU_DEP_2) | instskip(NEXT) | instid1(VALU_DEP_4)
	v_cmp_eq_u32_e32 vcc_lo, 0, v130
	v_dual_cndmask_b32 v129, v130, v129 :: v_dual_and_b32 v128, 3, v128
	s_delay_alu instid0(VALU_DEP_1) | instskip(NEXT) | instid1(VALU_DEP_2)
	v_cndmask_b32_e32 v119, v119, v128, vcc_lo
	v_lshl_add_u32 v128, v129, 23, 0x37800000
	s_delay_alu instid0(VALU_DEP_2) | instskip(NEXT) | instid1(VALU_DEP_1)
	v_lshlrev_b32_e32 v119, 21, v119
	v_or3_b32 v119, v25, v128, v119
.LBB4_2151:                             ;   in Loop: Header=BB4_1907 Depth=2
	s_or_b32 exec_lo, exec_lo, s22
	v_lshrrev_b32_e32 v25, 24, v21
	s_mov_b32 s7, 0
	s_mov_b32 s23, exec_lo
                                        ; implicit-def: $sgpr22
	s_delay_alu instid0(VALU_DEP_1)
	v_cmpx_lt_i16_e32 0x7f, v25
	s_xor_b32 s23, exec_lo, s23
	s_cbranch_execnz .LBB4_2541
; %bb.2152:                             ;   in Loop: Header=BB4_1907 Depth=2
	s_or_saveexec_b32 s23, s23
	v_mov_b32_e32 v128, s22
	s_xor_b32 exec_lo, exec_lo, s23
	s_cbranch_execnz .LBB4_2544
.LBB4_2153:                             ;   in Loop: Header=BB4_1907 Depth=2
	s_or_b32 exec_lo, exec_lo, s23
	s_and_saveexec_b32 s22, s7
	s_cbranch_execz .LBB4_2155
.LBB4_2154:                             ;   in Loop: Header=BB4_1907 Depth=2
	v_bfe_u32 v128, v21, 24, 2
	s_delay_alu instid0(VALU_DEP_1) | instskip(NEXT) | instid1(VALU_DEP_1)
	v_clz_i32_u32_e32 v129, v128
	v_min_u32_e32 v129, 32, v129
	s_delay_alu instid0(VALU_DEP_1) | instskip(SKIP_1) | instid1(VALU_DEP_2)
	v_subrev_nc_u32_e32 v130, 29, v129
	v_sub_nc_u32_e32 v129, 30, v129
	v_lshlrev_b32_e32 v25, v130, v25
	v_bfe_u32 v130, v21, 26, 5
	v_and_b32_e32 v21, 0x80000000, v21
	s_delay_alu instid0(VALU_DEP_3) | instskip(NEXT) | instid1(VALU_DEP_3)
	v_and_b32_e32 v25, 3, v25
	v_cmp_eq_u32_e32 vcc_lo, 0, v130
	v_cndmask_b32_e32 v129, v130, v129, vcc_lo
	s_delay_alu instid0(VALU_DEP_3) | instskip(NEXT) | instid1(VALU_DEP_2)
	v_cndmask_b32_e32 v25, v128, v25, vcc_lo
	v_lshl_add_u32 v128, v129, 23, 0x37800000
	s_delay_alu instid0(VALU_DEP_2) | instskip(NEXT) | instid1(VALU_DEP_1)
	v_lshlrev_b32_e32 v25, 21, v25
	v_or3_b32 v128, v21, v128, v25
.LBB4_2155:                             ;   in Loop: Header=BB4_1907 Depth=2
	s_or_b32 exec_lo, exec_lo, s22
	s_delay_alu instid0(VALU_DEP_1) | instskip(NEXT) | instid1(VALU_DEP_1)
	v_mul_f32_e32 v25, v119, v128
	v_and_b32_e32 v21, 0x7f800000, v25
	s_delay_alu instid0(VALU_DEP_1)
	v_cmp_ne_u32_e32 vcc_lo, 0x7f800000, v21
	v_mov_b32_e32 v21, 0x8000
	s_and_saveexec_b32 s22, vcc_lo
	s_cbranch_execz .LBB4_2163
; %bb.2156:                             ;   in Loop: Header=BB4_1907 Depth=2
	v_mov_b32_e32 v21, 0
	s_mov_b32 s23, exec_lo
	v_cmpx_ne_u32_e32 0, v25
	s_cbranch_execz .LBB4_2162
; %bb.2157:                             ;   in Loop: Header=BB4_1907 Depth=2
	v_bfe_u32 v21, v25, 23, 8
	s_delay_alu instid0(VALU_DEP_1) | instskip(SKIP_1) | instid1(VALU_DEP_2)
	v_sub_nc_u32_e32 v128, 0x70, v21
	v_cmp_gt_u32_e32 vcc_lo, 0x71, v21
	v_dual_cndmask_b32 v128, 0, v128 :: v_dual_and_b32 v119, 0x7fffff, v25
	s_delay_alu instid0(VALU_DEP_1) | instskip(SKIP_2) | instid1(VALU_DEP_4)
	v_or_b32_e32 v129, 0x800000, v119
	v_cmp_eq_u32_e32 vcc_lo, 0, v21
	v_add_nc_u32_e32 v21, 0xffffff91, v21
	v_cndmask_b32_e64 v128, v128, 0x6f, vcc_lo
	s_delay_alu instid0(VALU_DEP_2) | instskip(SKIP_1) | instid1(VALU_DEP_3)
	v_cndmask_b32_e64 v21, v21, 0xffffff92, vcc_lo
	v_cndmask_b32_e32 v119, v129, v119, vcc_lo
	v_lshl_add_u32 v129, 0x200000, v128, -1
	v_lshlrev_b32_e64 v132, v128, 0x100000
	s_delay_alu instid0(VALU_DEP_3) | instskip(SKIP_1) | instid1(VALU_DEP_4)
	v_lshrrev_b32_e32 v130, v128, v119
	v_add_nc_u32_e32 v128, v128, v21
	v_and_b32_e32 v119, v129, v119
	s_delay_alu instid0(VALU_DEP_3) | instskip(NEXT) | instid1(VALU_DEP_2)
	v_bfe_u32 v131, v130, 21, 1
	v_cmp_eq_u32_e64 s7, v119, v132
	s_delay_alu instid0(VALU_DEP_2) | instskip(NEXT) | instid1(VALU_DEP_1)
	v_add_nc_u32_e32 v129, -1, v131
	v_cndmask_b32_e64 v119, 0, v129, s7
	v_lshrrev_b32_e32 v129, 23, v130
	s_mov_b32 s7, exec_lo
	s_delay_alu instid0(VALU_DEP_2) | instskip(NEXT) | instid1(VALU_DEP_2)
	v_add_nc_u32_e32 v119, v119, v130
	v_xor_b32_e32 v129, 1, v129
	s_delay_alu instid0(VALU_DEP_2) | instskip(NEXT) | instid1(VALU_DEP_1)
	v_and_b32_e32 v21, 0x1fffff, v119
	v_add_nc_u32_e32 v119, v21, v130
                                        ; implicit-def: $vgpr21
	s_delay_alu instid0(VALU_DEP_3)
	v_cmpx_ne_u32_e64 v128, v129
	s_xor_b32 s7, exec_lo, s7
; %bb.2158:                             ;   in Loop: Header=BB4_1907 Depth=2
	s_delay_alu instid0(VALU_DEP_2) | instskip(SKIP_2) | instid1(VALU_DEP_2)
	v_cmp_lt_u32_e32 vcc_lo, 0xffffff, v119
	v_sub_nc_u32_e32 v21, v128, v129
	v_cndmask_b32_e64 v128, 0, 1, vcc_lo
	v_add_co_ci_u32_e32 v21, vcc_lo, 0, v21, vcc_lo
	s_delay_alu instid0(VALU_DEP_2)
	v_lshrrev_b32_e32 v119, v128, v119
; %bb.2159:                             ;   in Loop: Header=BB4_1907 Depth=2
	s_and_not1_saveexec_b32 s7, s7
; %bb.2160:                             ;   in Loop: Header=BB4_1907 Depth=2
	s_delay_alu instid0(VALU_DEP_1)
	v_bfe_u32 v21, v119, 23, 1
; %bb.2161:                             ;   in Loop: Header=BB4_1907 Depth=2
	s_or_b32 exec_lo, exec_lo, s7
	v_lshrrev_b32_e32 v119, 21, v119
	s_delay_alu instid0(VALU_DEP_2) | instskip(SKIP_2) | instid1(VALU_DEP_2)
	v_cmp_gt_i32_e32 vcc_lo, 32, v21
	v_min_i32_e32 v128, 31, v21
	v_lshrrev_b32_e32 v25, 24, v25
	v_dual_cndmask_b32 v119, 3, v119 :: v_dual_lshlrev_b32 v128, 2, v128
	s_delay_alu instid0(VALU_DEP_2) | instskip(NEXT) | instid1(VALU_DEP_2)
	v_and_b32_e32 v25, 0x80, v25
	v_or_b32_e32 v21, v21, v119
	v_and_b32_e32 v129, 3, v119
	s_delay_alu instid0(VALU_DEP_2) | instskip(SKIP_1) | instid1(VALU_DEP_1)
	v_cmp_ne_u32_e32 vcc_lo, 0, v21
	v_and_b32_e32 v128, 0xfc, v128
	v_or3_b32 v25, v25, v128, v129
	s_delay_alu instid0(VALU_DEP_1) | instskip(NEXT) | instid1(VALU_DEP_1)
	v_lshlrev_b32_e32 v25, 8, v25
	v_cndmask_b32_e32 v21, 0, v25, vcc_lo
.LBB4_2162:                             ;   in Loop: Header=BB4_1907 Depth=2
	s_or_b32 exec_lo, exec_lo, s23
.LBB4_2163:                             ;   in Loop: Header=BB4_1907 Depth=2
	s_delay_alu instid0(SALU_CYCLE_1) | instskip(SKIP_3) | instid1(VALU_DEP_1)
	s_or_b32 exec_lo, exec_lo, s22
	v_and_b32_e32 v119, 0xff, v14
	s_mov_b32 s7, 0
	s_mov_b32 s23, exec_lo
                                        ; implicit-def: $sgpr22
	v_cmpx_lt_i16_e32 0x7f, v119
	s_xor_b32 s23, exec_lo, s23
	s_cbranch_execnz .LBB4_2545
; %bb.2164:                             ;   in Loop: Header=BB4_1907 Depth=2
	s_or_saveexec_b32 s23, s23
	v_mov_b32_e32 v25, s22
	s_xor_b32 exec_lo, exec_lo, s23
	s_cbranch_execnz .LBB4_2548
.LBB4_2165:                             ;   in Loop: Header=BB4_1907 Depth=2
	s_or_b32 exec_lo, exec_lo, s23
	s_and_saveexec_b32 s22, s7
	s_cbranch_execz .LBB4_2167
.LBB4_2166:                             ;   in Loop: Header=BB4_1907 Depth=2
	v_and_b32_e32 v25, 3, v14
	v_bfe_u32 v129, v14, 2, 5
	s_delay_alu instid0(VALU_DEP_2) | instskip(NEXT) | instid1(VALU_DEP_2)
	v_clz_i32_u32_e32 v119, v25
	v_cmp_eq_u32_e32 vcc_lo, 0, v129
	s_delay_alu instid0(VALU_DEP_2) | instskip(NEXT) | instid1(VALU_DEP_1)
	v_min_u32_e32 v119, 32, v119
	v_subrev_nc_u32_e32 v128, 29, v119
	v_sub_nc_u32_e32 v119, 30, v119
	s_delay_alu instid0(VALU_DEP_1) | instskip(NEXT) | instid1(VALU_DEP_1)
	v_dual_cndmask_b32 v119, v129, v119 :: v_dual_lshlrev_b32 v128, v128, v14
	v_and_b32_e32 v128, 3, v128
	v_lshlrev_b32_e32 v130, 24, v14
	s_delay_alu instid0(VALU_DEP_3) | instskip(NEXT) | instid1(VALU_DEP_2)
	v_lshl_add_u32 v119, v119, 23, 0x37800000
	v_dual_cndmask_b32 v25, v25, v128 :: v_dual_and_b32 v128, 0x80000000, v130
	s_delay_alu instid0(VALU_DEP_1) | instskip(NEXT) | instid1(VALU_DEP_1)
	v_lshlrev_b32_e32 v25, 21, v25
	v_or3_b32 v25, v128, v119, v25
.LBB4_2167:                             ;   in Loop: Header=BB4_1907 Depth=2
	s_or_b32 exec_lo, exec_lo, s22
	s_waitcnt vmcnt(0)
	v_and_b32_e32 v128, 0xff, v10
	s_mov_b32 s7, 0
	s_mov_b32 s23, exec_lo
                                        ; implicit-def: $sgpr22
	s_delay_alu instid0(VALU_DEP_1)
	v_cmpx_lt_i16_e64 0x7f, v128
	s_xor_b32 s23, exec_lo, s23
	s_cbranch_execnz .LBB4_2549
; %bb.2168:                             ;   in Loop: Header=BB4_1907 Depth=2
	s_or_saveexec_b32 s23, s23
	v_mov_b32_e32 v119, s22
	s_xor_b32 exec_lo, exec_lo, s23
	s_cbranch_execnz .LBB4_2552
.LBB4_2169:                             ;   in Loop: Header=BB4_1907 Depth=2
	s_or_b32 exec_lo, exec_lo, s23
	s_and_saveexec_b32 s22, s7
	s_cbranch_execz .LBB4_2171
.LBB4_2170:                             ;   in Loop: Header=BB4_1907 Depth=2
	v_bfe_u32 v130, v10, 2, 5
	v_lshlrev_b32_e32 v131, 24, v10
	s_delay_alu instid0(VALU_DEP_2) | instskip(SKIP_1) | instid1(VALU_DEP_1)
	v_cmp_eq_u32_e32 vcc_lo, 0, v130
	v_and_b32_e32 v119, 3, v10
	v_clz_i32_u32_e32 v128, v119
	s_delay_alu instid0(VALU_DEP_1) | instskip(NEXT) | instid1(VALU_DEP_1)
	v_min_u32_e32 v128, 32, v128
	v_subrev_nc_u32_e32 v129, 29, v128
	v_sub_nc_u32_e32 v128, 30, v128
	s_delay_alu instid0(VALU_DEP_1) | instskip(NEXT) | instid1(VALU_DEP_1)
	v_dual_cndmask_b32 v128, v130, v128 :: v_dual_lshlrev_b32 v129, v129, v10
	v_and_b32_e32 v129, 3, v129
	s_delay_alu instid0(VALU_DEP_2) | instskip(NEXT) | instid1(VALU_DEP_2)
	v_lshl_add_u32 v128, v128, 23, 0x37800000
	v_cndmask_b32_e32 v119, v119, v129, vcc_lo
	v_and_b32_e32 v129, 0x80000000, v131
	s_delay_alu instid0(VALU_DEP_2) | instskip(NEXT) | instid1(VALU_DEP_1)
	v_lshlrev_b32_e32 v119, 21, v119
	v_or3_b32 v119, v129, v128, v119
.LBB4_2171:                             ;   in Loop: Header=BB4_1907 Depth=2
	s_or_b32 exec_lo, exec_lo, s22
	s_delay_alu instid0(VALU_DEP_1) | instskip(NEXT) | instid1(VALU_DEP_1)
	v_mul_f32_e32 v119, v25, v119
	v_and_b32_e32 v25, 0x7f800000, v119
	s_delay_alu instid0(VALU_DEP_1)
	v_cmp_ne_u32_e32 vcc_lo, 0x7f800000, v25
	v_mov_b32_e32 v25, 0x80
	s_and_saveexec_b32 s22, vcc_lo
	s_cbranch_execz .LBB4_2179
; %bb.2172:                             ;   in Loop: Header=BB4_1907 Depth=2
	v_mov_b32_e32 v25, 0
	s_mov_b32 s23, exec_lo
	v_cmpx_ne_u32_e32 0, v119
	s_cbranch_execz .LBB4_2178
; %bb.2173:                             ;   in Loop: Header=BB4_1907 Depth=2
	v_bfe_u32 v25, v119, 23, 8
	s_delay_alu instid0(VALU_DEP_1) | instskip(SKIP_1) | instid1(VALU_DEP_2)
	v_sub_nc_u32_e32 v129, 0x70, v25
	v_cmp_gt_u32_e32 vcc_lo, 0x71, v25
	v_dual_cndmask_b32 v129, 0, v129 :: v_dual_and_b32 v128, 0x7fffff, v119
	s_delay_alu instid0(VALU_DEP_1) | instskip(SKIP_2) | instid1(VALU_DEP_4)
	v_or_b32_e32 v130, 0x800000, v128
	v_cmp_eq_u32_e32 vcc_lo, 0, v25
	v_add_nc_u32_e32 v25, 0xffffff91, v25
	v_cndmask_b32_e64 v129, v129, 0x6f, vcc_lo
	s_delay_alu instid0(VALU_DEP_4) | instskip(NEXT) | instid1(VALU_DEP_3)
	v_cndmask_b32_e32 v128, v130, v128, vcc_lo
	v_cndmask_b32_e64 v25, v25, 0xffffff92, vcc_lo
	s_delay_alu instid0(VALU_DEP_3) | instskip(NEXT) | instid1(VALU_DEP_3)
	v_lshl_add_u32 v130, 0x200000, v129, -1
	v_lshrrev_b32_e32 v131, v129, v128
	v_lshlrev_b32_e64 v133, v129, 0x100000
	s_delay_alu instid0(VALU_DEP_4) | instskip(NEXT) | instid1(VALU_DEP_4)
	v_add_nc_u32_e32 v129, v129, v25
	v_and_b32_e32 v128, v130, v128
	s_delay_alu instid0(VALU_DEP_4) | instskip(NEXT) | instid1(VALU_DEP_2)
	v_bfe_u32 v132, v131, 21, 1
	v_cmp_eq_u32_e64 s7, v128, v133
	s_delay_alu instid0(VALU_DEP_2) | instskip(NEXT) | instid1(VALU_DEP_1)
	v_add_nc_u32_e32 v130, -1, v132
	v_cndmask_b32_e64 v128, 0, v130, s7
	v_lshrrev_b32_e32 v130, 23, v131
	s_mov_b32 s7, exec_lo
	s_delay_alu instid0(VALU_DEP_2) | instskip(NEXT) | instid1(VALU_DEP_2)
	v_add_nc_u32_e32 v128, v128, v131
	v_xor_b32_e32 v130, 1, v130
	s_delay_alu instid0(VALU_DEP_2) | instskip(NEXT) | instid1(VALU_DEP_1)
	v_and_b32_e32 v25, 0x1fffff, v128
	v_add_nc_u32_e32 v128, v25, v131
                                        ; implicit-def: $vgpr25
	s_delay_alu instid0(VALU_DEP_3)
	v_cmpx_ne_u32_e64 v129, v130
	s_xor_b32 s7, exec_lo, s7
; %bb.2174:                             ;   in Loop: Header=BB4_1907 Depth=2
	s_delay_alu instid0(VALU_DEP_2) | instskip(SKIP_2) | instid1(VALU_DEP_2)
	v_cmp_lt_u32_e32 vcc_lo, 0xffffff, v128
	v_sub_nc_u32_e32 v25, v129, v130
	v_cndmask_b32_e64 v129, 0, 1, vcc_lo
	v_add_co_ci_u32_e32 v25, vcc_lo, 0, v25, vcc_lo
	s_delay_alu instid0(VALU_DEP_2)
	v_lshrrev_b32_e32 v128, v129, v128
; %bb.2175:                             ;   in Loop: Header=BB4_1907 Depth=2
	s_and_not1_saveexec_b32 s7, s7
; %bb.2176:                             ;   in Loop: Header=BB4_1907 Depth=2
	s_delay_alu instid0(VALU_DEP_1)
	v_bfe_u32 v25, v128, 23, 1
; %bb.2177:                             ;   in Loop: Header=BB4_1907 Depth=2
	s_or_b32 exec_lo, exec_lo, s7
	v_lshrrev_b32_e32 v128, 21, v128
	s_delay_alu instid0(VALU_DEP_2) | instskip(SKIP_2) | instid1(VALU_DEP_2)
	v_cmp_gt_i32_e32 vcc_lo, 32, v25
	v_lshrrev_b32_e32 v119, 24, v119
	v_min_i32_e32 v129, 31, v25
	v_dual_cndmask_b32 v128, 3, v128 :: v_dual_and_b32 v119, 0x80, v119
	s_delay_alu instid0(VALU_DEP_2) | instskip(NEXT) | instid1(VALU_DEP_2)
	v_lshlrev_b32_e32 v129, 2, v129
	v_or_b32_e32 v25, v25, v128
	s_delay_alu instid0(VALU_DEP_1) | instskip(SKIP_1) | instid1(VALU_DEP_1)
	v_cmp_ne_u32_e32 vcc_lo, 0, v25
	v_and_b32_e32 v130, 3, v128
	v_or3_b32 v119, v129, v119, v130
	s_delay_alu instid0(VALU_DEP_1)
	v_cndmask_b32_e32 v25, 0, v119, vcc_lo
.LBB4_2178:                             ;   in Loop: Header=BB4_1907 Depth=2
	s_or_b32 exec_lo, exec_lo, s23
.LBB4_2179:                             ;   in Loop: Header=BB4_1907 Depth=2
	s_delay_alu instid0(SALU_CYCLE_1) | instskip(SKIP_3) | instid1(VALU_DEP_1)
	s_or_b32 exec_lo, exec_lo, s22
	v_lshrrev_b16 v128, 8, v14
	s_mov_b32 s7, 0
	s_mov_b32 s23, exec_lo
                                        ; implicit-def: $sgpr22
	v_cmpx_lt_i16_e64 0x7f, v128
	s_xor_b32 s23, exec_lo, s23
	s_cbranch_execnz .LBB4_2553
; %bb.2180:                             ;   in Loop: Header=BB4_1907 Depth=2
	s_or_saveexec_b32 s23, s23
	v_mov_b32_e32 v119, s22
	s_xor_b32 exec_lo, exec_lo, s23
	s_cbranch_execnz .LBB4_2556
.LBB4_2181:                             ;   in Loop: Header=BB4_1907 Depth=2
	s_or_b32 exec_lo, exec_lo, s23
	s_and_saveexec_b32 s22, s7
	s_cbranch_execz .LBB4_2183
.LBB4_2182:                             ;   in Loop: Header=BB4_1907 Depth=2
	v_and_b32_e32 v119, 0xffff, v128
	s_delay_alu instid0(VALU_DEP_1) | instskip(NEXT) | instid1(VALU_DEP_1)
	v_and_b32_e32 v129, 3, v119
	v_clz_i32_u32_e32 v130, v129
	s_delay_alu instid0(VALU_DEP_1) | instskip(NEXT) | instid1(VALU_DEP_1)
	v_min_u32_e32 v130, 32, v130
	v_subrev_nc_u32_e32 v131, 29, v130
	v_sub_nc_u32_e32 v130, 30, v130
	s_delay_alu instid0(VALU_DEP_2) | instskip(SKIP_1) | instid1(VALU_DEP_2)
	v_lshlrev_b32_e32 v131, v131, v119
	v_bfe_u32 v119, v119, 2, 5
	v_and_b32_e32 v131, 3, v131
	s_delay_alu instid0(VALU_DEP_2) | instskip(SKIP_1) | instid1(VALU_DEP_1)
	v_cmp_eq_u32_e32 vcc_lo, 0, v119
	v_dual_cndmask_b32 v119, v119, v130 :: v_dual_lshlrev_b32 v128, 24, v128
	v_dual_cndmask_b32 v129, v129, v131 :: v_dual_and_b32 v128, 0x80000000, v128
	s_delay_alu instid0(VALU_DEP_2) | instskip(NEXT) | instid1(VALU_DEP_2)
	v_lshl_add_u32 v119, v119, 23, 0x37800000
	v_lshlrev_b32_e32 v129, 21, v129
	s_delay_alu instid0(VALU_DEP_1)
	v_or3_b32 v119, v128, v119, v129
.LBB4_2183:                             ;   in Loop: Header=BB4_1907 Depth=2
	s_or_b32 exec_lo, exec_lo, s22
	v_lshrrev_b16 v128, 8, v10
	s_mov_b32 s7, 0
	s_mov_b32 s23, exec_lo
                                        ; implicit-def: $sgpr22
	s_delay_alu instid0(VALU_DEP_1)
	v_cmpx_lt_i16_e64 0x7f, v128
	s_xor_b32 s23, exec_lo, s23
	s_cbranch_execnz .LBB4_2557
; %bb.2184:                             ;   in Loop: Header=BB4_1907 Depth=2
	s_or_saveexec_b32 s23, s23
	v_mov_b32_e32 v129, s22
	s_xor_b32 exec_lo, exec_lo, s23
	s_cbranch_execnz .LBB4_2560
.LBB4_2185:                             ;   in Loop: Header=BB4_1907 Depth=2
	s_or_b32 exec_lo, exec_lo, s23
	s_and_saveexec_b32 s22, s7
	s_cbranch_execz .LBB4_2187
.LBB4_2186:                             ;   in Loop: Header=BB4_1907 Depth=2
	v_and_b32_e32 v129, 0xffff, v128
	v_lshlrev_b32_e32 v128, 24, v128
	s_delay_alu instid0(VALU_DEP_2) | instskip(NEXT) | instid1(VALU_DEP_2)
	v_and_b32_e32 v130, 3, v129
	v_and_b32_e32 v128, 0x80000000, v128
	s_delay_alu instid0(VALU_DEP_2) | instskip(NEXT) | instid1(VALU_DEP_1)
	v_clz_i32_u32_e32 v131, v130
	v_min_u32_e32 v131, 32, v131
	s_delay_alu instid0(VALU_DEP_1) | instskip(SKIP_1) | instid1(VALU_DEP_2)
	v_subrev_nc_u32_e32 v132, 29, v131
	v_sub_nc_u32_e32 v131, 30, v131
	v_lshlrev_b32_e32 v132, v132, v129
	v_bfe_u32 v129, v129, 2, 5
	s_delay_alu instid0(VALU_DEP_2) | instskip(NEXT) | instid1(VALU_DEP_2)
	v_and_b32_e32 v132, 3, v132
	v_cmp_eq_u32_e32 vcc_lo, 0, v129
	s_delay_alu instid0(VALU_DEP_2) | instskip(NEXT) | instid1(VALU_DEP_1)
	v_dual_cndmask_b32 v129, v129, v131 :: v_dual_cndmask_b32 v130, v130, v132
	v_lshl_add_u32 v129, v129, 23, 0x37800000
	s_delay_alu instid0(VALU_DEP_2) | instskip(NEXT) | instid1(VALU_DEP_1)
	v_lshlrev_b32_e32 v130, 21, v130
	v_or3_b32 v129, v128, v129, v130
.LBB4_2187:                             ;   in Loop: Header=BB4_1907 Depth=2
	s_or_b32 exec_lo, exec_lo, s22
	s_delay_alu instid0(VALU_DEP_1) | instskip(NEXT) | instid1(VALU_DEP_1)
	v_mul_f32_e32 v128, v119, v129
	v_and_b32_e32 v119, 0x7f800000, v128
	s_delay_alu instid0(VALU_DEP_1)
	v_cmp_ne_u32_e32 vcc_lo, 0x7f800000, v119
	v_mov_b32_e32 v119, 0x80
	s_and_saveexec_b32 s22, vcc_lo
	s_cbranch_execz .LBB4_2195
; %bb.2188:                             ;   in Loop: Header=BB4_1907 Depth=2
	v_mov_b32_e32 v119, 0
	s_mov_b32 s23, exec_lo
	v_cmpx_ne_u32_e32 0, v128
	s_cbranch_execz .LBB4_2194
; %bb.2189:                             ;   in Loop: Header=BB4_1907 Depth=2
	v_bfe_u32 v119, v128, 23, 8
	s_delay_alu instid0(VALU_DEP_1) | instskip(SKIP_1) | instid1(VALU_DEP_2)
	v_sub_nc_u32_e32 v130, 0x70, v119
	v_cmp_gt_u32_e32 vcc_lo, 0x71, v119
	v_dual_cndmask_b32 v130, 0, v130 :: v_dual_and_b32 v129, 0x7fffff, v128
	s_delay_alu instid0(VALU_DEP_1) | instskip(SKIP_2) | instid1(VALU_DEP_4)
	v_or_b32_e32 v131, 0x800000, v129
	v_cmp_eq_u32_e32 vcc_lo, 0, v119
	v_add_nc_u32_e32 v119, 0xffffff91, v119
	v_cndmask_b32_e64 v130, v130, 0x6f, vcc_lo
	s_delay_alu instid0(VALU_DEP_2) | instskip(SKIP_1) | instid1(VALU_DEP_3)
	v_cndmask_b32_e64 v119, v119, 0xffffff92, vcc_lo
	v_cndmask_b32_e32 v129, v131, v129, vcc_lo
	v_lshl_add_u32 v131, 0x200000, v130, -1
	v_lshlrev_b32_e64 v134, v130, 0x100000
	s_delay_alu instid0(VALU_DEP_3) | instskip(SKIP_1) | instid1(VALU_DEP_4)
	v_lshrrev_b32_e32 v132, v130, v129
	v_add_nc_u32_e32 v130, v130, v119
	v_and_b32_e32 v129, v131, v129
	s_delay_alu instid0(VALU_DEP_3) | instskip(NEXT) | instid1(VALU_DEP_2)
	v_bfe_u32 v133, v132, 21, 1
	v_cmp_eq_u32_e64 s7, v129, v134
	s_delay_alu instid0(VALU_DEP_2) | instskip(NEXT) | instid1(VALU_DEP_1)
	v_add_nc_u32_e32 v131, -1, v133
	v_cndmask_b32_e64 v129, 0, v131, s7
	v_lshrrev_b32_e32 v131, 23, v132
	s_mov_b32 s7, exec_lo
	s_delay_alu instid0(VALU_DEP_2) | instskip(NEXT) | instid1(VALU_DEP_2)
	v_add_nc_u32_e32 v129, v129, v132
	v_xor_b32_e32 v131, 1, v131
	s_delay_alu instid0(VALU_DEP_2) | instskip(NEXT) | instid1(VALU_DEP_1)
	v_and_b32_e32 v119, 0x1fffff, v129
	v_add_nc_u32_e32 v129, v119, v132
                                        ; implicit-def: $vgpr119
	s_delay_alu instid0(VALU_DEP_3)
	v_cmpx_ne_u32_e64 v130, v131
	s_xor_b32 s7, exec_lo, s7
; %bb.2190:                             ;   in Loop: Header=BB4_1907 Depth=2
	s_delay_alu instid0(VALU_DEP_2) | instskip(SKIP_2) | instid1(VALU_DEP_2)
	v_cmp_lt_u32_e32 vcc_lo, 0xffffff, v129
	v_sub_nc_u32_e32 v119, v130, v131
	v_cndmask_b32_e64 v130, 0, 1, vcc_lo
	v_add_co_ci_u32_e32 v119, vcc_lo, 0, v119, vcc_lo
	s_delay_alu instid0(VALU_DEP_2)
	v_lshrrev_b32_e32 v129, v130, v129
; %bb.2191:                             ;   in Loop: Header=BB4_1907 Depth=2
	s_and_not1_saveexec_b32 s7, s7
; %bb.2192:                             ;   in Loop: Header=BB4_1907 Depth=2
	s_delay_alu instid0(VALU_DEP_1)
	v_bfe_u32 v119, v129, 23, 1
; %bb.2193:                             ;   in Loop: Header=BB4_1907 Depth=2
	s_or_b32 exec_lo, exec_lo, s7
	v_lshrrev_b32_e32 v129, 21, v129
	s_delay_alu instid0(VALU_DEP_2) | instskip(SKIP_2) | instid1(VALU_DEP_2)
	v_cmp_gt_i32_e32 vcc_lo, 32, v119
	v_lshrrev_b32_e32 v128, 24, v128
	v_min_i32_e32 v130, 31, v119
	v_dual_cndmask_b32 v129, 3, v129 :: v_dual_and_b32 v128, 0x80, v128
	s_delay_alu instid0(VALU_DEP_1) | instskip(SKIP_1) | instid1(VALU_DEP_2)
	v_or_b32_e32 v119, v119, v129
	v_and_b32_e32 v131, 3, v129
	v_cmp_ne_u32_e32 vcc_lo, 0, v119
	v_lshlrev_b32_e32 v130, 2, v130
	s_delay_alu instid0(VALU_DEP_1) | instskip(NEXT) | instid1(VALU_DEP_1)
	v_or3_b32 v128, v130, v128, v131
	v_cndmask_b32_e32 v119, 0, v128, vcc_lo
.LBB4_2194:                             ;   in Loop: Header=BB4_1907 Depth=2
	s_or_b32 exec_lo, exec_lo, s23
.LBB4_2195:                             ;   in Loop: Header=BB4_1907 Depth=2
	s_delay_alu instid0(SALU_CYCLE_1) | instskip(SKIP_3) | instid1(VALU_DEP_1)
	s_or_b32 exec_lo, exec_lo, s22
	v_lshrrev_b32_e32 v129, 16, v14
	s_mov_b32 s7, 0
	s_mov_b32 s23, exec_lo
                                        ; implicit-def: $sgpr22
	v_and_b32_e32 v130, 0xff, v129
	s_delay_alu instid0(VALU_DEP_1)
	v_cmpx_lt_i16_e64 0x7f, v130
	s_xor_b32 s23, exec_lo, s23
	s_cbranch_execnz .LBB4_2561
; %bb.2196:                             ;   in Loop: Header=BB4_1907 Depth=2
	s_or_saveexec_b32 s23, s23
	v_mov_b32_e32 v128, s22
	s_xor_b32 exec_lo, exec_lo, s23
	s_cbranch_execnz .LBB4_2564
.LBB4_2197:                             ;   in Loop: Header=BB4_1907 Depth=2
	s_or_b32 exec_lo, exec_lo, s23
	s_and_saveexec_b32 s22, s7
	s_cbranch_execz .LBB4_2199
.LBB4_2198:                             ;   in Loop: Header=BB4_1907 Depth=2
	v_bfe_u32 v128, v14, 16, 2
	v_lshlrev_b32_e32 v132, 8, v14
	s_delay_alu instid0(VALU_DEP_2) | instskip(NEXT) | instid1(VALU_DEP_1)
	v_clz_i32_u32_e32 v130, v128
	v_min_u32_e32 v130, 32, v130
	s_delay_alu instid0(VALU_DEP_1) | instskip(SKIP_1) | instid1(VALU_DEP_2)
	v_subrev_nc_u32_e32 v131, 29, v130
	v_sub_nc_u32_e32 v130, 30, v130
	v_lshlrev_b32_e32 v129, v131, v129
	v_bfe_u32 v131, v14, 18, 5
	s_delay_alu instid0(VALU_DEP_1) | instskip(NEXT) | instid1(VALU_DEP_3)
	v_cmp_eq_u32_e32 vcc_lo, 0, v131
	v_dual_cndmask_b32 v130, v131, v130 :: v_dual_and_b32 v129, 3, v129
	s_delay_alu instid0(VALU_DEP_1) | instskip(NEXT) | instid1(VALU_DEP_2)
	v_dual_cndmask_b32 v128, v128, v129 :: v_dual_and_b32 v129, 0x80000000, v132
	v_lshl_add_u32 v130, v130, 23, 0x37800000
	s_delay_alu instid0(VALU_DEP_2) | instskip(NEXT) | instid1(VALU_DEP_1)
	v_lshlrev_b32_e32 v128, 21, v128
	v_or3_b32 v128, v129, v130, v128
.LBB4_2199:                             ;   in Loop: Header=BB4_1907 Depth=2
	s_or_b32 exec_lo, exec_lo, s22
	v_lshrrev_b32_e32 v129, 16, v10
	s_mov_b32 s7, 0
	s_mov_b32 s23, exec_lo
                                        ; implicit-def: $sgpr22
	s_delay_alu instid0(VALU_DEP_1) | instskip(NEXT) | instid1(VALU_DEP_1)
	v_and_b32_e32 v131, 0xff, v129
	v_cmpx_lt_i16_e64 0x7f, v131
	s_xor_b32 s23, exec_lo, s23
	s_cbranch_execnz .LBB4_2565
; %bb.2200:                             ;   in Loop: Header=BB4_1907 Depth=2
	s_or_saveexec_b32 s23, s23
	v_mov_b32_e32 v130, s22
	s_xor_b32 exec_lo, exec_lo, s23
	s_cbranch_execnz .LBB4_2568
.LBB4_2201:                             ;   in Loop: Header=BB4_1907 Depth=2
	s_or_b32 exec_lo, exec_lo, s23
	s_and_saveexec_b32 s22, s7
	s_cbranch_execz .LBB4_2203
.LBB4_2202:                             ;   in Loop: Header=BB4_1907 Depth=2
	v_bfe_u32 v130, v10, 16, 2
	v_lshlrev_b32_e32 v133, 8, v10
	s_delay_alu instid0(VALU_DEP_2) | instskip(NEXT) | instid1(VALU_DEP_1)
	v_clz_i32_u32_e32 v131, v130
	v_min_u32_e32 v131, 32, v131
	s_delay_alu instid0(VALU_DEP_1) | instskip(SKIP_1) | instid1(VALU_DEP_2)
	v_subrev_nc_u32_e32 v132, 29, v131
	v_sub_nc_u32_e32 v131, 30, v131
	v_lshlrev_b32_e32 v129, v132, v129
	v_bfe_u32 v132, v10, 18, 5
	s_delay_alu instid0(VALU_DEP_2) | instskip(NEXT) | instid1(VALU_DEP_2)
	v_and_b32_e32 v129, 3, v129
	v_cmp_eq_u32_e32 vcc_lo, 0, v132
	v_cndmask_b32_e32 v131, v132, v131, vcc_lo
	s_delay_alu instid0(VALU_DEP_3) | instskip(SKIP_1) | instid1(VALU_DEP_3)
	v_cndmask_b32_e32 v129, v130, v129, vcc_lo
	v_and_b32_e32 v130, 0x80000000, v133
	v_lshl_add_u32 v131, v131, 23, 0x37800000
	s_delay_alu instid0(VALU_DEP_3) | instskip(NEXT) | instid1(VALU_DEP_1)
	v_lshlrev_b32_e32 v129, 21, v129
	v_or3_b32 v130, v130, v131, v129
.LBB4_2203:                             ;   in Loop: Header=BB4_1907 Depth=2
	s_or_b32 exec_lo, exec_lo, s22
	s_delay_alu instid0(VALU_DEP_1) | instskip(NEXT) | instid1(VALU_DEP_1)
	v_mul_f32_e32 v129, v128, v130
	v_and_b32_e32 v128, 0x7f800000, v129
	s_delay_alu instid0(VALU_DEP_1)
	v_cmp_ne_u32_e32 vcc_lo, 0x7f800000, v128
	v_mov_b32_e32 v128, 0x80
	s_and_saveexec_b32 s22, vcc_lo
	s_cbranch_execz .LBB4_2211
; %bb.2204:                             ;   in Loop: Header=BB4_1907 Depth=2
	v_mov_b32_e32 v128, 0
	s_mov_b32 s23, exec_lo
	v_cmpx_ne_u32_e32 0, v129
	s_cbranch_execz .LBB4_2210
; %bb.2205:                             ;   in Loop: Header=BB4_1907 Depth=2
	v_bfe_u32 v128, v129, 23, 8
	s_delay_alu instid0(VALU_DEP_1) | instskip(SKIP_1) | instid1(VALU_DEP_2)
	v_sub_nc_u32_e32 v131, 0x70, v128
	v_cmp_gt_u32_e32 vcc_lo, 0x71, v128
	v_dual_cndmask_b32 v131, 0, v131 :: v_dual_and_b32 v130, 0x7fffff, v129
	s_delay_alu instid0(VALU_DEP_1) | instskip(SKIP_2) | instid1(VALU_DEP_4)
	v_or_b32_e32 v132, 0x800000, v130
	v_cmp_eq_u32_e32 vcc_lo, 0, v128
	v_add_nc_u32_e32 v128, 0xffffff91, v128
	v_cndmask_b32_e64 v131, v131, 0x6f, vcc_lo
	s_delay_alu instid0(VALU_DEP_2) | instskip(SKIP_1) | instid1(VALU_DEP_3)
	v_cndmask_b32_e64 v128, v128, 0xffffff92, vcc_lo
	v_cndmask_b32_e32 v130, v132, v130, vcc_lo
	v_lshl_add_u32 v132, 0x200000, v131, -1
	v_lshlrev_b32_e64 v135, v131, 0x100000
	s_delay_alu instid0(VALU_DEP_3) | instskip(SKIP_1) | instid1(VALU_DEP_4)
	v_lshrrev_b32_e32 v133, v131, v130
	v_add_nc_u32_e32 v131, v131, v128
	v_and_b32_e32 v130, v132, v130
	s_delay_alu instid0(VALU_DEP_3) | instskip(NEXT) | instid1(VALU_DEP_2)
	v_bfe_u32 v134, v133, 21, 1
	v_cmp_eq_u32_e64 s7, v130, v135
	s_delay_alu instid0(VALU_DEP_2) | instskip(NEXT) | instid1(VALU_DEP_1)
	v_add_nc_u32_e32 v132, -1, v134
	v_cndmask_b32_e64 v130, 0, v132, s7
	v_lshrrev_b32_e32 v132, 23, v133
	s_mov_b32 s7, exec_lo
	s_delay_alu instid0(VALU_DEP_2) | instskip(NEXT) | instid1(VALU_DEP_2)
	v_add_nc_u32_e32 v130, v130, v133
	v_xor_b32_e32 v132, 1, v132
	s_delay_alu instid0(VALU_DEP_2) | instskip(NEXT) | instid1(VALU_DEP_1)
	v_and_b32_e32 v128, 0x1fffff, v130
	v_add_nc_u32_e32 v130, v128, v133
                                        ; implicit-def: $vgpr128
	s_delay_alu instid0(VALU_DEP_3)
	v_cmpx_ne_u32_e64 v131, v132
	s_xor_b32 s7, exec_lo, s7
; %bb.2206:                             ;   in Loop: Header=BB4_1907 Depth=2
	s_delay_alu instid0(VALU_DEP_2) | instskip(SKIP_2) | instid1(VALU_DEP_2)
	v_cmp_lt_u32_e32 vcc_lo, 0xffffff, v130
	v_sub_nc_u32_e32 v128, v131, v132
	v_cndmask_b32_e64 v131, 0, 1, vcc_lo
	v_add_co_ci_u32_e32 v128, vcc_lo, 0, v128, vcc_lo
	s_delay_alu instid0(VALU_DEP_2)
	v_lshrrev_b32_e32 v130, v131, v130
; %bb.2207:                             ;   in Loop: Header=BB4_1907 Depth=2
	s_and_not1_saveexec_b32 s7, s7
; %bb.2208:                             ;   in Loop: Header=BB4_1907 Depth=2
	s_delay_alu instid0(VALU_DEP_1)
	v_bfe_u32 v128, v130, 23, 1
; %bb.2209:                             ;   in Loop: Header=BB4_1907 Depth=2
	s_or_b32 exec_lo, exec_lo, s7
	v_lshrrev_b32_e32 v130, 21, v130
	s_delay_alu instid0(VALU_DEP_2) | instskip(SKIP_2) | instid1(VALU_DEP_2)
	v_cmp_gt_i32_e32 vcc_lo, 32, v128
	v_lshrrev_b32_e32 v129, 24, v129
	v_min_i32_e32 v131, 31, v128
	v_dual_cndmask_b32 v130, 3, v130 :: v_dual_and_b32 v129, 0x80, v129
	s_delay_alu instid0(VALU_DEP_1) | instskip(SKIP_1) | instid1(VALU_DEP_2)
	v_or_b32_e32 v128, v128, v130
	v_and_b32_e32 v132, 3, v130
	v_cmp_ne_u32_e32 vcc_lo, 0, v128
	v_lshlrev_b32_e32 v131, 2, v131
	s_delay_alu instid0(VALU_DEP_1) | instskip(NEXT) | instid1(VALU_DEP_1)
	v_or3_b32 v129, v131, v129, v132
	v_cndmask_b32_e32 v128, 0, v129, vcc_lo
.LBB4_2210:                             ;   in Loop: Header=BB4_1907 Depth=2
	s_or_b32 exec_lo, exec_lo, s23
.LBB4_2211:                             ;   in Loop: Header=BB4_1907 Depth=2
	s_delay_alu instid0(SALU_CYCLE_1) | instskip(SKIP_3) | instid1(VALU_DEP_1)
	s_or_b32 exec_lo, exec_lo, s22
	v_lshrrev_b32_e32 v130, 24, v14
	s_mov_b32 s7, 0
	s_mov_b32 s23, exec_lo
                                        ; implicit-def: $sgpr22
	v_cmpx_lt_i16_e64 0x7f, v130
	s_xor_b32 s23, exec_lo, s23
	s_cbranch_execnz .LBB4_2569
; %bb.2212:                             ;   in Loop: Header=BB4_1907 Depth=2
	s_or_saveexec_b32 s23, s23
	v_mov_b32_e32 v129, s22
	s_xor_b32 exec_lo, exec_lo, s23
	s_cbranch_execnz .LBB4_2572
.LBB4_2213:                             ;   in Loop: Header=BB4_1907 Depth=2
	s_or_b32 exec_lo, exec_lo, s23
	s_and_saveexec_b32 s22, s7
	s_cbranch_execz .LBB4_2215
.LBB4_2214:                             ;   in Loop: Header=BB4_1907 Depth=2
	v_bfe_u32 v129, v14, 24, 2
	s_delay_alu instid0(VALU_DEP_1) | instskip(NEXT) | instid1(VALU_DEP_1)
	v_clz_i32_u32_e32 v131, v129
	v_min_u32_e32 v131, 32, v131
	s_delay_alu instid0(VALU_DEP_1) | instskip(SKIP_1) | instid1(VALU_DEP_2)
	v_subrev_nc_u32_e32 v132, 29, v131
	v_sub_nc_u32_e32 v131, 30, v131
	v_lshlrev_b32_e32 v130, v132, v130
	v_bfe_u32 v132, v14, 26, 5
	v_and_b32_e32 v14, 0x80000000, v14
	s_delay_alu instid0(VALU_DEP_2) | instskip(NEXT) | instid1(VALU_DEP_4)
	v_cmp_eq_u32_e32 vcc_lo, 0, v132
	v_dual_cndmask_b32 v131, v132, v131 :: v_dual_and_b32 v130, 3, v130
	s_delay_alu instid0(VALU_DEP_1) | instskip(NEXT) | instid1(VALU_DEP_2)
	v_cndmask_b32_e32 v129, v129, v130, vcc_lo
	v_lshl_add_u32 v130, v131, 23, 0x37800000
	s_delay_alu instid0(VALU_DEP_2) | instskip(NEXT) | instid1(VALU_DEP_1)
	v_lshlrev_b32_e32 v129, 21, v129
	v_or3_b32 v129, v14, v130, v129
.LBB4_2215:                             ;   in Loop: Header=BB4_1907 Depth=2
	s_or_b32 exec_lo, exec_lo, s22
	v_lshrrev_b32_e32 v14, 24, v10
	s_mov_b32 s7, 0
	s_mov_b32 s23, exec_lo
                                        ; implicit-def: $sgpr22
	s_delay_alu instid0(VALU_DEP_1)
	v_cmpx_lt_i16_e32 0x7f, v14
	s_xor_b32 s23, exec_lo, s23
	s_cbranch_execnz .LBB4_2573
; %bb.2216:                             ;   in Loop: Header=BB4_1907 Depth=2
	s_or_saveexec_b32 s23, s23
	v_mov_b32_e32 v130, s22
	s_xor_b32 exec_lo, exec_lo, s23
	s_cbranch_execnz .LBB4_2576
.LBB4_2217:                             ;   in Loop: Header=BB4_1907 Depth=2
	s_or_b32 exec_lo, exec_lo, s23
	s_and_saveexec_b32 s22, s7
	s_cbranch_execz .LBB4_2219
.LBB4_2218:                             ;   in Loop: Header=BB4_1907 Depth=2
	v_bfe_u32 v130, v10, 24, 2
	s_delay_alu instid0(VALU_DEP_1) | instskip(NEXT) | instid1(VALU_DEP_1)
	v_clz_i32_u32_e32 v131, v130
	v_min_u32_e32 v131, 32, v131
	s_delay_alu instid0(VALU_DEP_1) | instskip(SKIP_1) | instid1(VALU_DEP_2)
	v_subrev_nc_u32_e32 v132, 29, v131
	v_sub_nc_u32_e32 v131, 30, v131
	v_lshlrev_b32_e32 v14, v132, v14
	v_bfe_u32 v132, v10, 26, 5
	v_and_b32_e32 v10, 0x80000000, v10
	s_delay_alu instid0(VALU_DEP_2) | instskip(NEXT) | instid1(VALU_DEP_4)
	v_cmp_eq_u32_e32 vcc_lo, 0, v132
	v_dual_cndmask_b32 v131, v132, v131 :: v_dual_and_b32 v14, 3, v14
	s_delay_alu instid0(VALU_DEP_1) | instskip(NEXT) | instid1(VALU_DEP_2)
	v_cndmask_b32_e32 v14, v130, v14, vcc_lo
	v_lshl_add_u32 v130, v131, 23, 0x37800000
	s_delay_alu instid0(VALU_DEP_2) | instskip(NEXT) | instid1(VALU_DEP_1)
	v_lshlrev_b32_e32 v14, 21, v14
	v_or3_b32 v130, v10, v130, v14
.LBB4_2219:                             ;   in Loop: Header=BB4_1907 Depth=2
	s_or_b32 exec_lo, exec_lo, s22
	s_delay_alu instid0(VALU_DEP_1) | instskip(NEXT) | instid1(VALU_DEP_1)
	v_mul_f32_e32 v14, v129, v130
	v_and_b32_e32 v10, 0x7f800000, v14
	s_delay_alu instid0(VALU_DEP_1)
	v_cmp_ne_u32_e32 vcc_lo, 0x7f800000, v10
	v_mov_b32_e32 v10, 0x80
	s_and_saveexec_b32 s22, vcc_lo
	s_cbranch_execz .LBB4_2227
; %bb.2220:                             ;   in Loop: Header=BB4_1907 Depth=2
	v_mov_b32_e32 v10, 0
	s_mov_b32 s23, exec_lo
	v_cmpx_ne_u32_e32 0, v14
	s_cbranch_execz .LBB4_2226
; %bb.2221:                             ;   in Loop: Header=BB4_1907 Depth=2
	v_bfe_u32 v10, v14, 23, 8
	v_and_b32_e32 v129, 0x7fffff, v14
	s_delay_alu instid0(VALU_DEP_2) | instskip(SKIP_1) | instid1(VALU_DEP_3)
	v_sub_nc_u32_e32 v130, 0x70, v10
	v_cmp_gt_u32_e32 vcc_lo, 0x71, v10
	v_or_b32_e32 v131, 0x800000, v129
	s_delay_alu instid0(VALU_DEP_3) | instskip(SKIP_1) | instid1(VALU_DEP_3)
	v_cndmask_b32_e32 v130, 0, v130, vcc_lo
	v_cmp_eq_u32_e32 vcc_lo, 0, v10
	v_dual_cndmask_b32 v129, v131, v129 :: v_dual_add_nc_u32 v10, 0xffffff91, v10
	s_delay_alu instid0(VALU_DEP_3) | instskip(NEXT) | instid1(VALU_DEP_2)
	v_cndmask_b32_e64 v130, v130, 0x6f, vcc_lo
	v_cndmask_b32_e64 v10, v10, 0xffffff92, vcc_lo
	s_delay_alu instid0(VALU_DEP_2) | instskip(SKIP_2) | instid1(VALU_DEP_4)
	v_lshrrev_b32_e32 v132, v130, v129
	v_lshl_add_u32 v131, 0x200000, v130, -1
	v_lshlrev_b32_e64 v134, v130, 0x100000
	v_add_nc_u32_e32 v130, v130, v10
	s_delay_alu instid0(VALU_DEP_4) | instskip(NEXT) | instid1(VALU_DEP_4)
	v_bfe_u32 v133, v132, 21, 1
	v_and_b32_e32 v129, v131, v129
	s_delay_alu instid0(VALU_DEP_2) | instskip(NEXT) | instid1(VALU_DEP_2)
	v_add_nc_u32_e32 v131, -1, v133
	v_cmp_eq_u32_e64 s7, v129, v134
	s_delay_alu instid0(VALU_DEP_1) | instskip(SKIP_2) | instid1(VALU_DEP_2)
	v_cndmask_b32_e64 v129, 0, v131, s7
	v_lshrrev_b32_e32 v131, 23, v132
	s_mov_b32 s7, exec_lo
	v_add_nc_u32_e32 v129, v129, v132
	s_delay_alu instid0(VALU_DEP_2) | instskip(NEXT) | instid1(VALU_DEP_2)
	v_xor_b32_e32 v131, 1, v131
	v_and_b32_e32 v10, 0x1fffff, v129
	s_delay_alu instid0(VALU_DEP_1) | instskip(NEXT) | instid1(VALU_DEP_3)
	v_add_nc_u32_e32 v129, v10, v132
                                        ; implicit-def: $vgpr10
	v_cmpx_ne_u32_e64 v130, v131
	s_xor_b32 s7, exec_lo, s7
; %bb.2222:                             ;   in Loop: Header=BB4_1907 Depth=2
	s_delay_alu instid0(VALU_DEP_2) | instskip(SKIP_2) | instid1(VALU_DEP_2)
	v_cmp_lt_u32_e32 vcc_lo, 0xffffff, v129
	v_sub_nc_u32_e32 v10, v130, v131
	v_cndmask_b32_e64 v130, 0, 1, vcc_lo
	v_add_co_ci_u32_e32 v10, vcc_lo, 0, v10, vcc_lo
	s_delay_alu instid0(VALU_DEP_2)
	v_lshrrev_b32_e32 v129, v130, v129
; %bb.2223:                             ;   in Loop: Header=BB4_1907 Depth=2
	s_and_not1_saveexec_b32 s7, s7
; %bb.2224:                             ;   in Loop: Header=BB4_1907 Depth=2
	s_delay_alu instid0(VALU_DEP_1)
	v_bfe_u32 v10, v129, 23, 1
; %bb.2225:                             ;   in Loop: Header=BB4_1907 Depth=2
	s_or_b32 exec_lo, exec_lo, s7
	v_lshrrev_b32_e32 v129, 21, v129
	s_delay_alu instid0(VALU_DEP_2) | instskip(SKIP_2) | instid1(VALU_DEP_2)
	v_cmp_gt_i32_e32 vcc_lo, 32, v10
	v_lshrrev_b32_e32 v14, 24, v14
	v_min_i32_e32 v130, 31, v10
	v_dual_cndmask_b32 v129, 3, v129 :: v_dual_and_b32 v14, 0x80, v14
	s_delay_alu instid0(VALU_DEP_2) | instskip(NEXT) | instid1(VALU_DEP_2)
	v_lshlrev_b32_e32 v130, 2, v130
	v_or_b32_e32 v10, v10, v129
	s_delay_alu instid0(VALU_DEP_1) | instskip(SKIP_1) | instid1(VALU_DEP_1)
	v_cmp_ne_u32_e32 vcc_lo, 0, v10
	v_and_b32_e32 v131, 3, v129
	v_or3_b32 v14, v130, v14, v131
	s_delay_alu instid0(VALU_DEP_1)
	v_cndmask_b32_e32 v10, 0, v14, vcc_lo
.LBB4_2226:                             ;   in Loop: Header=BB4_1907 Depth=2
	s_or_b32 exec_lo, exec_lo, s23
.LBB4_2227:                             ;   in Loop: Header=BB4_1907 Depth=2
	s_delay_alu instid0(SALU_CYCLE_1) | instskip(SKIP_3) | instid1(VALU_DEP_1)
	s_or_b32 exec_lo, exec_lo, s22
	v_and_b32_e32 v129, 0xff, v15
	s_mov_b32 s7, 0
	s_mov_b32 s23, exec_lo
                                        ; implicit-def: $sgpr22
	v_cmpx_lt_i16_e64 0x7f, v129
	s_xor_b32 s23, exec_lo, s23
	s_cbranch_execnz .LBB4_2577
; %bb.2228:                             ;   in Loop: Header=BB4_1907 Depth=2
	s_or_saveexec_b32 s23, s23
	v_mov_b32_e32 v14, s22
	s_xor_b32 exec_lo, exec_lo, s23
	s_cbranch_execnz .LBB4_2580
.LBB4_2229:                             ;   in Loop: Header=BB4_1907 Depth=2
	s_or_b32 exec_lo, exec_lo, s23
	s_and_saveexec_b32 s22, s7
	s_cbranch_execz .LBB4_2231
.LBB4_2230:                             ;   in Loop: Header=BB4_1907 Depth=2
	v_bfe_u32 v131, v15, 2, 5
	v_lshlrev_b32_e32 v132, 24, v15
	s_delay_alu instid0(VALU_DEP_2) | instskip(SKIP_1) | instid1(VALU_DEP_1)
	v_cmp_eq_u32_e32 vcc_lo, 0, v131
	v_and_b32_e32 v14, 3, v15
	v_clz_i32_u32_e32 v129, v14
	s_delay_alu instid0(VALU_DEP_1) | instskip(NEXT) | instid1(VALU_DEP_1)
	v_min_u32_e32 v129, 32, v129
	v_subrev_nc_u32_e32 v130, 29, v129
	v_sub_nc_u32_e32 v129, 30, v129
	s_delay_alu instid0(VALU_DEP_1) | instskip(NEXT) | instid1(VALU_DEP_1)
	v_dual_cndmask_b32 v129, v131, v129 :: v_dual_lshlrev_b32 v130, v130, v15
	v_and_b32_e32 v130, 3, v130
	s_delay_alu instid0(VALU_DEP_2) | instskip(NEXT) | instid1(VALU_DEP_2)
	v_lshl_add_u32 v129, v129, 23, 0x37800000
	v_cndmask_b32_e32 v14, v14, v130, vcc_lo
	v_and_b32_e32 v130, 0x80000000, v132
	s_delay_alu instid0(VALU_DEP_2) | instskip(NEXT) | instid1(VALU_DEP_1)
	v_lshlrev_b32_e32 v14, 21, v14
	v_or3_b32 v14, v130, v129, v14
.LBB4_2231:                             ;   in Loop: Header=BB4_1907 Depth=2
	s_or_b32 exec_lo, exec_lo, s22
	v_and_b32_e32 v130, 0xff, v11
	s_mov_b32 s7, 0
	s_mov_b32 s23, exec_lo
                                        ; implicit-def: $sgpr22
	s_delay_alu instid0(VALU_DEP_1)
	v_cmpx_lt_i16_e64 0x7f, v130
	s_xor_b32 s23, exec_lo, s23
	s_cbranch_execnz .LBB4_2581
; %bb.2232:                             ;   in Loop: Header=BB4_1907 Depth=2
	s_or_saveexec_b32 s23, s23
	v_mov_b32_e32 v129, s22
	s_xor_b32 exec_lo, exec_lo, s23
	s_cbranch_execnz .LBB4_2584
.LBB4_2233:                             ;   in Loop: Header=BB4_1907 Depth=2
	s_or_b32 exec_lo, exec_lo, s23
	s_and_saveexec_b32 s22, s7
	s_cbranch_execz .LBB4_2235
.LBB4_2234:                             ;   in Loop: Header=BB4_1907 Depth=2
	v_bfe_u32 v132, v11, 2, 5
	v_lshlrev_b32_e32 v133, 24, v11
	s_delay_alu instid0(VALU_DEP_2) | instskip(SKIP_1) | instid1(VALU_DEP_1)
	v_cmp_eq_u32_e32 vcc_lo, 0, v132
	v_and_b32_e32 v129, 3, v11
	v_clz_i32_u32_e32 v130, v129
	s_delay_alu instid0(VALU_DEP_1) | instskip(NEXT) | instid1(VALU_DEP_1)
	v_min_u32_e32 v130, 32, v130
	v_subrev_nc_u32_e32 v131, 29, v130
	v_sub_nc_u32_e32 v130, 30, v130
	s_delay_alu instid0(VALU_DEP_1) | instskip(NEXT) | instid1(VALU_DEP_1)
	v_dual_cndmask_b32 v130, v132, v130 :: v_dual_lshlrev_b32 v131, v131, v11
	v_and_b32_e32 v131, 3, v131
	s_delay_alu instid0(VALU_DEP_2) | instskip(NEXT) | instid1(VALU_DEP_2)
	v_lshl_add_u32 v130, v130, 23, 0x37800000
	v_cndmask_b32_e32 v129, v129, v131, vcc_lo
	v_and_b32_e32 v131, 0x80000000, v133
	s_delay_alu instid0(VALU_DEP_2) | instskip(NEXT) | instid1(VALU_DEP_1)
	v_lshlrev_b32_e32 v129, 21, v129
	v_or3_b32 v129, v131, v130, v129
.LBB4_2235:                             ;   in Loop: Header=BB4_1907 Depth=2
	s_or_b32 exec_lo, exec_lo, s22
	s_delay_alu instid0(VALU_DEP_1) | instskip(NEXT) | instid1(VALU_DEP_1)
	v_mul_f32_e32 v129, v14, v129
	v_and_b32_e32 v14, 0x7f800000, v129
	s_delay_alu instid0(VALU_DEP_1)
	v_cmp_ne_u32_e32 vcc_lo, 0x7f800000, v14
	v_mov_b32_e32 v14, 0x80
	s_and_saveexec_b32 s22, vcc_lo
	s_cbranch_execz .LBB4_2243
; %bb.2236:                             ;   in Loop: Header=BB4_1907 Depth=2
	v_mov_b32_e32 v14, 0
	s_mov_b32 s23, exec_lo
	v_cmpx_ne_u32_e32 0, v129
	s_cbranch_execz .LBB4_2242
; %bb.2237:                             ;   in Loop: Header=BB4_1907 Depth=2
	v_bfe_u32 v14, v129, 23, 8
	s_delay_alu instid0(VALU_DEP_1) | instskip(SKIP_1) | instid1(VALU_DEP_2)
	v_sub_nc_u32_e32 v131, 0x70, v14
	v_cmp_gt_u32_e32 vcc_lo, 0x71, v14
	v_dual_cndmask_b32 v131, 0, v131 :: v_dual_and_b32 v130, 0x7fffff, v129
	s_delay_alu instid0(VALU_DEP_1) | instskip(SKIP_2) | instid1(VALU_DEP_4)
	v_or_b32_e32 v132, 0x800000, v130
	v_cmp_eq_u32_e32 vcc_lo, 0, v14
	v_add_nc_u32_e32 v14, 0xffffff91, v14
	v_cndmask_b32_e64 v131, v131, 0x6f, vcc_lo
	s_delay_alu instid0(VALU_DEP_4) | instskip(NEXT) | instid1(VALU_DEP_3)
	v_cndmask_b32_e32 v130, v132, v130, vcc_lo
	v_cndmask_b32_e64 v14, v14, 0xffffff92, vcc_lo
	s_delay_alu instid0(VALU_DEP_3) | instskip(NEXT) | instid1(VALU_DEP_3)
	v_lshl_add_u32 v132, 0x200000, v131, -1
	v_lshrrev_b32_e32 v133, v131, v130
	v_lshlrev_b32_e64 v135, v131, 0x100000
	s_delay_alu instid0(VALU_DEP_4) | instskip(NEXT) | instid1(VALU_DEP_4)
	v_add_nc_u32_e32 v131, v131, v14
	v_and_b32_e32 v130, v132, v130
	s_delay_alu instid0(VALU_DEP_4) | instskip(NEXT) | instid1(VALU_DEP_2)
	v_bfe_u32 v134, v133, 21, 1
	v_cmp_eq_u32_e64 s7, v130, v135
	s_delay_alu instid0(VALU_DEP_2) | instskip(NEXT) | instid1(VALU_DEP_1)
	v_add_nc_u32_e32 v132, -1, v134
	v_cndmask_b32_e64 v130, 0, v132, s7
	v_lshrrev_b32_e32 v132, 23, v133
	s_mov_b32 s7, exec_lo
	s_delay_alu instid0(VALU_DEP_2) | instskip(NEXT) | instid1(VALU_DEP_2)
	v_add_nc_u32_e32 v130, v130, v133
	v_xor_b32_e32 v132, 1, v132
	s_delay_alu instid0(VALU_DEP_2) | instskip(NEXT) | instid1(VALU_DEP_1)
	v_and_b32_e32 v14, 0x1fffff, v130
	v_add_nc_u32_e32 v130, v14, v133
                                        ; implicit-def: $vgpr14
	s_delay_alu instid0(VALU_DEP_3)
	v_cmpx_ne_u32_e64 v131, v132
	s_xor_b32 s7, exec_lo, s7
; %bb.2238:                             ;   in Loop: Header=BB4_1907 Depth=2
	s_delay_alu instid0(VALU_DEP_2) | instskip(SKIP_2) | instid1(VALU_DEP_2)
	v_cmp_lt_u32_e32 vcc_lo, 0xffffff, v130
	v_sub_nc_u32_e32 v14, v131, v132
	v_cndmask_b32_e64 v131, 0, 1, vcc_lo
	v_add_co_ci_u32_e32 v14, vcc_lo, 0, v14, vcc_lo
	s_delay_alu instid0(VALU_DEP_2)
	v_lshrrev_b32_e32 v130, v131, v130
; %bb.2239:                             ;   in Loop: Header=BB4_1907 Depth=2
	s_and_not1_saveexec_b32 s7, s7
; %bb.2240:                             ;   in Loop: Header=BB4_1907 Depth=2
	s_delay_alu instid0(VALU_DEP_1)
	v_bfe_u32 v14, v130, 23, 1
; %bb.2241:                             ;   in Loop: Header=BB4_1907 Depth=2
	s_or_b32 exec_lo, exec_lo, s7
	v_lshrrev_b32_e32 v130, 21, v130
	s_delay_alu instid0(VALU_DEP_2) | instskip(SKIP_2) | instid1(VALU_DEP_2)
	v_cmp_gt_i32_e32 vcc_lo, 32, v14
	v_lshrrev_b32_e32 v129, 24, v129
	v_min_i32_e32 v131, 31, v14
	v_dual_cndmask_b32 v130, 3, v130 :: v_dual_and_b32 v129, 0x80, v129
	s_delay_alu instid0(VALU_DEP_1) | instskip(SKIP_1) | instid1(VALU_DEP_2)
	v_or_b32_e32 v14, v14, v130
	v_and_b32_e32 v132, 3, v130
	v_cmp_ne_u32_e32 vcc_lo, 0, v14
	v_lshlrev_b32_e32 v131, 2, v131
	s_delay_alu instid0(VALU_DEP_1) | instskip(NEXT) | instid1(VALU_DEP_1)
	v_or3_b32 v129, v131, v129, v132
	v_cndmask_b32_e32 v14, 0, v129, vcc_lo
.LBB4_2242:                             ;   in Loop: Header=BB4_1907 Depth=2
	s_or_b32 exec_lo, exec_lo, s23
.LBB4_2243:                             ;   in Loop: Header=BB4_1907 Depth=2
	s_delay_alu instid0(SALU_CYCLE_1) | instskip(SKIP_3) | instid1(VALU_DEP_1)
	s_or_b32 exec_lo, exec_lo, s22
	v_lshrrev_b16 v130, 8, v15
	s_mov_b32 s7, 0
	s_mov_b32 s23, exec_lo
                                        ; implicit-def: $sgpr22
	v_cmpx_lt_i16_e64 0x7f, v130
	s_xor_b32 s23, exec_lo, s23
	s_cbranch_execnz .LBB4_2585
; %bb.2244:                             ;   in Loop: Header=BB4_1907 Depth=2
	s_or_saveexec_b32 s23, s23
	v_mov_b32_e32 v129, s22
	s_xor_b32 exec_lo, exec_lo, s23
	s_cbranch_execnz .LBB4_2588
.LBB4_2245:                             ;   in Loop: Header=BB4_1907 Depth=2
	s_or_b32 exec_lo, exec_lo, s23
	s_and_saveexec_b32 s22, s7
	s_cbranch_execz .LBB4_2247
.LBB4_2246:                             ;   in Loop: Header=BB4_1907 Depth=2
	v_and_b32_e32 v129, 0xffff, v130
	s_delay_alu instid0(VALU_DEP_1) | instskip(NEXT) | instid1(VALU_DEP_1)
	v_and_b32_e32 v131, 3, v129
	v_clz_i32_u32_e32 v132, v131
	s_delay_alu instid0(VALU_DEP_1) | instskip(NEXT) | instid1(VALU_DEP_1)
	v_min_u32_e32 v132, 32, v132
	v_subrev_nc_u32_e32 v133, 29, v132
	v_sub_nc_u32_e32 v132, 30, v132
	s_delay_alu instid0(VALU_DEP_2) | instskip(SKIP_1) | instid1(VALU_DEP_2)
	v_lshlrev_b32_e32 v133, v133, v129
	v_bfe_u32 v129, v129, 2, 5
	v_and_b32_e32 v133, 3, v133
	s_delay_alu instid0(VALU_DEP_2) | instskip(SKIP_1) | instid1(VALU_DEP_1)
	v_cmp_eq_u32_e32 vcc_lo, 0, v129
	v_dual_cndmask_b32 v129, v129, v132 :: v_dual_lshlrev_b32 v130, 24, v130
	v_dual_cndmask_b32 v131, v131, v133 :: v_dual_and_b32 v130, 0x80000000, v130
	s_delay_alu instid0(VALU_DEP_2) | instskip(NEXT) | instid1(VALU_DEP_2)
	v_lshl_add_u32 v129, v129, 23, 0x37800000
	v_lshlrev_b32_e32 v131, 21, v131
	s_delay_alu instid0(VALU_DEP_1)
	v_or3_b32 v129, v130, v129, v131
.LBB4_2247:                             ;   in Loop: Header=BB4_1907 Depth=2
	s_or_b32 exec_lo, exec_lo, s22
	v_lshrrev_b16 v130, 8, v11
	s_mov_b32 s7, 0
	s_mov_b32 s23, exec_lo
                                        ; implicit-def: $sgpr22
	s_delay_alu instid0(VALU_DEP_1)
	v_cmpx_lt_i16_e64 0x7f, v130
	s_xor_b32 s23, exec_lo, s23
	s_cbranch_execnz .LBB4_2589
; %bb.2248:                             ;   in Loop: Header=BB4_1907 Depth=2
	s_or_saveexec_b32 s23, s23
	v_mov_b32_e32 v131, s22
	s_xor_b32 exec_lo, exec_lo, s23
	s_cbranch_execnz .LBB4_2592
.LBB4_2249:                             ;   in Loop: Header=BB4_1907 Depth=2
	s_or_b32 exec_lo, exec_lo, s23
	s_and_saveexec_b32 s22, s7
	s_cbranch_execz .LBB4_2251
.LBB4_2250:                             ;   in Loop: Header=BB4_1907 Depth=2
	v_and_b32_e32 v131, 0xffff, v130
	v_lshlrev_b32_e32 v130, 24, v130
	s_delay_alu instid0(VALU_DEP_2) | instskip(NEXT) | instid1(VALU_DEP_2)
	v_and_b32_e32 v132, 3, v131
	v_and_b32_e32 v130, 0x80000000, v130
	s_delay_alu instid0(VALU_DEP_2) | instskip(NEXT) | instid1(VALU_DEP_1)
	v_clz_i32_u32_e32 v133, v132
	v_min_u32_e32 v133, 32, v133
	s_delay_alu instid0(VALU_DEP_1) | instskip(SKIP_1) | instid1(VALU_DEP_2)
	v_subrev_nc_u32_e32 v134, 29, v133
	v_sub_nc_u32_e32 v133, 30, v133
	v_lshlrev_b32_e32 v134, v134, v131
	v_bfe_u32 v131, v131, 2, 5
	s_delay_alu instid0(VALU_DEP_2) | instskip(NEXT) | instid1(VALU_DEP_2)
	v_and_b32_e32 v134, 3, v134
	v_cmp_eq_u32_e32 vcc_lo, 0, v131
	s_delay_alu instid0(VALU_DEP_2) | instskip(NEXT) | instid1(VALU_DEP_1)
	v_dual_cndmask_b32 v131, v131, v133 :: v_dual_cndmask_b32 v132, v132, v134
	v_lshl_add_u32 v131, v131, 23, 0x37800000
	s_delay_alu instid0(VALU_DEP_2) | instskip(NEXT) | instid1(VALU_DEP_1)
	v_lshlrev_b32_e32 v132, 21, v132
	v_or3_b32 v131, v130, v131, v132
.LBB4_2251:                             ;   in Loop: Header=BB4_1907 Depth=2
	s_or_b32 exec_lo, exec_lo, s22
	s_delay_alu instid0(VALU_DEP_1) | instskip(NEXT) | instid1(VALU_DEP_1)
	v_mul_f32_e32 v130, v129, v131
	v_and_b32_e32 v129, 0x7f800000, v130
	s_delay_alu instid0(VALU_DEP_1)
	v_cmp_ne_u32_e32 vcc_lo, 0x7f800000, v129
	v_mov_b32_e32 v129, 0x8000
	s_and_saveexec_b32 s22, vcc_lo
	s_cbranch_execz .LBB4_2259
; %bb.2252:                             ;   in Loop: Header=BB4_1907 Depth=2
	v_mov_b32_e32 v129, 0
	s_mov_b32 s23, exec_lo
	v_cmpx_ne_u32_e32 0, v130
	s_cbranch_execz .LBB4_2258
; %bb.2253:                             ;   in Loop: Header=BB4_1907 Depth=2
	v_bfe_u32 v129, v130, 23, 8
	s_delay_alu instid0(VALU_DEP_1) | instskip(SKIP_1) | instid1(VALU_DEP_2)
	v_sub_nc_u32_e32 v132, 0x70, v129
	v_cmp_gt_u32_e32 vcc_lo, 0x71, v129
	v_dual_cndmask_b32 v132, 0, v132 :: v_dual_and_b32 v131, 0x7fffff, v130
	s_delay_alu instid0(VALU_DEP_1) | instskip(SKIP_2) | instid1(VALU_DEP_4)
	v_or_b32_e32 v133, 0x800000, v131
	v_cmp_eq_u32_e32 vcc_lo, 0, v129
	v_add_nc_u32_e32 v129, 0xffffff91, v129
	v_cndmask_b32_e64 v132, v132, 0x6f, vcc_lo
	s_delay_alu instid0(VALU_DEP_2) | instskip(SKIP_1) | instid1(VALU_DEP_3)
	v_cndmask_b32_e64 v129, v129, 0xffffff92, vcc_lo
	v_cndmask_b32_e32 v131, v133, v131, vcc_lo
	v_lshl_add_u32 v133, 0x200000, v132, -1
	v_lshlrev_b32_e64 v144, v132, 0x100000
	s_delay_alu instid0(VALU_DEP_3) | instskip(SKIP_1) | instid1(VALU_DEP_4)
	v_lshrrev_b32_e32 v134, v132, v131
	v_add_nc_u32_e32 v132, v132, v129
	v_and_b32_e32 v131, v133, v131
	s_delay_alu instid0(VALU_DEP_3) | instskip(NEXT) | instid1(VALU_DEP_2)
	v_bfe_u32 v135, v134, 21, 1
	v_cmp_eq_u32_e64 s7, v131, v144
	s_delay_alu instid0(VALU_DEP_2) | instskip(NEXT) | instid1(VALU_DEP_1)
	v_add_nc_u32_e32 v133, -1, v135
	v_cndmask_b32_e64 v131, 0, v133, s7
	v_lshrrev_b32_e32 v133, 23, v134
	s_mov_b32 s7, exec_lo
	s_delay_alu instid0(VALU_DEP_2) | instskip(NEXT) | instid1(VALU_DEP_2)
	v_add_nc_u32_e32 v131, v131, v134
	v_xor_b32_e32 v133, 1, v133
	s_delay_alu instid0(VALU_DEP_2) | instskip(NEXT) | instid1(VALU_DEP_1)
	v_and_b32_e32 v129, 0x1fffff, v131
	v_add_nc_u32_e32 v131, v129, v134
                                        ; implicit-def: $vgpr129
	s_delay_alu instid0(VALU_DEP_3)
	v_cmpx_ne_u32_e64 v132, v133
	s_xor_b32 s7, exec_lo, s7
; %bb.2254:                             ;   in Loop: Header=BB4_1907 Depth=2
	s_delay_alu instid0(VALU_DEP_2) | instskip(SKIP_2) | instid1(VALU_DEP_2)
	v_cmp_lt_u32_e32 vcc_lo, 0xffffff, v131
	v_sub_nc_u32_e32 v129, v132, v133
	v_cndmask_b32_e64 v132, 0, 1, vcc_lo
	v_add_co_ci_u32_e32 v129, vcc_lo, 0, v129, vcc_lo
	s_delay_alu instid0(VALU_DEP_2)
	v_lshrrev_b32_e32 v131, v132, v131
; %bb.2255:                             ;   in Loop: Header=BB4_1907 Depth=2
	s_and_not1_saveexec_b32 s7, s7
; %bb.2256:                             ;   in Loop: Header=BB4_1907 Depth=2
	s_delay_alu instid0(VALU_DEP_1)
	v_bfe_u32 v129, v131, 23, 1
; %bb.2257:                             ;   in Loop: Header=BB4_1907 Depth=2
	s_or_b32 exec_lo, exec_lo, s7
	v_lshrrev_b32_e32 v131, 21, v131
	s_delay_alu instid0(VALU_DEP_2) | instskip(SKIP_2) | instid1(VALU_DEP_2)
	v_cmp_gt_i32_e32 vcc_lo, 32, v129
	v_min_i32_e32 v132, 31, v129
	v_lshrrev_b32_e32 v130, 24, v130
	v_dual_cndmask_b32 v131, 3, v131 :: v_dual_lshlrev_b32 v132, 2, v132
	s_delay_alu instid0(VALU_DEP_2) | instskip(NEXT) | instid1(VALU_DEP_2)
	v_and_b32_e32 v130, 0x80, v130
	v_or_b32_e32 v129, v129, v131
	v_and_b32_e32 v133, 3, v131
	s_delay_alu instid0(VALU_DEP_2) | instskip(SKIP_1) | instid1(VALU_DEP_1)
	v_cmp_ne_u32_e32 vcc_lo, 0, v129
	v_and_b32_e32 v132, 0xfc, v132
	v_or3_b32 v130, v130, v132, v133
	s_delay_alu instid0(VALU_DEP_1) | instskip(NEXT) | instid1(VALU_DEP_1)
	v_lshlrev_b32_e32 v130, 8, v130
	v_cndmask_b32_e32 v129, 0, v130, vcc_lo
.LBB4_2258:                             ;   in Loop: Header=BB4_1907 Depth=2
	s_or_b32 exec_lo, exec_lo, s23
.LBB4_2259:                             ;   in Loop: Header=BB4_1907 Depth=2
	s_delay_alu instid0(SALU_CYCLE_1) | instskip(SKIP_3) | instid1(VALU_DEP_1)
	s_or_b32 exec_lo, exec_lo, s22
	v_lshrrev_b32_e32 v131, 16, v15
	s_mov_b32 s7, 0
	s_mov_b32 s23, exec_lo
                                        ; implicit-def: $sgpr22
	v_and_b32_e32 v132, 0xff, v131
	s_delay_alu instid0(VALU_DEP_1)
	v_cmpx_lt_i16_e64 0x7f, v132
	s_xor_b32 s23, exec_lo, s23
	s_cbranch_execnz .LBB4_2593
; %bb.2260:                             ;   in Loop: Header=BB4_1907 Depth=2
	s_or_saveexec_b32 s23, s23
	v_mov_b32_e32 v130, s22
	s_xor_b32 exec_lo, exec_lo, s23
	s_cbranch_execnz .LBB4_2596
.LBB4_2261:                             ;   in Loop: Header=BB4_1907 Depth=2
	s_or_b32 exec_lo, exec_lo, s23
	s_and_saveexec_b32 s22, s7
	s_cbranch_execz .LBB4_2263
.LBB4_2262:                             ;   in Loop: Header=BB4_1907 Depth=2
	v_bfe_u32 v130, v15, 16, 2
	v_lshlrev_b32_e32 v134, 8, v15
	s_delay_alu instid0(VALU_DEP_2) | instskip(NEXT) | instid1(VALU_DEP_1)
	v_clz_i32_u32_e32 v132, v130
	v_min_u32_e32 v132, 32, v132
	s_delay_alu instid0(VALU_DEP_1) | instskip(SKIP_1) | instid1(VALU_DEP_2)
	v_subrev_nc_u32_e32 v133, 29, v132
	v_sub_nc_u32_e32 v132, 30, v132
	v_lshlrev_b32_e32 v131, v133, v131
	v_bfe_u32 v133, v15, 18, 5
	s_delay_alu instid0(VALU_DEP_1) | instskip(NEXT) | instid1(VALU_DEP_3)
	v_cmp_eq_u32_e32 vcc_lo, 0, v133
	v_dual_cndmask_b32 v132, v133, v132 :: v_dual_and_b32 v131, 3, v131
	s_delay_alu instid0(VALU_DEP_1) | instskip(NEXT) | instid1(VALU_DEP_2)
	v_dual_cndmask_b32 v130, v130, v131 :: v_dual_and_b32 v131, 0x80000000, v134
	v_lshl_add_u32 v132, v132, 23, 0x37800000
	s_delay_alu instid0(VALU_DEP_2) | instskip(NEXT) | instid1(VALU_DEP_1)
	v_lshlrev_b32_e32 v130, 21, v130
	v_or3_b32 v130, v131, v132, v130
.LBB4_2263:                             ;   in Loop: Header=BB4_1907 Depth=2
	s_or_b32 exec_lo, exec_lo, s22
	v_lshrrev_b32_e32 v131, 16, v11
	s_mov_b32 s7, 0
	s_mov_b32 s23, exec_lo
                                        ; implicit-def: $sgpr22
	s_delay_alu instid0(VALU_DEP_1) | instskip(NEXT) | instid1(VALU_DEP_1)
	v_and_b32_e32 v133, 0xff, v131
	v_cmpx_lt_i16_e64 0x7f, v133
	s_xor_b32 s23, exec_lo, s23
	s_cbranch_execnz .LBB4_2597
; %bb.2264:                             ;   in Loop: Header=BB4_1907 Depth=2
	s_or_saveexec_b32 s23, s23
	v_mov_b32_e32 v132, s22
	s_xor_b32 exec_lo, exec_lo, s23
	s_cbranch_execnz .LBB4_2600
.LBB4_2265:                             ;   in Loop: Header=BB4_1907 Depth=2
	s_or_b32 exec_lo, exec_lo, s23
	s_and_saveexec_b32 s22, s7
	s_cbranch_execz .LBB4_2267
.LBB4_2266:                             ;   in Loop: Header=BB4_1907 Depth=2
	v_bfe_u32 v132, v11, 16, 2
	v_lshlrev_b32_e32 v135, 8, v11
	s_delay_alu instid0(VALU_DEP_2) | instskip(NEXT) | instid1(VALU_DEP_1)
	v_clz_i32_u32_e32 v133, v132
	v_min_u32_e32 v133, 32, v133
	s_delay_alu instid0(VALU_DEP_1) | instskip(SKIP_1) | instid1(VALU_DEP_2)
	v_subrev_nc_u32_e32 v134, 29, v133
	v_sub_nc_u32_e32 v133, 30, v133
	v_lshlrev_b32_e32 v131, v134, v131
	v_bfe_u32 v134, v11, 18, 5
	s_delay_alu instid0(VALU_DEP_2) | instskip(NEXT) | instid1(VALU_DEP_2)
	v_and_b32_e32 v131, 3, v131
	v_cmp_eq_u32_e32 vcc_lo, 0, v134
	v_cndmask_b32_e32 v133, v134, v133, vcc_lo
	s_delay_alu instid0(VALU_DEP_3) | instskip(SKIP_1) | instid1(VALU_DEP_3)
	v_cndmask_b32_e32 v131, v132, v131, vcc_lo
	v_and_b32_e32 v132, 0x80000000, v135
	v_lshl_add_u32 v133, v133, 23, 0x37800000
	s_delay_alu instid0(VALU_DEP_3) | instskip(NEXT) | instid1(VALU_DEP_1)
	v_lshlrev_b32_e32 v131, 21, v131
	v_or3_b32 v132, v132, v133, v131
.LBB4_2267:                             ;   in Loop: Header=BB4_1907 Depth=2
	s_or_b32 exec_lo, exec_lo, s22
	s_delay_alu instid0(VALU_DEP_1) | instskip(NEXT) | instid1(VALU_DEP_1)
	v_mul_f32_e32 v131, v130, v132
	v_and_b32_e32 v130, 0x7f800000, v131
	s_delay_alu instid0(VALU_DEP_1)
	v_cmp_ne_u32_e32 vcc_lo, 0x7f800000, v130
	v_mov_b32_e32 v130, 0x80
	s_and_saveexec_b32 s22, vcc_lo
	s_cbranch_execz .LBB4_2275
; %bb.2268:                             ;   in Loop: Header=BB4_1907 Depth=2
	v_mov_b32_e32 v130, 0
	s_mov_b32 s23, exec_lo
	v_cmpx_ne_u32_e32 0, v131
	s_cbranch_execz .LBB4_2274
; %bb.2269:                             ;   in Loop: Header=BB4_1907 Depth=2
	v_bfe_u32 v130, v131, 23, 8
	s_delay_alu instid0(VALU_DEP_1) | instskip(SKIP_1) | instid1(VALU_DEP_2)
	v_sub_nc_u32_e32 v133, 0x70, v130
	v_cmp_gt_u32_e32 vcc_lo, 0x71, v130
	v_dual_cndmask_b32 v133, 0, v133 :: v_dual_and_b32 v132, 0x7fffff, v131
	s_delay_alu instid0(VALU_DEP_1) | instskip(SKIP_2) | instid1(VALU_DEP_4)
	v_or_b32_e32 v134, 0x800000, v132
	v_cmp_eq_u32_e32 vcc_lo, 0, v130
	v_add_nc_u32_e32 v130, 0xffffff91, v130
	v_cndmask_b32_e64 v133, v133, 0x6f, vcc_lo
	s_delay_alu instid0(VALU_DEP_2) | instskip(SKIP_1) | instid1(VALU_DEP_3)
	v_cndmask_b32_e64 v130, v130, 0xffffff92, vcc_lo
	v_cndmask_b32_e32 v132, v134, v132, vcc_lo
	v_lshl_add_u32 v134, 0x200000, v133, -1
	v_lshlrev_b32_e64 v145, v133, 0x100000
	s_delay_alu instid0(VALU_DEP_3) | instskip(SKIP_1) | instid1(VALU_DEP_4)
	v_lshrrev_b32_e32 v135, v133, v132
	v_add_nc_u32_e32 v133, v133, v130
	v_and_b32_e32 v132, v134, v132
	s_delay_alu instid0(VALU_DEP_3) | instskip(NEXT) | instid1(VALU_DEP_2)
	v_bfe_u32 v144, v135, 21, 1
	v_cmp_eq_u32_e64 s7, v132, v145
	s_delay_alu instid0(VALU_DEP_2) | instskip(NEXT) | instid1(VALU_DEP_1)
	v_add_nc_u32_e32 v134, -1, v144
	v_cndmask_b32_e64 v132, 0, v134, s7
	v_lshrrev_b32_e32 v134, 23, v135
	s_mov_b32 s7, exec_lo
	s_delay_alu instid0(VALU_DEP_2) | instskip(NEXT) | instid1(VALU_DEP_2)
	v_add_nc_u32_e32 v132, v132, v135
	v_xor_b32_e32 v134, 1, v134
	s_delay_alu instid0(VALU_DEP_2) | instskip(NEXT) | instid1(VALU_DEP_1)
	v_and_b32_e32 v130, 0x1fffff, v132
	v_add_nc_u32_e32 v132, v130, v135
                                        ; implicit-def: $vgpr130
	s_delay_alu instid0(VALU_DEP_3)
	v_cmpx_ne_u32_e64 v133, v134
	s_xor_b32 s7, exec_lo, s7
; %bb.2270:                             ;   in Loop: Header=BB4_1907 Depth=2
	s_delay_alu instid0(VALU_DEP_2) | instskip(SKIP_2) | instid1(VALU_DEP_2)
	v_cmp_lt_u32_e32 vcc_lo, 0xffffff, v132
	v_sub_nc_u32_e32 v130, v133, v134
	v_cndmask_b32_e64 v133, 0, 1, vcc_lo
	v_add_co_ci_u32_e32 v130, vcc_lo, 0, v130, vcc_lo
	s_delay_alu instid0(VALU_DEP_2)
	v_lshrrev_b32_e32 v132, v133, v132
; %bb.2271:                             ;   in Loop: Header=BB4_1907 Depth=2
	s_and_not1_saveexec_b32 s7, s7
; %bb.2272:                             ;   in Loop: Header=BB4_1907 Depth=2
	s_delay_alu instid0(VALU_DEP_1)
	v_bfe_u32 v130, v132, 23, 1
; %bb.2273:                             ;   in Loop: Header=BB4_1907 Depth=2
	s_or_b32 exec_lo, exec_lo, s7
	v_lshrrev_b32_e32 v132, 21, v132
	s_delay_alu instid0(VALU_DEP_2) | instskip(SKIP_2) | instid1(VALU_DEP_2)
	v_cmp_gt_i32_e32 vcc_lo, 32, v130
	v_min_i32_e32 v133, 31, v130
	v_lshrrev_b32_e32 v131, 24, v131
	v_dual_cndmask_b32 v132, 3, v132 :: v_dual_lshlrev_b32 v133, 2, v133
	s_delay_alu instid0(VALU_DEP_2) | instskip(NEXT) | instid1(VALU_DEP_2)
	v_and_b32_e32 v131, 0x80, v131
	v_or_b32_e32 v130, v130, v132
	v_and_b32_e32 v134, 3, v132
	s_delay_alu instid0(VALU_DEP_2) | instskip(SKIP_1) | instid1(VALU_DEP_1)
	v_cmp_ne_u32_e32 vcc_lo, 0, v130
	v_and_b32_e32 v133, 0xfc, v133
	v_or3_b32 v131, v133, v131, v134
	s_delay_alu instid0(VALU_DEP_1)
	v_cndmask_b32_e32 v130, 0, v131, vcc_lo
.LBB4_2274:                             ;   in Loop: Header=BB4_1907 Depth=2
	s_or_b32 exec_lo, exec_lo, s23
.LBB4_2275:                             ;   in Loop: Header=BB4_1907 Depth=2
	s_delay_alu instid0(SALU_CYCLE_1) | instskip(SKIP_3) | instid1(VALU_DEP_1)
	s_or_b32 exec_lo, exec_lo, s22
	v_lshrrev_b32_e32 v132, 24, v15
	s_mov_b32 s7, 0
	s_mov_b32 s23, exec_lo
                                        ; implicit-def: $sgpr22
	v_cmpx_lt_i16_e64 0x7f, v132
	s_xor_b32 s23, exec_lo, s23
	s_cbranch_execnz .LBB4_2601
; %bb.2276:                             ;   in Loop: Header=BB4_1907 Depth=2
	s_or_saveexec_b32 s23, s23
	v_mov_b32_e32 v131, s22
	s_xor_b32 exec_lo, exec_lo, s23
	s_cbranch_execnz .LBB4_2604
.LBB4_2277:                             ;   in Loop: Header=BB4_1907 Depth=2
	s_or_b32 exec_lo, exec_lo, s23
	s_and_saveexec_b32 s22, s7
	s_cbranch_execz .LBB4_2279
.LBB4_2278:                             ;   in Loop: Header=BB4_1907 Depth=2
	v_bfe_u32 v131, v15, 24, 2
	s_delay_alu instid0(VALU_DEP_1) | instskip(NEXT) | instid1(VALU_DEP_1)
	v_clz_i32_u32_e32 v133, v131
	v_min_u32_e32 v133, 32, v133
	s_delay_alu instid0(VALU_DEP_1) | instskip(SKIP_1) | instid1(VALU_DEP_2)
	v_subrev_nc_u32_e32 v134, 29, v133
	v_sub_nc_u32_e32 v133, 30, v133
	v_lshlrev_b32_e32 v132, v134, v132
	v_bfe_u32 v134, v15, 26, 5
	v_and_b32_e32 v15, 0x80000000, v15
	s_delay_alu instid0(VALU_DEP_2) | instskip(NEXT) | instid1(VALU_DEP_4)
	v_cmp_eq_u32_e32 vcc_lo, 0, v134
	v_dual_cndmask_b32 v133, v134, v133 :: v_dual_and_b32 v132, 3, v132
	s_delay_alu instid0(VALU_DEP_1) | instskip(NEXT) | instid1(VALU_DEP_2)
	v_cndmask_b32_e32 v131, v131, v132, vcc_lo
	v_lshl_add_u32 v132, v133, 23, 0x37800000
	s_delay_alu instid0(VALU_DEP_2) | instskip(NEXT) | instid1(VALU_DEP_1)
	v_lshlrev_b32_e32 v131, 21, v131
	v_or3_b32 v131, v15, v132, v131
.LBB4_2279:                             ;   in Loop: Header=BB4_1907 Depth=2
	s_or_b32 exec_lo, exec_lo, s22
	v_lshrrev_b32_e32 v15, 24, v11
	s_mov_b32 s7, 0
	s_mov_b32 s23, exec_lo
                                        ; implicit-def: $sgpr22
	s_delay_alu instid0(VALU_DEP_1)
	v_cmpx_lt_i16_e32 0x7f, v15
	s_xor_b32 s23, exec_lo, s23
	s_cbranch_execnz .LBB4_2605
; %bb.2280:                             ;   in Loop: Header=BB4_1907 Depth=2
	s_or_saveexec_b32 s23, s23
	v_mov_b32_e32 v132, s22
	s_xor_b32 exec_lo, exec_lo, s23
	s_cbranch_execnz .LBB4_2608
.LBB4_2281:                             ;   in Loop: Header=BB4_1907 Depth=2
	s_or_b32 exec_lo, exec_lo, s23
	s_and_saveexec_b32 s22, s7
	s_cbranch_execz .LBB4_2283
.LBB4_2282:                             ;   in Loop: Header=BB4_1907 Depth=2
	v_bfe_u32 v132, v11, 24, 2
	s_delay_alu instid0(VALU_DEP_1) | instskip(NEXT) | instid1(VALU_DEP_1)
	v_clz_i32_u32_e32 v133, v132
	v_min_u32_e32 v133, 32, v133
	s_delay_alu instid0(VALU_DEP_1) | instskip(SKIP_1) | instid1(VALU_DEP_2)
	v_subrev_nc_u32_e32 v134, 29, v133
	v_sub_nc_u32_e32 v133, 30, v133
	v_lshlrev_b32_e32 v15, v134, v15
	v_bfe_u32 v134, v11, 26, 5
	v_and_b32_e32 v11, 0x80000000, v11
	s_delay_alu instid0(VALU_DEP_3) | instskip(NEXT) | instid1(VALU_DEP_3)
	v_and_b32_e32 v15, 3, v15
	v_cmp_eq_u32_e32 vcc_lo, 0, v134
	v_cndmask_b32_e32 v133, v134, v133, vcc_lo
	s_delay_alu instid0(VALU_DEP_3) | instskip(NEXT) | instid1(VALU_DEP_2)
	v_cndmask_b32_e32 v15, v132, v15, vcc_lo
	v_lshl_add_u32 v132, v133, 23, 0x37800000
	s_delay_alu instid0(VALU_DEP_2) | instskip(NEXT) | instid1(VALU_DEP_1)
	v_lshlrev_b32_e32 v15, 21, v15
	v_or3_b32 v132, v11, v132, v15
.LBB4_2283:                             ;   in Loop: Header=BB4_1907 Depth=2
	s_or_b32 exec_lo, exec_lo, s22
	s_delay_alu instid0(VALU_DEP_1) | instskip(NEXT) | instid1(VALU_DEP_1)
	v_mul_f32_e32 v15, v131, v132
	v_and_b32_e32 v11, 0x7f800000, v15
	s_delay_alu instid0(VALU_DEP_1)
	v_cmp_ne_u32_e32 vcc_lo, 0x7f800000, v11
	v_mov_b32_e32 v11, 0x8000
	s_and_saveexec_b32 s22, vcc_lo
	s_cbranch_execz .LBB4_2291
; %bb.2284:                             ;   in Loop: Header=BB4_1907 Depth=2
	v_mov_b32_e32 v11, 0
	s_mov_b32 s23, exec_lo
	v_cmpx_ne_u32_e32 0, v15
	s_cbranch_execz .LBB4_2290
; %bb.2285:                             ;   in Loop: Header=BB4_1907 Depth=2
	v_bfe_u32 v11, v15, 23, 8
	s_delay_alu instid0(VALU_DEP_1) | instskip(SKIP_1) | instid1(VALU_DEP_2)
	v_sub_nc_u32_e32 v132, 0x70, v11
	v_cmp_gt_u32_e32 vcc_lo, 0x71, v11
	v_dual_cndmask_b32 v132, 0, v132 :: v_dual_and_b32 v131, 0x7fffff, v15
	s_delay_alu instid0(VALU_DEP_1) | instskip(SKIP_2) | instid1(VALU_DEP_4)
	v_or_b32_e32 v133, 0x800000, v131
	v_cmp_eq_u32_e32 vcc_lo, 0, v11
	v_add_nc_u32_e32 v11, 0xffffff91, v11
	v_cndmask_b32_e64 v132, v132, 0x6f, vcc_lo
	s_delay_alu instid0(VALU_DEP_4) | instskip(NEXT) | instid1(VALU_DEP_3)
	v_cndmask_b32_e32 v131, v133, v131, vcc_lo
	v_cndmask_b32_e64 v11, v11, 0xffffff92, vcc_lo
	s_delay_alu instid0(VALU_DEP_3) | instskip(NEXT) | instid1(VALU_DEP_3)
	v_lshl_add_u32 v133, 0x200000, v132, -1
	v_lshrrev_b32_e32 v134, v132, v131
	v_lshlrev_b32_e64 v144, v132, 0x100000
	s_delay_alu instid0(VALU_DEP_4) | instskip(NEXT) | instid1(VALU_DEP_4)
	v_add_nc_u32_e32 v132, v132, v11
	v_and_b32_e32 v131, v133, v131
	s_delay_alu instid0(VALU_DEP_4) | instskip(NEXT) | instid1(VALU_DEP_2)
	v_bfe_u32 v135, v134, 21, 1
	v_cmp_eq_u32_e64 s7, v131, v144
	s_delay_alu instid0(VALU_DEP_2) | instskip(NEXT) | instid1(VALU_DEP_1)
	v_add_nc_u32_e32 v133, -1, v135
	v_cndmask_b32_e64 v131, 0, v133, s7
	v_lshrrev_b32_e32 v133, 23, v134
	s_mov_b32 s7, exec_lo
	s_delay_alu instid0(VALU_DEP_2) | instskip(NEXT) | instid1(VALU_DEP_2)
	v_add_nc_u32_e32 v131, v131, v134
	v_xor_b32_e32 v133, 1, v133
	s_delay_alu instid0(VALU_DEP_2) | instskip(NEXT) | instid1(VALU_DEP_1)
	v_and_b32_e32 v11, 0x1fffff, v131
	v_add_nc_u32_e32 v131, v11, v134
                                        ; implicit-def: $vgpr11
	s_delay_alu instid0(VALU_DEP_3)
	v_cmpx_ne_u32_e64 v132, v133
	s_xor_b32 s7, exec_lo, s7
; %bb.2286:                             ;   in Loop: Header=BB4_1907 Depth=2
	s_delay_alu instid0(VALU_DEP_2) | instskip(SKIP_2) | instid1(VALU_DEP_2)
	v_cmp_lt_u32_e32 vcc_lo, 0xffffff, v131
	v_sub_nc_u32_e32 v11, v132, v133
	v_cndmask_b32_e64 v132, 0, 1, vcc_lo
	v_add_co_ci_u32_e32 v11, vcc_lo, 0, v11, vcc_lo
	s_delay_alu instid0(VALU_DEP_2)
	v_lshrrev_b32_e32 v131, v132, v131
; %bb.2287:                             ;   in Loop: Header=BB4_1907 Depth=2
	s_and_not1_saveexec_b32 s7, s7
; %bb.2288:                             ;   in Loop: Header=BB4_1907 Depth=2
	s_delay_alu instid0(VALU_DEP_1)
	v_bfe_u32 v11, v131, 23, 1
; %bb.2289:                             ;   in Loop: Header=BB4_1907 Depth=2
	s_or_b32 exec_lo, exec_lo, s7
	v_lshrrev_b32_e32 v131, 21, v131
	s_delay_alu instid0(VALU_DEP_2) | instskip(SKIP_2) | instid1(VALU_DEP_2)
	v_cmp_gt_i32_e32 vcc_lo, 32, v11
	v_min_i32_e32 v132, 31, v11
	v_lshrrev_b32_e32 v15, 24, v15
	v_dual_cndmask_b32 v131, 3, v131 :: v_dual_lshlrev_b32 v132, 2, v132
	s_delay_alu instid0(VALU_DEP_2) | instskip(NEXT) | instid1(VALU_DEP_2)
	v_and_b32_e32 v15, 0x80, v15
	v_or_b32_e32 v11, v11, v131
	v_and_b32_e32 v133, 3, v131
	s_delay_alu instid0(VALU_DEP_2) | instskip(SKIP_1) | instid1(VALU_DEP_1)
	v_cmp_ne_u32_e32 vcc_lo, 0, v11
	v_and_b32_e32 v132, 0xfc, v132
	v_or3_b32 v15, v15, v132, v133
	s_delay_alu instid0(VALU_DEP_1) | instskip(NEXT) | instid1(VALU_DEP_1)
	v_lshlrev_b32_e32 v15, 8, v15
	v_cndmask_b32_e32 v11, 0, v15, vcc_lo
.LBB4_2290:                             ;   in Loop: Header=BB4_1907 Depth=2
	s_or_b32 exec_lo, exec_lo, s23
.LBB4_2291:                             ;   in Loop: Header=BB4_1907 Depth=2
	s_delay_alu instid0(SALU_CYCLE_1) | instskip(SKIP_3) | instid1(VALU_DEP_1)
	s_or_b32 exec_lo, exec_lo, s22
	v_and_b32_e32 v131, 0xff, v16
	s_mov_b32 s7, 0
	s_mov_b32 s23, exec_lo
                                        ; implicit-def: $sgpr22
	v_cmpx_lt_i16_e64 0x7f, v131
	s_xor_b32 s23, exec_lo, s23
	s_cbranch_execnz .LBB4_2609
; %bb.2292:                             ;   in Loop: Header=BB4_1907 Depth=2
	s_or_saveexec_b32 s23, s23
	v_mov_b32_e32 v15, s22
	s_xor_b32 exec_lo, exec_lo, s23
	s_cbranch_execnz .LBB4_2612
.LBB4_2293:                             ;   in Loop: Header=BB4_1907 Depth=2
	s_or_b32 exec_lo, exec_lo, s23
	s_and_saveexec_b32 s22, s7
	s_cbranch_execz .LBB4_2295
.LBB4_2294:                             ;   in Loop: Header=BB4_1907 Depth=2
	v_and_b32_e32 v15, 3, v16
	v_bfe_u32 v133, v16, 2, 5
	v_lshlrev_b32_e32 v134, 24, v16
	s_delay_alu instid0(VALU_DEP_3) | instskip(NEXT) | instid1(VALU_DEP_3)
	v_clz_i32_u32_e32 v131, v15
	v_cmp_eq_u32_e32 vcc_lo, 0, v133
	s_delay_alu instid0(VALU_DEP_2) | instskip(NEXT) | instid1(VALU_DEP_1)
	v_min_u32_e32 v131, 32, v131
	v_subrev_nc_u32_e32 v132, 29, v131
	v_sub_nc_u32_e32 v131, 30, v131
	s_delay_alu instid0(VALU_DEP_1) | instskip(NEXT) | instid1(VALU_DEP_1)
	v_dual_cndmask_b32 v131, v133, v131 :: v_dual_lshlrev_b32 v132, v132, v16
	v_and_b32_e32 v132, 3, v132
	s_delay_alu instid0(VALU_DEP_2) | instskip(NEXT) | instid1(VALU_DEP_2)
	v_lshl_add_u32 v131, v131, 23, 0x37800000
	v_dual_cndmask_b32 v15, v15, v132 :: v_dual_and_b32 v132, 0x80000000, v134
	s_delay_alu instid0(VALU_DEP_1) | instskip(NEXT) | instid1(VALU_DEP_1)
	v_lshlrev_b32_e32 v15, 21, v15
	v_or3_b32 v15, v132, v131, v15
.LBB4_2295:                             ;   in Loop: Header=BB4_1907 Depth=2
	s_or_b32 exec_lo, exec_lo, s22
	v_and_b32_e32 v132, 0xff, v12
	s_mov_b32 s7, 0
	s_mov_b32 s23, exec_lo
                                        ; implicit-def: $sgpr22
	s_delay_alu instid0(VALU_DEP_1)
	v_cmpx_lt_i16_e64 0x7f, v132
	s_xor_b32 s23, exec_lo, s23
	s_cbranch_execnz .LBB4_2613
; %bb.2296:                             ;   in Loop: Header=BB4_1907 Depth=2
	s_or_saveexec_b32 s23, s23
	v_mov_b32_e32 v131, s22
	s_xor_b32 exec_lo, exec_lo, s23
	s_cbranch_execnz .LBB4_2616
.LBB4_2297:                             ;   in Loop: Header=BB4_1907 Depth=2
	s_or_b32 exec_lo, exec_lo, s23
	s_and_saveexec_b32 s22, s7
	s_cbranch_execz .LBB4_2299
.LBB4_2298:                             ;   in Loop: Header=BB4_1907 Depth=2
	v_and_b32_e32 v131, 3, v12
	v_bfe_u32 v134, v12, 2, 5
	v_lshlrev_b32_e32 v135, 24, v12
	s_delay_alu instid0(VALU_DEP_3) | instskip(NEXT) | instid1(VALU_DEP_3)
	v_clz_i32_u32_e32 v132, v131
	v_cmp_eq_u32_e32 vcc_lo, 0, v134
	s_delay_alu instid0(VALU_DEP_2) | instskip(NEXT) | instid1(VALU_DEP_1)
	v_min_u32_e32 v132, 32, v132
	v_subrev_nc_u32_e32 v133, 29, v132
	v_sub_nc_u32_e32 v132, 30, v132
	s_delay_alu instid0(VALU_DEP_2) | instskip(NEXT) | instid1(VALU_DEP_1)
	v_lshlrev_b32_e32 v133, v133, v12
	v_dual_cndmask_b32 v132, v134, v132 :: v_dual_and_b32 v133, 3, v133
	s_delay_alu instid0(VALU_DEP_1) | instskip(NEXT) | instid1(VALU_DEP_2)
	v_lshl_add_u32 v132, v132, 23, 0x37800000
	v_cndmask_b32_e32 v131, v131, v133, vcc_lo
	v_and_b32_e32 v133, 0x80000000, v135
	s_delay_alu instid0(VALU_DEP_2) | instskip(NEXT) | instid1(VALU_DEP_1)
	v_lshlrev_b32_e32 v131, 21, v131
	v_or3_b32 v131, v133, v132, v131
.LBB4_2299:                             ;   in Loop: Header=BB4_1907 Depth=2
	s_or_b32 exec_lo, exec_lo, s22
	s_delay_alu instid0(VALU_DEP_1) | instskip(NEXT) | instid1(VALU_DEP_1)
	v_mul_f32_e32 v131, v15, v131
	v_and_b32_e32 v15, 0x7f800000, v131
	s_delay_alu instid0(VALU_DEP_1)
	v_cmp_ne_u32_e32 vcc_lo, 0x7f800000, v15
	v_mov_b32_e32 v15, 0x80
	s_and_saveexec_b32 s22, vcc_lo
	s_cbranch_execz .LBB4_2307
; %bb.2300:                             ;   in Loop: Header=BB4_1907 Depth=2
	v_mov_b32_e32 v15, 0
	s_mov_b32 s23, exec_lo
	v_cmpx_ne_u32_e32 0, v131
	s_cbranch_execz .LBB4_2306
; %bb.2301:                             ;   in Loop: Header=BB4_1907 Depth=2
	v_bfe_u32 v15, v131, 23, 8
	s_delay_alu instid0(VALU_DEP_1) | instskip(SKIP_1) | instid1(VALU_DEP_2)
	v_sub_nc_u32_e32 v133, 0x70, v15
	v_cmp_gt_u32_e32 vcc_lo, 0x71, v15
	v_dual_cndmask_b32 v133, 0, v133 :: v_dual_and_b32 v132, 0x7fffff, v131
	s_delay_alu instid0(VALU_DEP_1) | instskip(SKIP_2) | instid1(VALU_DEP_4)
	v_or_b32_e32 v134, 0x800000, v132
	v_cmp_eq_u32_e32 vcc_lo, 0, v15
	v_add_nc_u32_e32 v15, 0xffffff91, v15
	v_cndmask_b32_e64 v133, v133, 0x6f, vcc_lo
	s_delay_alu instid0(VALU_DEP_4) | instskip(NEXT) | instid1(VALU_DEP_3)
	v_cndmask_b32_e32 v132, v134, v132, vcc_lo
	v_cndmask_b32_e64 v15, v15, 0xffffff92, vcc_lo
	s_delay_alu instid0(VALU_DEP_3) | instskip(NEXT) | instid1(VALU_DEP_3)
	v_lshl_add_u32 v134, 0x200000, v133, -1
	v_lshrrev_b32_e32 v135, v133, v132
	v_lshlrev_b32_e64 v145, v133, 0x100000
	s_delay_alu instid0(VALU_DEP_4) | instskip(NEXT) | instid1(VALU_DEP_4)
	v_add_nc_u32_e32 v133, v133, v15
	v_and_b32_e32 v132, v134, v132
	s_delay_alu instid0(VALU_DEP_4) | instskip(NEXT) | instid1(VALU_DEP_2)
	v_bfe_u32 v144, v135, 21, 1
	v_cmp_eq_u32_e64 s7, v132, v145
	s_delay_alu instid0(VALU_DEP_2) | instskip(NEXT) | instid1(VALU_DEP_1)
	v_add_nc_u32_e32 v134, -1, v144
	v_cndmask_b32_e64 v132, 0, v134, s7
	v_lshrrev_b32_e32 v134, 23, v135
	s_mov_b32 s7, exec_lo
	s_delay_alu instid0(VALU_DEP_2) | instskip(NEXT) | instid1(VALU_DEP_2)
	v_add_nc_u32_e32 v132, v132, v135
	v_xor_b32_e32 v134, 1, v134
	s_delay_alu instid0(VALU_DEP_2) | instskip(NEXT) | instid1(VALU_DEP_1)
	v_and_b32_e32 v15, 0x1fffff, v132
	v_add_nc_u32_e32 v132, v15, v135
                                        ; implicit-def: $vgpr15
	s_delay_alu instid0(VALU_DEP_3)
	v_cmpx_ne_u32_e64 v133, v134
	s_xor_b32 s7, exec_lo, s7
; %bb.2302:                             ;   in Loop: Header=BB4_1907 Depth=2
	s_delay_alu instid0(VALU_DEP_2) | instskip(SKIP_2) | instid1(VALU_DEP_2)
	v_cmp_lt_u32_e32 vcc_lo, 0xffffff, v132
	v_sub_nc_u32_e32 v15, v133, v134
	v_cndmask_b32_e64 v133, 0, 1, vcc_lo
	v_add_co_ci_u32_e32 v15, vcc_lo, 0, v15, vcc_lo
	s_delay_alu instid0(VALU_DEP_2)
	v_lshrrev_b32_e32 v132, v133, v132
; %bb.2303:                             ;   in Loop: Header=BB4_1907 Depth=2
	s_and_not1_saveexec_b32 s7, s7
; %bb.2304:                             ;   in Loop: Header=BB4_1907 Depth=2
	s_delay_alu instid0(VALU_DEP_1)
	v_bfe_u32 v15, v132, 23, 1
; %bb.2305:                             ;   in Loop: Header=BB4_1907 Depth=2
	s_or_b32 exec_lo, exec_lo, s7
	v_lshrrev_b32_e32 v132, 21, v132
	s_delay_alu instid0(VALU_DEP_2) | instskip(SKIP_2) | instid1(VALU_DEP_2)
	v_cmp_gt_i32_e32 vcc_lo, 32, v15
	v_lshrrev_b32_e32 v131, 24, v131
	v_min_i32_e32 v133, 31, v15
	v_dual_cndmask_b32 v132, 3, v132 :: v_dual_and_b32 v131, 0x80, v131
	s_delay_alu instid0(VALU_DEP_2) | instskip(NEXT) | instid1(VALU_DEP_2)
	v_lshlrev_b32_e32 v133, 2, v133
	v_or_b32_e32 v15, v15, v132
	s_delay_alu instid0(VALU_DEP_1) | instskip(SKIP_1) | instid1(VALU_DEP_1)
	v_cmp_ne_u32_e32 vcc_lo, 0, v15
	v_and_b32_e32 v134, 3, v132
	v_or3_b32 v131, v133, v131, v134
	s_delay_alu instid0(VALU_DEP_1)
	v_cndmask_b32_e32 v15, 0, v131, vcc_lo
.LBB4_2306:                             ;   in Loop: Header=BB4_1907 Depth=2
	s_or_b32 exec_lo, exec_lo, s23
.LBB4_2307:                             ;   in Loop: Header=BB4_1907 Depth=2
	s_delay_alu instid0(SALU_CYCLE_1) | instskip(SKIP_3) | instid1(VALU_DEP_1)
	s_or_b32 exec_lo, exec_lo, s22
	v_lshrrev_b16 v132, 8, v16
	s_mov_b32 s7, 0
	s_mov_b32 s23, exec_lo
                                        ; implicit-def: $sgpr22
	v_cmpx_lt_i16_e64 0x7f, v132
	s_xor_b32 s23, exec_lo, s23
	s_cbranch_execnz .LBB4_2617
; %bb.2308:                             ;   in Loop: Header=BB4_1907 Depth=2
	s_or_saveexec_b32 s23, s23
	v_mov_b32_e32 v131, s22
	s_xor_b32 exec_lo, exec_lo, s23
	s_cbranch_execnz .LBB4_2620
.LBB4_2309:                             ;   in Loop: Header=BB4_1907 Depth=2
	s_or_b32 exec_lo, exec_lo, s23
	s_and_saveexec_b32 s22, s7
	s_cbranch_execz .LBB4_2311
.LBB4_2310:                             ;   in Loop: Header=BB4_1907 Depth=2
	v_and_b32_e32 v131, 0xffff, v132
	s_delay_alu instid0(VALU_DEP_1) | instskip(NEXT) | instid1(VALU_DEP_1)
	v_and_b32_e32 v133, 3, v131
	v_clz_i32_u32_e32 v134, v133
	s_delay_alu instid0(VALU_DEP_1) | instskip(NEXT) | instid1(VALU_DEP_1)
	v_min_u32_e32 v134, 32, v134
	v_subrev_nc_u32_e32 v135, 29, v134
	v_sub_nc_u32_e32 v134, 30, v134
	s_delay_alu instid0(VALU_DEP_2) | instskip(SKIP_1) | instid1(VALU_DEP_2)
	v_lshlrev_b32_e32 v135, v135, v131
	v_bfe_u32 v131, v131, 2, 5
	v_and_b32_e32 v135, 3, v135
	s_delay_alu instid0(VALU_DEP_2) | instskip(SKIP_1) | instid1(VALU_DEP_1)
	v_cmp_eq_u32_e32 vcc_lo, 0, v131
	v_dual_cndmask_b32 v131, v131, v134 :: v_dual_lshlrev_b32 v132, 24, v132
	v_dual_cndmask_b32 v133, v133, v135 :: v_dual_and_b32 v132, 0x80000000, v132
	s_delay_alu instid0(VALU_DEP_2) | instskip(NEXT) | instid1(VALU_DEP_2)
	v_lshl_add_u32 v131, v131, 23, 0x37800000
	v_lshlrev_b32_e32 v133, 21, v133
	s_delay_alu instid0(VALU_DEP_1)
	v_or3_b32 v131, v132, v131, v133
.LBB4_2311:                             ;   in Loop: Header=BB4_1907 Depth=2
	s_or_b32 exec_lo, exec_lo, s22
	v_lshrrev_b16 v132, 8, v12
	s_mov_b32 s7, 0
	s_mov_b32 s23, exec_lo
                                        ; implicit-def: $sgpr22
	s_delay_alu instid0(VALU_DEP_1)
	v_cmpx_lt_i16_e64 0x7f, v132
	s_xor_b32 s23, exec_lo, s23
	s_cbranch_execnz .LBB4_2621
; %bb.2312:                             ;   in Loop: Header=BB4_1907 Depth=2
	s_or_saveexec_b32 s23, s23
	v_mov_b32_e32 v133, s22
	s_xor_b32 exec_lo, exec_lo, s23
	s_cbranch_execnz .LBB4_2624
.LBB4_2313:                             ;   in Loop: Header=BB4_1907 Depth=2
	s_or_b32 exec_lo, exec_lo, s23
	s_and_saveexec_b32 s22, s7
	s_cbranch_execz .LBB4_2315
.LBB4_2314:                             ;   in Loop: Header=BB4_1907 Depth=2
	v_and_b32_e32 v133, 0xffff, v132
	v_lshlrev_b32_e32 v132, 24, v132
	s_delay_alu instid0(VALU_DEP_2) | instskip(NEXT) | instid1(VALU_DEP_2)
	v_and_b32_e32 v134, 3, v133
	v_and_b32_e32 v132, 0x80000000, v132
	s_delay_alu instid0(VALU_DEP_2) | instskip(NEXT) | instid1(VALU_DEP_1)
	v_clz_i32_u32_e32 v135, v134
	v_min_u32_e32 v135, 32, v135
	s_delay_alu instid0(VALU_DEP_1) | instskip(SKIP_1) | instid1(VALU_DEP_2)
	v_subrev_nc_u32_e32 v144, 29, v135
	v_sub_nc_u32_e32 v135, 30, v135
	v_lshlrev_b32_e32 v144, v144, v133
	v_bfe_u32 v133, v133, 2, 5
	s_delay_alu instid0(VALU_DEP_2) | instskip(NEXT) | instid1(VALU_DEP_2)
	v_and_b32_e32 v144, 3, v144
	v_cmp_eq_u32_e32 vcc_lo, 0, v133
	s_delay_alu instid0(VALU_DEP_2) | instskip(NEXT) | instid1(VALU_DEP_1)
	v_dual_cndmask_b32 v133, v133, v135 :: v_dual_cndmask_b32 v134, v134, v144
	v_lshl_add_u32 v133, v133, 23, 0x37800000
	s_delay_alu instid0(VALU_DEP_2) | instskip(NEXT) | instid1(VALU_DEP_1)
	v_lshlrev_b32_e32 v134, 21, v134
	v_or3_b32 v133, v132, v133, v134
.LBB4_2315:                             ;   in Loop: Header=BB4_1907 Depth=2
	s_or_b32 exec_lo, exec_lo, s22
	s_delay_alu instid0(VALU_DEP_1) | instskip(NEXT) | instid1(VALU_DEP_1)
	v_mul_f32_e32 v132, v131, v133
	v_and_b32_e32 v131, 0x7f800000, v132
	s_delay_alu instid0(VALU_DEP_1)
	v_cmp_ne_u32_e32 vcc_lo, 0x7f800000, v131
	v_mov_b32_e32 v131, 0x80
	s_and_saveexec_b32 s22, vcc_lo
	s_cbranch_execz .LBB4_2323
; %bb.2316:                             ;   in Loop: Header=BB4_1907 Depth=2
	v_mov_b32_e32 v131, 0
	s_mov_b32 s23, exec_lo
	v_cmpx_ne_u32_e32 0, v132
	s_cbranch_execz .LBB4_2322
; %bb.2317:                             ;   in Loop: Header=BB4_1907 Depth=2
	v_bfe_u32 v131, v132, 23, 8
	s_delay_alu instid0(VALU_DEP_1) | instskip(SKIP_1) | instid1(VALU_DEP_2)
	v_sub_nc_u32_e32 v134, 0x70, v131
	v_cmp_gt_u32_e32 vcc_lo, 0x71, v131
	v_dual_cndmask_b32 v134, 0, v134 :: v_dual_and_b32 v133, 0x7fffff, v132
	s_delay_alu instid0(VALU_DEP_1) | instskip(SKIP_2) | instid1(VALU_DEP_4)
	v_or_b32_e32 v135, 0x800000, v133
	v_cmp_eq_u32_e32 vcc_lo, 0, v131
	v_add_nc_u32_e32 v131, 0xffffff91, v131
	v_cndmask_b32_e64 v134, v134, 0x6f, vcc_lo
	s_delay_alu instid0(VALU_DEP_2) | instskip(SKIP_1) | instid1(VALU_DEP_3)
	v_cndmask_b32_e64 v131, v131, 0xffffff92, vcc_lo
	v_cndmask_b32_e32 v133, v135, v133, vcc_lo
	v_lshl_add_u32 v135, 0x200000, v134, -1
	v_lshlrev_b32_e64 v146, v134, 0x100000
	s_delay_alu instid0(VALU_DEP_3) | instskip(SKIP_1) | instid1(VALU_DEP_4)
	v_lshrrev_b32_e32 v144, v134, v133
	v_add_nc_u32_e32 v134, v134, v131
	v_and_b32_e32 v133, v135, v133
	s_delay_alu instid0(VALU_DEP_3) | instskip(NEXT) | instid1(VALU_DEP_2)
	v_bfe_u32 v145, v144, 21, 1
	v_cmp_eq_u32_e64 s7, v133, v146
	s_delay_alu instid0(VALU_DEP_2) | instskip(NEXT) | instid1(VALU_DEP_1)
	v_add_nc_u32_e32 v135, -1, v145
	v_cndmask_b32_e64 v133, 0, v135, s7
	v_lshrrev_b32_e32 v135, 23, v144
	s_mov_b32 s7, exec_lo
	s_delay_alu instid0(VALU_DEP_2) | instskip(NEXT) | instid1(VALU_DEP_2)
	v_add_nc_u32_e32 v133, v133, v144
	v_xor_b32_e32 v135, 1, v135
	s_delay_alu instid0(VALU_DEP_2) | instskip(NEXT) | instid1(VALU_DEP_1)
	v_and_b32_e32 v131, 0x1fffff, v133
	v_add_nc_u32_e32 v133, v131, v144
                                        ; implicit-def: $vgpr131
	s_delay_alu instid0(VALU_DEP_3)
	v_cmpx_ne_u32_e64 v134, v135
	s_xor_b32 s7, exec_lo, s7
; %bb.2318:                             ;   in Loop: Header=BB4_1907 Depth=2
	s_delay_alu instid0(VALU_DEP_2) | instskip(SKIP_2) | instid1(VALU_DEP_2)
	v_cmp_lt_u32_e32 vcc_lo, 0xffffff, v133
	v_sub_nc_u32_e32 v131, v134, v135
	v_cndmask_b32_e64 v134, 0, 1, vcc_lo
	v_add_co_ci_u32_e32 v131, vcc_lo, 0, v131, vcc_lo
	s_delay_alu instid0(VALU_DEP_2)
	v_lshrrev_b32_e32 v133, v134, v133
; %bb.2319:                             ;   in Loop: Header=BB4_1907 Depth=2
	s_and_not1_saveexec_b32 s7, s7
; %bb.2320:                             ;   in Loop: Header=BB4_1907 Depth=2
	s_delay_alu instid0(VALU_DEP_1)
	v_bfe_u32 v131, v133, 23, 1
; %bb.2321:                             ;   in Loop: Header=BB4_1907 Depth=2
	s_or_b32 exec_lo, exec_lo, s7
	v_lshrrev_b32_e32 v133, 21, v133
	s_delay_alu instid0(VALU_DEP_2) | instskip(SKIP_2) | instid1(VALU_DEP_2)
	v_cmp_gt_i32_e32 vcc_lo, 32, v131
	v_lshrrev_b32_e32 v132, 24, v132
	v_min_i32_e32 v134, 31, v131
	v_dual_cndmask_b32 v133, 3, v133 :: v_dual_and_b32 v132, 0x80, v132
	s_delay_alu instid0(VALU_DEP_1) | instskip(SKIP_1) | instid1(VALU_DEP_2)
	v_or_b32_e32 v131, v131, v133
	v_and_b32_e32 v135, 3, v133
	v_cmp_ne_u32_e32 vcc_lo, 0, v131
	v_lshlrev_b32_e32 v134, 2, v134
	s_delay_alu instid0(VALU_DEP_1) | instskip(NEXT) | instid1(VALU_DEP_1)
	v_or3_b32 v132, v134, v132, v135
	v_cndmask_b32_e32 v131, 0, v132, vcc_lo
.LBB4_2322:                             ;   in Loop: Header=BB4_1907 Depth=2
	s_or_b32 exec_lo, exec_lo, s23
.LBB4_2323:                             ;   in Loop: Header=BB4_1907 Depth=2
	s_delay_alu instid0(SALU_CYCLE_1) | instskip(SKIP_3) | instid1(VALU_DEP_1)
	s_or_b32 exec_lo, exec_lo, s22
	v_lshrrev_b32_e32 v133, 16, v16
	s_mov_b32 s7, 0
	s_mov_b32 s23, exec_lo
                                        ; implicit-def: $sgpr22
	v_and_b32_e32 v134, 0xff, v133
	s_delay_alu instid0(VALU_DEP_1)
	v_cmpx_lt_i16_e64 0x7f, v134
	s_xor_b32 s23, exec_lo, s23
	s_cbranch_execnz .LBB4_2625
; %bb.2324:                             ;   in Loop: Header=BB4_1907 Depth=2
	s_or_saveexec_b32 s23, s23
	v_mov_b32_e32 v132, s22
	s_xor_b32 exec_lo, exec_lo, s23
	s_cbranch_execnz .LBB4_2628
.LBB4_2325:                             ;   in Loop: Header=BB4_1907 Depth=2
	s_or_b32 exec_lo, exec_lo, s23
	s_and_saveexec_b32 s22, s7
	s_cbranch_execz .LBB4_2327
.LBB4_2326:                             ;   in Loop: Header=BB4_1907 Depth=2
	v_bfe_u32 v132, v16, 16, 2
	v_lshlrev_b32_e32 v144, 8, v16
	s_delay_alu instid0(VALU_DEP_2) | instskip(NEXT) | instid1(VALU_DEP_1)
	v_clz_i32_u32_e32 v134, v132
	v_min_u32_e32 v134, 32, v134
	s_delay_alu instid0(VALU_DEP_1) | instskip(SKIP_1) | instid1(VALU_DEP_2)
	v_subrev_nc_u32_e32 v135, 29, v134
	v_sub_nc_u32_e32 v134, 30, v134
	v_lshlrev_b32_e32 v133, v135, v133
	v_bfe_u32 v135, v16, 18, 5
	s_delay_alu instid0(VALU_DEP_1) | instskip(NEXT) | instid1(VALU_DEP_3)
	v_cmp_eq_u32_e32 vcc_lo, 0, v135
	v_dual_cndmask_b32 v134, v135, v134 :: v_dual_and_b32 v133, 3, v133
	s_delay_alu instid0(VALU_DEP_1) | instskip(NEXT) | instid1(VALU_DEP_2)
	v_dual_cndmask_b32 v132, v132, v133 :: v_dual_and_b32 v133, 0x80000000, v144
	v_lshl_add_u32 v134, v134, 23, 0x37800000
	s_delay_alu instid0(VALU_DEP_2) | instskip(NEXT) | instid1(VALU_DEP_1)
	v_lshlrev_b32_e32 v132, 21, v132
	v_or3_b32 v132, v133, v134, v132
.LBB4_2327:                             ;   in Loop: Header=BB4_1907 Depth=2
	s_or_b32 exec_lo, exec_lo, s22
	v_lshrrev_b32_e32 v133, 16, v12
	s_mov_b32 s7, 0
	s_mov_b32 s23, exec_lo
                                        ; implicit-def: $sgpr22
	s_delay_alu instid0(VALU_DEP_1) | instskip(NEXT) | instid1(VALU_DEP_1)
	v_and_b32_e32 v135, 0xff, v133
	v_cmpx_lt_i16_e64 0x7f, v135
	s_xor_b32 s23, exec_lo, s23
	s_cbranch_execnz .LBB4_2629
; %bb.2328:                             ;   in Loop: Header=BB4_1907 Depth=2
	s_or_saveexec_b32 s23, s23
	v_mov_b32_e32 v134, s22
	s_xor_b32 exec_lo, exec_lo, s23
	s_cbranch_execnz .LBB4_2632
.LBB4_2329:                             ;   in Loop: Header=BB4_1907 Depth=2
	s_or_b32 exec_lo, exec_lo, s23
	s_and_saveexec_b32 s22, s7
	s_cbranch_execz .LBB4_2331
.LBB4_2330:                             ;   in Loop: Header=BB4_1907 Depth=2
	v_bfe_u32 v134, v12, 16, 2
	v_lshlrev_b32_e32 v145, 8, v12
	s_delay_alu instid0(VALU_DEP_2) | instskip(NEXT) | instid1(VALU_DEP_1)
	v_clz_i32_u32_e32 v135, v134
	v_min_u32_e32 v135, 32, v135
	s_delay_alu instid0(VALU_DEP_1) | instskip(SKIP_1) | instid1(VALU_DEP_2)
	v_subrev_nc_u32_e32 v144, 29, v135
	v_sub_nc_u32_e32 v135, 30, v135
	v_lshlrev_b32_e32 v133, v144, v133
	v_bfe_u32 v144, v12, 18, 5
	s_delay_alu instid0(VALU_DEP_2) | instskip(NEXT) | instid1(VALU_DEP_2)
	v_and_b32_e32 v133, 3, v133
	v_cmp_eq_u32_e32 vcc_lo, 0, v144
	v_cndmask_b32_e32 v135, v144, v135, vcc_lo
	s_delay_alu instid0(VALU_DEP_3) | instskip(SKIP_1) | instid1(VALU_DEP_3)
	v_cndmask_b32_e32 v133, v134, v133, vcc_lo
	v_and_b32_e32 v134, 0x80000000, v145
	v_lshl_add_u32 v135, v135, 23, 0x37800000
	s_delay_alu instid0(VALU_DEP_3) | instskip(NEXT) | instid1(VALU_DEP_1)
	v_lshlrev_b32_e32 v133, 21, v133
	v_or3_b32 v134, v134, v135, v133
.LBB4_2331:                             ;   in Loop: Header=BB4_1907 Depth=2
	s_or_b32 exec_lo, exec_lo, s22
	s_delay_alu instid0(VALU_DEP_1) | instskip(NEXT) | instid1(VALU_DEP_1)
	v_mul_f32_e32 v133, v132, v134
	v_and_b32_e32 v132, 0x7f800000, v133
	s_delay_alu instid0(VALU_DEP_1)
	v_cmp_ne_u32_e32 vcc_lo, 0x7f800000, v132
	v_mov_b32_e32 v132, 0x80
	s_and_saveexec_b32 s22, vcc_lo
	s_cbranch_execz .LBB4_2339
; %bb.2332:                             ;   in Loop: Header=BB4_1907 Depth=2
	v_mov_b32_e32 v132, 0
	s_mov_b32 s23, exec_lo
	v_cmpx_ne_u32_e32 0, v133
	s_cbranch_execz .LBB4_2338
; %bb.2333:                             ;   in Loop: Header=BB4_1907 Depth=2
	v_bfe_u32 v132, v133, 23, 8
	s_delay_alu instid0(VALU_DEP_1) | instskip(SKIP_1) | instid1(VALU_DEP_2)
	v_sub_nc_u32_e32 v135, 0x70, v132
	v_cmp_gt_u32_e32 vcc_lo, 0x71, v132
	v_dual_cndmask_b32 v135, 0, v135 :: v_dual_and_b32 v134, 0x7fffff, v133
	s_delay_alu instid0(VALU_DEP_1) | instskip(SKIP_2) | instid1(VALU_DEP_4)
	v_or_b32_e32 v144, 0x800000, v134
	v_cmp_eq_u32_e32 vcc_lo, 0, v132
	v_add_nc_u32_e32 v132, 0xffffff91, v132
	v_cndmask_b32_e64 v135, v135, 0x6f, vcc_lo
	s_delay_alu instid0(VALU_DEP_2) | instskip(SKIP_1) | instid1(VALU_DEP_3)
	v_cndmask_b32_e64 v132, v132, 0xffffff92, vcc_lo
	v_cndmask_b32_e32 v134, v144, v134, vcc_lo
	v_lshl_add_u32 v144, 0x200000, v135, -1
	v_lshlrev_b32_e64 v147, v135, 0x100000
	s_delay_alu instid0(VALU_DEP_3) | instskip(SKIP_1) | instid1(VALU_DEP_4)
	v_lshrrev_b32_e32 v145, v135, v134
	v_add_nc_u32_e32 v135, v135, v132
	v_and_b32_e32 v134, v144, v134
	s_delay_alu instid0(VALU_DEP_3) | instskip(NEXT) | instid1(VALU_DEP_2)
	v_bfe_u32 v146, v145, 21, 1
	v_cmp_eq_u32_e64 s7, v134, v147
	s_delay_alu instid0(VALU_DEP_2) | instskip(NEXT) | instid1(VALU_DEP_1)
	v_add_nc_u32_e32 v144, -1, v146
	v_cndmask_b32_e64 v134, 0, v144, s7
	v_lshrrev_b32_e32 v144, 23, v145
	s_mov_b32 s7, exec_lo
	s_delay_alu instid0(VALU_DEP_2) | instskip(NEXT) | instid1(VALU_DEP_2)
	v_add_nc_u32_e32 v134, v134, v145
	v_xor_b32_e32 v144, 1, v144
	s_delay_alu instid0(VALU_DEP_2) | instskip(NEXT) | instid1(VALU_DEP_1)
	v_and_b32_e32 v132, 0x1fffff, v134
	v_add_nc_u32_e32 v134, v132, v145
                                        ; implicit-def: $vgpr132
	s_delay_alu instid0(VALU_DEP_3)
	v_cmpx_ne_u32_e64 v135, v144
	s_xor_b32 s7, exec_lo, s7
; %bb.2334:                             ;   in Loop: Header=BB4_1907 Depth=2
	s_delay_alu instid0(VALU_DEP_2) | instskip(SKIP_2) | instid1(VALU_DEP_2)
	v_cmp_lt_u32_e32 vcc_lo, 0xffffff, v134
	v_sub_nc_u32_e32 v132, v135, v144
	v_cndmask_b32_e64 v135, 0, 1, vcc_lo
	v_add_co_ci_u32_e32 v132, vcc_lo, 0, v132, vcc_lo
	s_delay_alu instid0(VALU_DEP_2)
	v_lshrrev_b32_e32 v134, v135, v134
; %bb.2335:                             ;   in Loop: Header=BB4_1907 Depth=2
	s_and_not1_saveexec_b32 s7, s7
; %bb.2336:                             ;   in Loop: Header=BB4_1907 Depth=2
	s_delay_alu instid0(VALU_DEP_1)
	v_bfe_u32 v132, v134, 23, 1
; %bb.2337:                             ;   in Loop: Header=BB4_1907 Depth=2
	s_or_b32 exec_lo, exec_lo, s7
	v_lshrrev_b32_e32 v134, 21, v134
	s_delay_alu instid0(VALU_DEP_2) | instskip(SKIP_2) | instid1(VALU_DEP_2)
	v_cmp_gt_i32_e32 vcc_lo, 32, v132
	v_lshrrev_b32_e32 v133, 24, v133
	v_min_i32_e32 v135, 31, v132
	v_dual_cndmask_b32 v134, 3, v134 :: v_dual_and_b32 v133, 0x80, v133
	s_delay_alu instid0(VALU_DEP_1) | instskip(SKIP_1) | instid1(VALU_DEP_2)
	v_or_b32_e32 v132, v132, v134
	v_and_b32_e32 v144, 3, v134
	v_cmp_ne_u32_e32 vcc_lo, 0, v132
	v_lshlrev_b32_e32 v135, 2, v135
	s_delay_alu instid0(VALU_DEP_1) | instskip(NEXT) | instid1(VALU_DEP_1)
	v_or3_b32 v133, v135, v133, v144
	v_cndmask_b32_e32 v132, 0, v133, vcc_lo
.LBB4_2338:                             ;   in Loop: Header=BB4_1907 Depth=2
	s_or_b32 exec_lo, exec_lo, s23
.LBB4_2339:                             ;   in Loop: Header=BB4_1907 Depth=2
	s_delay_alu instid0(SALU_CYCLE_1) | instskip(SKIP_3) | instid1(VALU_DEP_1)
	s_or_b32 exec_lo, exec_lo, s22
	v_lshrrev_b32_e32 v134, 24, v16
	s_mov_b32 s7, 0
	s_mov_b32 s23, exec_lo
                                        ; implicit-def: $sgpr22
	v_cmpx_lt_i16_e64 0x7f, v134
	s_xor_b32 s23, exec_lo, s23
	s_cbranch_execnz .LBB4_2633
; %bb.2340:                             ;   in Loop: Header=BB4_1907 Depth=2
	s_or_saveexec_b32 s23, s23
	v_mov_b32_e32 v133, s22
	s_xor_b32 exec_lo, exec_lo, s23
	s_cbranch_execnz .LBB4_2636
.LBB4_2341:                             ;   in Loop: Header=BB4_1907 Depth=2
	s_or_b32 exec_lo, exec_lo, s23
	s_and_saveexec_b32 s22, s7
	s_cbranch_execz .LBB4_2343
.LBB4_2342:                             ;   in Loop: Header=BB4_1907 Depth=2
	v_bfe_u32 v133, v16, 24, 2
	s_delay_alu instid0(VALU_DEP_1) | instskip(NEXT) | instid1(VALU_DEP_1)
	v_clz_i32_u32_e32 v135, v133
	v_min_u32_e32 v135, 32, v135
	s_delay_alu instid0(VALU_DEP_1) | instskip(SKIP_1) | instid1(VALU_DEP_2)
	v_subrev_nc_u32_e32 v144, 29, v135
	v_sub_nc_u32_e32 v135, 30, v135
	v_lshlrev_b32_e32 v134, v144, v134
	v_bfe_u32 v144, v16, 26, 5
	v_and_b32_e32 v16, 0x80000000, v16
	s_delay_alu instid0(VALU_DEP_2) | instskip(NEXT) | instid1(VALU_DEP_4)
	v_cmp_eq_u32_e32 vcc_lo, 0, v144
	v_dual_cndmask_b32 v135, v144, v135 :: v_dual_and_b32 v134, 3, v134
	s_delay_alu instid0(VALU_DEP_1) | instskip(NEXT) | instid1(VALU_DEP_2)
	v_cndmask_b32_e32 v133, v133, v134, vcc_lo
	v_lshl_add_u32 v134, v135, 23, 0x37800000
	s_delay_alu instid0(VALU_DEP_2) | instskip(NEXT) | instid1(VALU_DEP_1)
	v_lshlrev_b32_e32 v133, 21, v133
	v_or3_b32 v133, v16, v134, v133
.LBB4_2343:                             ;   in Loop: Header=BB4_1907 Depth=2
	s_or_b32 exec_lo, exec_lo, s22
	v_lshrrev_b32_e32 v16, 24, v12
	s_mov_b32 s7, 0
	s_mov_b32 s23, exec_lo
                                        ; implicit-def: $sgpr22
	s_delay_alu instid0(VALU_DEP_1)
	v_cmpx_lt_i16_e32 0x7f, v16
	s_xor_b32 s23, exec_lo, s23
	s_cbranch_execnz .LBB4_2637
; %bb.2344:                             ;   in Loop: Header=BB4_1907 Depth=2
	s_or_saveexec_b32 s23, s23
	v_mov_b32_e32 v134, s22
	s_xor_b32 exec_lo, exec_lo, s23
	s_cbranch_execnz .LBB4_2640
.LBB4_2345:                             ;   in Loop: Header=BB4_1907 Depth=2
	s_or_b32 exec_lo, exec_lo, s23
	s_and_saveexec_b32 s22, s7
	s_cbranch_execz .LBB4_2347
.LBB4_2346:                             ;   in Loop: Header=BB4_1907 Depth=2
	v_bfe_u32 v134, v12, 24, 2
	s_delay_alu instid0(VALU_DEP_1) | instskip(NEXT) | instid1(VALU_DEP_1)
	v_clz_i32_u32_e32 v135, v134
	v_min_u32_e32 v135, 32, v135
	s_delay_alu instid0(VALU_DEP_1) | instskip(SKIP_1) | instid1(VALU_DEP_2)
	v_subrev_nc_u32_e32 v144, 29, v135
	v_sub_nc_u32_e32 v135, 30, v135
	v_lshlrev_b32_e32 v16, v144, v16
	v_bfe_u32 v144, v12, 26, 5
	v_and_b32_e32 v12, 0x80000000, v12
	s_delay_alu instid0(VALU_DEP_2) | instskip(NEXT) | instid1(VALU_DEP_4)
	v_cmp_eq_u32_e32 vcc_lo, 0, v144
	v_dual_cndmask_b32 v135, v144, v135 :: v_dual_and_b32 v16, 3, v16
	s_delay_alu instid0(VALU_DEP_1) | instskip(NEXT) | instid1(VALU_DEP_2)
	v_cndmask_b32_e32 v16, v134, v16, vcc_lo
	v_lshl_add_u32 v134, v135, 23, 0x37800000
	s_delay_alu instid0(VALU_DEP_2) | instskip(NEXT) | instid1(VALU_DEP_1)
	v_lshlrev_b32_e32 v16, 21, v16
	v_or3_b32 v134, v12, v134, v16
.LBB4_2347:                             ;   in Loop: Header=BB4_1907 Depth=2
	s_or_b32 exec_lo, exec_lo, s22
	s_delay_alu instid0(VALU_DEP_1) | instskip(NEXT) | instid1(VALU_DEP_1)
	v_mul_f32_e32 v16, v133, v134
	v_and_b32_e32 v12, 0x7f800000, v16
	s_delay_alu instid0(VALU_DEP_1)
	v_cmp_ne_u32_e32 vcc_lo, 0x7f800000, v12
	v_mov_b32_e32 v12, 0x80
	s_and_saveexec_b32 s22, vcc_lo
	s_cbranch_execz .LBB4_2355
; %bb.2348:                             ;   in Loop: Header=BB4_1907 Depth=2
	v_mov_b32_e32 v12, 0
	s_mov_b32 s23, exec_lo
	v_cmpx_ne_u32_e32 0, v16
	s_cbranch_execz .LBB4_2354
; %bb.2349:                             ;   in Loop: Header=BB4_1907 Depth=2
	v_bfe_u32 v12, v16, 23, 8
	s_delay_alu instid0(VALU_DEP_1) | instskip(SKIP_1) | instid1(VALU_DEP_2)
	v_sub_nc_u32_e32 v134, 0x70, v12
	v_cmp_gt_u32_e32 vcc_lo, 0x71, v12
	v_dual_cndmask_b32 v134, 0, v134 :: v_dual_and_b32 v133, 0x7fffff, v16
	s_delay_alu instid0(VALU_DEP_1) | instskip(SKIP_2) | instid1(VALU_DEP_4)
	v_or_b32_e32 v135, 0x800000, v133
	v_cmp_eq_u32_e32 vcc_lo, 0, v12
	v_add_nc_u32_e32 v12, 0xffffff91, v12
	v_cndmask_b32_e64 v134, v134, 0x6f, vcc_lo
	s_delay_alu instid0(VALU_DEP_4) | instskip(NEXT) | instid1(VALU_DEP_3)
	v_cndmask_b32_e32 v133, v135, v133, vcc_lo
	v_cndmask_b32_e64 v12, v12, 0xffffff92, vcc_lo
	s_delay_alu instid0(VALU_DEP_3) | instskip(NEXT) | instid1(VALU_DEP_3)
	v_lshl_add_u32 v135, 0x200000, v134, -1
	v_lshrrev_b32_e32 v144, v134, v133
	v_lshlrev_b32_e64 v146, v134, 0x100000
	s_delay_alu instid0(VALU_DEP_4) | instskip(NEXT) | instid1(VALU_DEP_4)
	v_add_nc_u32_e32 v134, v134, v12
	v_and_b32_e32 v133, v135, v133
	s_delay_alu instid0(VALU_DEP_4) | instskip(NEXT) | instid1(VALU_DEP_2)
	v_bfe_u32 v145, v144, 21, 1
	v_cmp_eq_u32_e64 s7, v133, v146
	s_delay_alu instid0(VALU_DEP_2) | instskip(NEXT) | instid1(VALU_DEP_1)
	v_add_nc_u32_e32 v135, -1, v145
	v_cndmask_b32_e64 v133, 0, v135, s7
	v_lshrrev_b32_e32 v135, 23, v144
	s_mov_b32 s7, exec_lo
	s_delay_alu instid0(VALU_DEP_2) | instskip(NEXT) | instid1(VALU_DEP_2)
	v_add_nc_u32_e32 v133, v133, v144
	v_xor_b32_e32 v135, 1, v135
	s_delay_alu instid0(VALU_DEP_2) | instskip(NEXT) | instid1(VALU_DEP_1)
	v_and_b32_e32 v12, 0x1fffff, v133
	v_add_nc_u32_e32 v133, v12, v144
                                        ; implicit-def: $vgpr12
	s_delay_alu instid0(VALU_DEP_3)
	v_cmpx_ne_u32_e64 v134, v135
	s_xor_b32 s7, exec_lo, s7
; %bb.2350:                             ;   in Loop: Header=BB4_1907 Depth=2
	s_delay_alu instid0(VALU_DEP_2) | instskip(SKIP_2) | instid1(VALU_DEP_2)
	v_cmp_lt_u32_e32 vcc_lo, 0xffffff, v133
	v_sub_nc_u32_e32 v12, v134, v135
	v_cndmask_b32_e64 v134, 0, 1, vcc_lo
	v_add_co_ci_u32_e32 v12, vcc_lo, 0, v12, vcc_lo
	s_delay_alu instid0(VALU_DEP_2)
	v_lshrrev_b32_e32 v133, v134, v133
; %bb.2351:                             ;   in Loop: Header=BB4_1907 Depth=2
	s_and_not1_saveexec_b32 s7, s7
; %bb.2352:                             ;   in Loop: Header=BB4_1907 Depth=2
	s_delay_alu instid0(VALU_DEP_1)
	v_bfe_u32 v12, v133, 23, 1
; %bb.2353:                             ;   in Loop: Header=BB4_1907 Depth=2
	s_or_b32 exec_lo, exec_lo, s7
	v_lshrrev_b32_e32 v133, 21, v133
	s_delay_alu instid0(VALU_DEP_2) | instskip(SKIP_2) | instid1(VALU_DEP_2)
	v_cmp_gt_i32_e32 vcc_lo, 32, v12
	v_lshrrev_b32_e32 v16, 24, v16
	v_min_i32_e32 v134, 31, v12
	v_dual_cndmask_b32 v133, 3, v133 :: v_dual_and_b32 v16, 0x80, v16
	s_delay_alu instid0(VALU_DEP_2) | instskip(NEXT) | instid1(VALU_DEP_2)
	v_lshlrev_b32_e32 v134, 2, v134
	v_or_b32_e32 v12, v12, v133
	s_delay_alu instid0(VALU_DEP_1) | instskip(SKIP_1) | instid1(VALU_DEP_1)
	v_cmp_ne_u32_e32 vcc_lo, 0, v12
	v_and_b32_e32 v135, 3, v133
	v_or3_b32 v16, v134, v16, v135
	s_delay_alu instid0(VALU_DEP_1)
	v_cndmask_b32_e32 v12, 0, v16, vcc_lo
.LBB4_2354:                             ;   in Loop: Header=BB4_1907 Depth=2
	s_or_b32 exec_lo, exec_lo, s23
.LBB4_2355:                             ;   in Loop: Header=BB4_1907 Depth=2
	s_delay_alu instid0(SALU_CYCLE_1) | instskip(SKIP_3) | instid1(VALU_DEP_1)
	s_or_b32 exec_lo, exec_lo, s22
	v_and_b32_e32 v133, 0xff, v17
	s_mov_b32 s7, 0
	s_mov_b32 s23, exec_lo
                                        ; implicit-def: $sgpr22
	v_cmpx_lt_i16_e64 0x7f, v133
	s_xor_b32 s23, exec_lo, s23
	s_cbranch_execnz .LBB4_2641
; %bb.2356:                             ;   in Loop: Header=BB4_1907 Depth=2
	s_or_saveexec_b32 s23, s23
	v_mov_b32_e32 v16, s22
	s_xor_b32 exec_lo, exec_lo, s23
	s_cbranch_execnz .LBB4_2644
.LBB4_2357:                             ;   in Loop: Header=BB4_1907 Depth=2
	s_or_b32 exec_lo, exec_lo, s23
	s_and_saveexec_b32 s22, s7
	s_cbranch_execz .LBB4_2359
.LBB4_2358:                             ;   in Loop: Header=BB4_1907 Depth=2
	v_and_b32_e32 v16, 3, v17
	v_bfe_u32 v135, v17, 2, 5
	v_lshlrev_b32_e32 v144, 24, v17
	s_delay_alu instid0(VALU_DEP_3) | instskip(NEXT) | instid1(VALU_DEP_3)
	v_clz_i32_u32_e32 v133, v16
	v_cmp_eq_u32_e32 vcc_lo, 0, v135
	s_delay_alu instid0(VALU_DEP_2) | instskip(NEXT) | instid1(VALU_DEP_1)
	v_min_u32_e32 v133, 32, v133
	v_subrev_nc_u32_e32 v134, 29, v133
	v_sub_nc_u32_e32 v133, 30, v133
	s_delay_alu instid0(VALU_DEP_2) | instskip(NEXT) | instid1(VALU_DEP_1)
	v_lshlrev_b32_e32 v134, v134, v17
	v_dual_cndmask_b32 v133, v135, v133 :: v_dual_and_b32 v134, 3, v134
	s_delay_alu instid0(VALU_DEP_1) | instskip(NEXT) | instid1(VALU_DEP_2)
	v_lshl_add_u32 v133, v133, 23, 0x37800000
	v_cndmask_b32_e32 v16, v16, v134, vcc_lo
	v_and_b32_e32 v134, 0x80000000, v144
	s_delay_alu instid0(VALU_DEP_2) | instskip(NEXT) | instid1(VALU_DEP_1)
	v_lshlrev_b32_e32 v16, 21, v16
	v_or3_b32 v16, v134, v133, v16
.LBB4_2359:                             ;   in Loop: Header=BB4_1907 Depth=2
	s_or_b32 exec_lo, exec_lo, s22
	v_and_b32_e32 v134, 0xff, v13
	s_mov_b32 s7, 0
	s_mov_b32 s23, exec_lo
                                        ; implicit-def: $sgpr22
	s_delay_alu instid0(VALU_DEP_1)
	v_cmpx_lt_i16_e64 0x7f, v134
	s_xor_b32 s23, exec_lo, s23
	s_cbranch_execnz .LBB4_2645
; %bb.2360:                             ;   in Loop: Header=BB4_1907 Depth=2
	s_or_saveexec_b32 s23, s23
	v_mov_b32_e32 v133, s22
	s_xor_b32 exec_lo, exec_lo, s23
	s_cbranch_execnz .LBB4_2648
.LBB4_2361:                             ;   in Loop: Header=BB4_1907 Depth=2
	s_or_b32 exec_lo, exec_lo, s23
	s_and_saveexec_b32 s22, s7
	s_cbranch_execz .LBB4_2363
.LBB4_2362:                             ;   in Loop: Header=BB4_1907 Depth=2
	v_bfe_u32 v144, v13, 2, 5
	v_lshlrev_b32_e32 v145, 24, v13
	s_delay_alu instid0(VALU_DEP_2) | instskip(SKIP_1) | instid1(VALU_DEP_1)
	v_cmp_eq_u32_e32 vcc_lo, 0, v144
	v_and_b32_e32 v133, 3, v13
	v_clz_i32_u32_e32 v134, v133
	s_delay_alu instid0(VALU_DEP_1) | instskip(NEXT) | instid1(VALU_DEP_1)
	v_min_u32_e32 v134, 32, v134
	v_subrev_nc_u32_e32 v135, 29, v134
	v_sub_nc_u32_e32 v134, 30, v134
	s_delay_alu instid0(VALU_DEP_1) | instskip(NEXT) | instid1(VALU_DEP_1)
	v_dual_cndmask_b32 v134, v144, v134 :: v_dual_lshlrev_b32 v135, v135, v13
	v_and_b32_e32 v135, 3, v135
	s_delay_alu instid0(VALU_DEP_2) | instskip(NEXT) | instid1(VALU_DEP_2)
	v_lshl_add_u32 v134, v134, 23, 0x37800000
	v_cndmask_b32_e32 v133, v133, v135, vcc_lo
	v_and_b32_e32 v135, 0x80000000, v145
	s_delay_alu instid0(VALU_DEP_2) | instskip(NEXT) | instid1(VALU_DEP_1)
	v_lshlrev_b32_e32 v133, 21, v133
	v_or3_b32 v133, v135, v134, v133
.LBB4_2363:                             ;   in Loop: Header=BB4_1907 Depth=2
	s_or_b32 exec_lo, exec_lo, s22
	s_delay_alu instid0(VALU_DEP_1) | instskip(NEXT) | instid1(VALU_DEP_1)
	v_mul_f32_e32 v133, v16, v133
	v_and_b32_e32 v16, 0x7f800000, v133
	s_delay_alu instid0(VALU_DEP_1)
	v_cmp_ne_u32_e32 vcc_lo, 0x7f800000, v16
	v_mov_b32_e32 v16, 0x80
	s_and_saveexec_b32 s22, vcc_lo
	s_cbranch_execz .LBB4_2371
; %bb.2364:                             ;   in Loop: Header=BB4_1907 Depth=2
	v_mov_b32_e32 v16, 0
	s_mov_b32 s23, exec_lo
	v_cmpx_ne_u32_e32 0, v133
	s_cbranch_execz .LBB4_2370
; %bb.2365:                             ;   in Loop: Header=BB4_1907 Depth=2
	v_bfe_u32 v16, v133, 23, 8
	s_delay_alu instid0(VALU_DEP_1) | instskip(SKIP_1) | instid1(VALU_DEP_2)
	v_sub_nc_u32_e32 v135, 0x70, v16
	v_cmp_gt_u32_e32 vcc_lo, 0x71, v16
	v_dual_cndmask_b32 v135, 0, v135 :: v_dual_and_b32 v134, 0x7fffff, v133
	s_delay_alu instid0(VALU_DEP_1) | instskip(SKIP_2) | instid1(VALU_DEP_4)
	v_or_b32_e32 v144, 0x800000, v134
	v_cmp_eq_u32_e32 vcc_lo, 0, v16
	v_add_nc_u32_e32 v16, 0xffffff91, v16
	v_cndmask_b32_e64 v135, v135, 0x6f, vcc_lo
	s_delay_alu instid0(VALU_DEP_2) | instskip(SKIP_1) | instid1(VALU_DEP_3)
	v_cndmask_b32_e64 v16, v16, 0xffffff92, vcc_lo
	v_cndmask_b32_e32 v134, v144, v134, vcc_lo
	v_lshl_add_u32 v144, 0x200000, v135, -1
	v_lshlrev_b32_e64 v147, v135, 0x100000
	s_delay_alu instid0(VALU_DEP_3) | instskip(SKIP_1) | instid1(VALU_DEP_4)
	v_lshrrev_b32_e32 v145, v135, v134
	v_add_nc_u32_e32 v135, v135, v16
	v_and_b32_e32 v134, v144, v134
	s_delay_alu instid0(VALU_DEP_3) | instskip(NEXT) | instid1(VALU_DEP_2)
	v_bfe_u32 v146, v145, 21, 1
	v_cmp_eq_u32_e64 s7, v134, v147
	s_delay_alu instid0(VALU_DEP_2) | instskip(NEXT) | instid1(VALU_DEP_1)
	v_add_nc_u32_e32 v144, -1, v146
	v_cndmask_b32_e64 v134, 0, v144, s7
	v_lshrrev_b32_e32 v144, 23, v145
	s_mov_b32 s7, exec_lo
	s_delay_alu instid0(VALU_DEP_2) | instskip(NEXT) | instid1(VALU_DEP_2)
	v_add_nc_u32_e32 v134, v134, v145
	v_xor_b32_e32 v144, 1, v144
	s_delay_alu instid0(VALU_DEP_2) | instskip(NEXT) | instid1(VALU_DEP_1)
	v_and_b32_e32 v16, 0x1fffff, v134
	v_add_nc_u32_e32 v134, v16, v145
                                        ; implicit-def: $vgpr16
	s_delay_alu instid0(VALU_DEP_3)
	v_cmpx_ne_u32_e64 v135, v144
	s_xor_b32 s7, exec_lo, s7
; %bb.2366:                             ;   in Loop: Header=BB4_1907 Depth=2
	s_delay_alu instid0(VALU_DEP_2) | instskip(SKIP_2) | instid1(VALU_DEP_2)
	v_cmp_lt_u32_e32 vcc_lo, 0xffffff, v134
	v_sub_nc_u32_e32 v16, v135, v144
	v_cndmask_b32_e64 v135, 0, 1, vcc_lo
	v_add_co_ci_u32_e32 v16, vcc_lo, 0, v16, vcc_lo
	s_delay_alu instid0(VALU_DEP_2)
	v_lshrrev_b32_e32 v134, v135, v134
; %bb.2367:                             ;   in Loop: Header=BB4_1907 Depth=2
	s_and_not1_saveexec_b32 s7, s7
; %bb.2368:                             ;   in Loop: Header=BB4_1907 Depth=2
	s_delay_alu instid0(VALU_DEP_1)
	v_bfe_u32 v16, v134, 23, 1
; %bb.2369:                             ;   in Loop: Header=BB4_1907 Depth=2
	s_or_b32 exec_lo, exec_lo, s7
	v_lshrrev_b32_e32 v134, 21, v134
	s_delay_alu instid0(VALU_DEP_2) | instskip(SKIP_2) | instid1(VALU_DEP_2)
	v_cmp_gt_i32_e32 vcc_lo, 32, v16
	v_lshrrev_b32_e32 v133, 24, v133
	v_min_i32_e32 v135, 31, v16
	v_dual_cndmask_b32 v134, 3, v134 :: v_dual_and_b32 v133, 0x80, v133
	s_delay_alu instid0(VALU_DEP_1) | instskip(SKIP_1) | instid1(VALU_DEP_2)
	v_or_b32_e32 v16, v16, v134
	v_and_b32_e32 v144, 3, v134
	v_cmp_ne_u32_e32 vcc_lo, 0, v16
	v_lshlrev_b32_e32 v135, 2, v135
	s_delay_alu instid0(VALU_DEP_1) | instskip(NEXT) | instid1(VALU_DEP_1)
	v_or3_b32 v133, v135, v133, v144
	v_cndmask_b32_e32 v16, 0, v133, vcc_lo
.LBB4_2370:                             ;   in Loop: Header=BB4_1907 Depth=2
	s_or_b32 exec_lo, exec_lo, s23
.LBB4_2371:                             ;   in Loop: Header=BB4_1907 Depth=2
	s_delay_alu instid0(SALU_CYCLE_1) | instskip(SKIP_3) | instid1(VALU_DEP_1)
	s_or_b32 exec_lo, exec_lo, s22
	v_lshrrev_b16 v134, 8, v17
	s_mov_b32 s7, 0
	s_mov_b32 s23, exec_lo
                                        ; implicit-def: $sgpr22
	v_cmpx_lt_i16_e64 0x7f, v134
	s_xor_b32 s23, exec_lo, s23
	s_cbranch_execnz .LBB4_2649
; %bb.2372:                             ;   in Loop: Header=BB4_1907 Depth=2
	s_or_saveexec_b32 s23, s23
	v_mov_b32_e32 v133, s22
	s_xor_b32 exec_lo, exec_lo, s23
	s_cbranch_execnz .LBB4_2652
.LBB4_2373:                             ;   in Loop: Header=BB4_1907 Depth=2
	s_or_b32 exec_lo, exec_lo, s23
	s_and_saveexec_b32 s22, s7
	s_cbranch_execz .LBB4_2375
.LBB4_2374:                             ;   in Loop: Header=BB4_1907 Depth=2
	v_and_b32_e32 v133, 0xffff, v134
	s_delay_alu instid0(VALU_DEP_1) | instskip(NEXT) | instid1(VALU_DEP_1)
	v_and_b32_e32 v135, 3, v133
	v_clz_i32_u32_e32 v144, v135
	s_delay_alu instid0(VALU_DEP_1) | instskip(NEXT) | instid1(VALU_DEP_1)
	v_min_u32_e32 v144, 32, v144
	v_subrev_nc_u32_e32 v145, 29, v144
	v_sub_nc_u32_e32 v144, 30, v144
	s_delay_alu instid0(VALU_DEP_2) | instskip(SKIP_1) | instid1(VALU_DEP_2)
	v_lshlrev_b32_e32 v145, v145, v133
	v_bfe_u32 v133, v133, 2, 5
	v_and_b32_e32 v145, 3, v145
	s_delay_alu instid0(VALU_DEP_2) | instskip(SKIP_1) | instid1(VALU_DEP_1)
	v_cmp_eq_u32_e32 vcc_lo, 0, v133
	v_dual_cndmask_b32 v133, v133, v144 :: v_dual_lshlrev_b32 v134, 24, v134
	v_dual_cndmask_b32 v135, v135, v145 :: v_dual_and_b32 v134, 0x80000000, v134
	s_delay_alu instid0(VALU_DEP_2) | instskip(NEXT) | instid1(VALU_DEP_2)
	v_lshl_add_u32 v133, v133, 23, 0x37800000
	v_lshlrev_b32_e32 v135, 21, v135
	s_delay_alu instid0(VALU_DEP_1)
	v_or3_b32 v133, v134, v133, v135
.LBB4_2375:                             ;   in Loop: Header=BB4_1907 Depth=2
	s_or_b32 exec_lo, exec_lo, s22
	v_lshrrev_b16 v134, 8, v13
	s_mov_b32 s7, 0
	s_mov_b32 s23, exec_lo
                                        ; implicit-def: $sgpr22
	s_delay_alu instid0(VALU_DEP_1)
	v_cmpx_lt_i16_e64 0x7f, v134
	s_xor_b32 s23, exec_lo, s23
	s_cbranch_execnz .LBB4_2653
; %bb.2376:                             ;   in Loop: Header=BB4_1907 Depth=2
	s_or_saveexec_b32 s23, s23
	v_mov_b32_e32 v135, s22
	s_xor_b32 exec_lo, exec_lo, s23
	s_cbranch_execnz .LBB4_2656
.LBB4_2377:                             ;   in Loop: Header=BB4_1907 Depth=2
	s_or_b32 exec_lo, exec_lo, s23
	s_and_saveexec_b32 s22, s7
	s_cbranch_execz .LBB4_2379
.LBB4_2378:                             ;   in Loop: Header=BB4_1907 Depth=2
	v_and_b32_e32 v135, 0xffff, v134
	v_lshlrev_b32_e32 v134, 24, v134
	s_delay_alu instid0(VALU_DEP_2) | instskip(NEXT) | instid1(VALU_DEP_2)
	v_and_b32_e32 v144, 3, v135
	v_and_b32_e32 v134, 0x80000000, v134
	s_delay_alu instid0(VALU_DEP_2) | instskip(NEXT) | instid1(VALU_DEP_1)
	v_clz_i32_u32_e32 v145, v144
	v_min_u32_e32 v145, 32, v145
	s_delay_alu instid0(VALU_DEP_1) | instskip(SKIP_1) | instid1(VALU_DEP_2)
	v_subrev_nc_u32_e32 v146, 29, v145
	v_sub_nc_u32_e32 v145, 30, v145
	v_lshlrev_b32_e32 v146, v146, v135
	v_bfe_u32 v135, v135, 2, 5
	s_delay_alu instid0(VALU_DEP_2) | instskip(NEXT) | instid1(VALU_DEP_2)
	v_and_b32_e32 v146, 3, v146
	v_cmp_eq_u32_e32 vcc_lo, 0, v135
	s_delay_alu instid0(VALU_DEP_2) | instskip(NEXT) | instid1(VALU_DEP_1)
	v_dual_cndmask_b32 v135, v135, v145 :: v_dual_cndmask_b32 v144, v144, v146
	v_lshl_add_u32 v135, v135, 23, 0x37800000
	s_delay_alu instid0(VALU_DEP_2) | instskip(NEXT) | instid1(VALU_DEP_1)
	v_lshlrev_b32_e32 v144, 21, v144
	v_or3_b32 v135, v134, v135, v144
.LBB4_2379:                             ;   in Loop: Header=BB4_1907 Depth=2
	s_or_b32 exec_lo, exec_lo, s22
	s_delay_alu instid0(VALU_DEP_1) | instskip(NEXT) | instid1(VALU_DEP_1)
	v_mul_f32_e32 v134, v133, v135
	v_and_b32_e32 v133, 0x7f800000, v134
	s_delay_alu instid0(VALU_DEP_1)
	v_cmp_ne_u32_e32 vcc_lo, 0x7f800000, v133
	v_mov_b32_e32 v133, 0x8000
	s_and_saveexec_b32 s22, vcc_lo
	s_cbranch_execz .LBB4_2387
; %bb.2380:                             ;   in Loop: Header=BB4_1907 Depth=2
	v_mov_b32_e32 v133, 0
	s_mov_b32 s23, exec_lo
	v_cmpx_ne_u32_e32 0, v134
	s_cbranch_execz .LBB4_2386
; %bb.2381:                             ;   in Loop: Header=BB4_1907 Depth=2
	v_bfe_u32 v133, v134, 23, 8
	s_delay_alu instid0(VALU_DEP_1) | instskip(SKIP_1) | instid1(VALU_DEP_2)
	v_sub_nc_u32_e32 v144, 0x70, v133
	v_cmp_gt_u32_e32 vcc_lo, 0x71, v133
	v_dual_cndmask_b32 v144, 0, v144 :: v_dual_and_b32 v135, 0x7fffff, v134
	s_delay_alu instid0(VALU_DEP_1) | instskip(SKIP_2) | instid1(VALU_DEP_4)
	v_or_b32_e32 v145, 0x800000, v135
	v_cmp_eq_u32_e32 vcc_lo, 0, v133
	v_add_nc_u32_e32 v133, 0xffffff91, v133
	v_cndmask_b32_e64 v144, v144, 0x6f, vcc_lo
	s_delay_alu instid0(VALU_DEP_2) | instskip(SKIP_1) | instid1(VALU_DEP_3)
	v_cndmask_b32_e64 v133, v133, 0xffffff92, vcc_lo
	v_cndmask_b32_e32 v135, v145, v135, vcc_lo
	v_lshl_add_u32 v145, 0x200000, v144, -1
	v_lshlrev_b32_e64 v148, v144, 0x100000
	s_delay_alu instid0(VALU_DEP_3) | instskip(SKIP_1) | instid1(VALU_DEP_4)
	v_lshrrev_b32_e32 v146, v144, v135
	v_add_nc_u32_e32 v144, v144, v133
	v_and_b32_e32 v135, v145, v135
	s_delay_alu instid0(VALU_DEP_3) | instskip(NEXT) | instid1(VALU_DEP_2)
	v_bfe_u32 v147, v146, 21, 1
	v_cmp_eq_u32_e64 s7, v135, v148
	s_delay_alu instid0(VALU_DEP_2) | instskip(NEXT) | instid1(VALU_DEP_1)
	v_add_nc_u32_e32 v145, -1, v147
	v_cndmask_b32_e64 v135, 0, v145, s7
	v_lshrrev_b32_e32 v145, 23, v146
	s_mov_b32 s7, exec_lo
	s_delay_alu instid0(VALU_DEP_2) | instskip(NEXT) | instid1(VALU_DEP_2)
	v_add_nc_u32_e32 v135, v135, v146
	v_xor_b32_e32 v145, 1, v145
	s_delay_alu instid0(VALU_DEP_2) | instskip(NEXT) | instid1(VALU_DEP_1)
	v_and_b32_e32 v133, 0x1fffff, v135
	v_add_nc_u32_e32 v135, v133, v146
                                        ; implicit-def: $vgpr133
	s_delay_alu instid0(VALU_DEP_3)
	v_cmpx_ne_u32_e64 v144, v145
	s_xor_b32 s7, exec_lo, s7
; %bb.2382:                             ;   in Loop: Header=BB4_1907 Depth=2
	s_delay_alu instid0(VALU_DEP_2) | instskip(SKIP_2) | instid1(VALU_DEP_2)
	v_cmp_lt_u32_e32 vcc_lo, 0xffffff, v135
	v_sub_nc_u32_e32 v133, v144, v145
	v_cndmask_b32_e64 v144, 0, 1, vcc_lo
	v_add_co_ci_u32_e32 v133, vcc_lo, 0, v133, vcc_lo
	s_delay_alu instid0(VALU_DEP_2)
	v_lshrrev_b32_e32 v135, v144, v135
; %bb.2383:                             ;   in Loop: Header=BB4_1907 Depth=2
	s_and_not1_saveexec_b32 s7, s7
; %bb.2384:                             ;   in Loop: Header=BB4_1907 Depth=2
	s_delay_alu instid0(VALU_DEP_1)
	v_bfe_u32 v133, v135, 23, 1
; %bb.2385:                             ;   in Loop: Header=BB4_1907 Depth=2
	s_or_b32 exec_lo, exec_lo, s7
	v_lshrrev_b32_e32 v135, 21, v135
	s_delay_alu instid0(VALU_DEP_2) | instskip(SKIP_2) | instid1(VALU_DEP_2)
	v_cmp_gt_i32_e32 vcc_lo, 32, v133
	v_min_i32_e32 v144, 31, v133
	v_lshrrev_b32_e32 v134, 24, v134
	v_dual_cndmask_b32 v135, 3, v135 :: v_dual_lshlrev_b32 v144, 2, v144
	s_delay_alu instid0(VALU_DEP_2) | instskip(NEXT) | instid1(VALU_DEP_2)
	v_and_b32_e32 v134, 0x80, v134
	v_or_b32_e32 v133, v133, v135
	v_and_b32_e32 v145, 3, v135
	s_delay_alu instid0(VALU_DEP_2) | instskip(SKIP_1) | instid1(VALU_DEP_1)
	v_cmp_ne_u32_e32 vcc_lo, 0, v133
	v_and_b32_e32 v144, 0xfc, v144
	v_or3_b32 v134, v134, v144, v145
	s_delay_alu instid0(VALU_DEP_1) | instskip(NEXT) | instid1(VALU_DEP_1)
	v_lshlrev_b32_e32 v134, 8, v134
	v_cndmask_b32_e32 v133, 0, v134, vcc_lo
.LBB4_2386:                             ;   in Loop: Header=BB4_1907 Depth=2
	s_or_b32 exec_lo, exec_lo, s23
.LBB4_2387:                             ;   in Loop: Header=BB4_1907 Depth=2
	s_delay_alu instid0(SALU_CYCLE_1) | instskip(SKIP_3) | instid1(VALU_DEP_1)
	s_or_b32 exec_lo, exec_lo, s22
	v_lshrrev_b32_e32 v135, 16, v17
	s_mov_b32 s7, 0
	s_mov_b32 s23, exec_lo
                                        ; implicit-def: $sgpr22
	v_and_b32_e32 v144, 0xff, v135
	s_delay_alu instid0(VALU_DEP_1)
	v_cmpx_lt_i16_e64 0x7f, v144
	s_xor_b32 s23, exec_lo, s23
	s_cbranch_execnz .LBB4_2657
; %bb.2388:                             ;   in Loop: Header=BB4_1907 Depth=2
	s_or_saveexec_b32 s23, s23
	v_mov_b32_e32 v134, s22
	s_xor_b32 exec_lo, exec_lo, s23
	s_cbranch_execnz .LBB4_2660
.LBB4_2389:                             ;   in Loop: Header=BB4_1907 Depth=2
	s_or_b32 exec_lo, exec_lo, s23
	s_and_saveexec_b32 s22, s7
	s_cbranch_execz .LBB4_2391
.LBB4_2390:                             ;   in Loop: Header=BB4_1907 Depth=2
	v_bfe_u32 v134, v17, 16, 2
	v_lshlrev_b32_e32 v146, 8, v17
	s_delay_alu instid0(VALU_DEP_2) | instskip(NEXT) | instid1(VALU_DEP_1)
	v_clz_i32_u32_e32 v144, v134
	v_min_u32_e32 v144, 32, v144
	s_delay_alu instid0(VALU_DEP_1) | instskip(SKIP_1) | instid1(VALU_DEP_2)
	v_subrev_nc_u32_e32 v145, 29, v144
	v_sub_nc_u32_e32 v144, 30, v144
	v_lshlrev_b32_e32 v135, v145, v135
	v_bfe_u32 v145, v17, 18, 5
	s_delay_alu instid0(VALU_DEP_1) | instskip(NEXT) | instid1(VALU_DEP_3)
	v_cmp_eq_u32_e32 vcc_lo, 0, v145
	v_dual_cndmask_b32 v144, v145, v144 :: v_dual_and_b32 v135, 3, v135
	s_delay_alu instid0(VALU_DEP_1) | instskip(NEXT) | instid1(VALU_DEP_2)
	v_dual_cndmask_b32 v134, v134, v135 :: v_dual_and_b32 v135, 0x80000000, v146
	v_lshl_add_u32 v144, v144, 23, 0x37800000
	s_delay_alu instid0(VALU_DEP_2) | instskip(NEXT) | instid1(VALU_DEP_1)
	v_lshlrev_b32_e32 v134, 21, v134
	v_or3_b32 v134, v135, v144, v134
.LBB4_2391:                             ;   in Loop: Header=BB4_1907 Depth=2
	s_or_b32 exec_lo, exec_lo, s22
	v_lshrrev_b32_e32 v135, 16, v13
	s_mov_b32 s7, 0
	s_mov_b32 s23, exec_lo
                                        ; implicit-def: $sgpr22
	s_delay_alu instid0(VALU_DEP_1) | instskip(NEXT) | instid1(VALU_DEP_1)
	v_and_b32_e32 v145, 0xff, v135
	v_cmpx_lt_i16_e64 0x7f, v145
	s_xor_b32 s23, exec_lo, s23
	s_cbranch_execnz .LBB4_2661
; %bb.2392:                             ;   in Loop: Header=BB4_1907 Depth=2
	s_or_saveexec_b32 s23, s23
	v_mov_b32_e32 v144, s22
	s_xor_b32 exec_lo, exec_lo, s23
	s_cbranch_execnz .LBB4_2664
.LBB4_2393:                             ;   in Loop: Header=BB4_1907 Depth=2
	s_or_b32 exec_lo, exec_lo, s23
	s_and_saveexec_b32 s22, s7
	s_cbranch_execz .LBB4_2395
.LBB4_2394:                             ;   in Loop: Header=BB4_1907 Depth=2
	v_bfe_u32 v144, v13, 16, 2
	v_lshlrev_b32_e32 v147, 8, v13
	s_delay_alu instid0(VALU_DEP_2) | instskip(NEXT) | instid1(VALU_DEP_1)
	v_clz_i32_u32_e32 v145, v144
	v_min_u32_e32 v145, 32, v145
	s_delay_alu instid0(VALU_DEP_1) | instskip(SKIP_1) | instid1(VALU_DEP_2)
	v_subrev_nc_u32_e32 v146, 29, v145
	v_sub_nc_u32_e32 v145, 30, v145
	v_lshlrev_b32_e32 v135, v146, v135
	v_bfe_u32 v146, v13, 18, 5
	s_delay_alu instid0(VALU_DEP_2) | instskip(NEXT) | instid1(VALU_DEP_2)
	v_and_b32_e32 v135, 3, v135
	v_cmp_eq_u32_e32 vcc_lo, 0, v146
	v_cndmask_b32_e32 v145, v146, v145, vcc_lo
	s_delay_alu instid0(VALU_DEP_3) | instskip(SKIP_1) | instid1(VALU_DEP_3)
	v_cndmask_b32_e32 v135, v144, v135, vcc_lo
	v_and_b32_e32 v144, 0x80000000, v147
	v_lshl_add_u32 v145, v145, 23, 0x37800000
	s_delay_alu instid0(VALU_DEP_3) | instskip(NEXT) | instid1(VALU_DEP_1)
	v_lshlrev_b32_e32 v135, 21, v135
	v_or3_b32 v144, v144, v145, v135
.LBB4_2395:                             ;   in Loop: Header=BB4_1907 Depth=2
	s_or_b32 exec_lo, exec_lo, s22
	s_delay_alu instid0(VALU_DEP_1) | instskip(NEXT) | instid1(VALU_DEP_1)
	v_mul_f32_e32 v135, v134, v144
	v_and_b32_e32 v134, 0x7f800000, v135
	s_delay_alu instid0(VALU_DEP_1)
	v_cmp_ne_u32_e32 vcc_lo, 0x7f800000, v134
	v_mov_b32_e32 v134, 0x80
	s_and_saveexec_b32 s22, vcc_lo
	s_cbranch_execz .LBB4_2403
; %bb.2396:                             ;   in Loop: Header=BB4_1907 Depth=2
	v_mov_b32_e32 v134, 0
	s_mov_b32 s23, exec_lo
	v_cmpx_ne_u32_e32 0, v135
	s_cbranch_execz .LBB4_2402
; %bb.2397:                             ;   in Loop: Header=BB4_1907 Depth=2
	v_bfe_u32 v134, v135, 23, 8
	s_delay_alu instid0(VALU_DEP_1) | instskip(SKIP_1) | instid1(VALU_DEP_2)
	v_sub_nc_u32_e32 v145, 0x70, v134
	v_cmp_gt_u32_e32 vcc_lo, 0x71, v134
	v_dual_cndmask_b32 v145, 0, v145 :: v_dual_and_b32 v144, 0x7fffff, v135
	s_delay_alu instid0(VALU_DEP_1) | instskip(SKIP_2) | instid1(VALU_DEP_4)
	v_or_b32_e32 v146, 0x800000, v144
	v_cmp_eq_u32_e32 vcc_lo, 0, v134
	v_add_nc_u32_e32 v134, 0xffffff91, v134
	v_cndmask_b32_e64 v145, v145, 0x6f, vcc_lo
	s_delay_alu instid0(VALU_DEP_2) | instskip(SKIP_1) | instid1(VALU_DEP_3)
	v_cndmask_b32_e64 v134, v134, 0xffffff92, vcc_lo
	v_cndmask_b32_e32 v144, v146, v144, vcc_lo
	v_lshl_add_u32 v146, 0x200000, v145, -1
	v_lshlrev_b32_e64 v149, v145, 0x100000
	s_delay_alu instid0(VALU_DEP_3) | instskip(SKIP_1) | instid1(VALU_DEP_4)
	v_lshrrev_b32_e32 v147, v145, v144
	v_add_nc_u32_e32 v145, v145, v134
	v_and_b32_e32 v144, v146, v144
	s_delay_alu instid0(VALU_DEP_3) | instskip(NEXT) | instid1(VALU_DEP_2)
	v_bfe_u32 v148, v147, 21, 1
	v_cmp_eq_u32_e64 s7, v144, v149
	s_delay_alu instid0(VALU_DEP_2) | instskip(NEXT) | instid1(VALU_DEP_1)
	v_add_nc_u32_e32 v146, -1, v148
	v_cndmask_b32_e64 v144, 0, v146, s7
	v_lshrrev_b32_e32 v146, 23, v147
	s_mov_b32 s7, exec_lo
	s_delay_alu instid0(VALU_DEP_2) | instskip(NEXT) | instid1(VALU_DEP_2)
	v_add_nc_u32_e32 v144, v144, v147
	v_xor_b32_e32 v146, 1, v146
	s_delay_alu instid0(VALU_DEP_2) | instskip(NEXT) | instid1(VALU_DEP_1)
	v_and_b32_e32 v134, 0x1fffff, v144
	v_add_nc_u32_e32 v144, v134, v147
                                        ; implicit-def: $vgpr134
	s_delay_alu instid0(VALU_DEP_3)
	v_cmpx_ne_u32_e64 v145, v146
	s_xor_b32 s7, exec_lo, s7
; %bb.2398:                             ;   in Loop: Header=BB4_1907 Depth=2
	s_delay_alu instid0(VALU_DEP_2) | instskip(SKIP_2) | instid1(VALU_DEP_2)
	v_cmp_lt_u32_e32 vcc_lo, 0xffffff, v144
	v_sub_nc_u32_e32 v134, v145, v146
	v_cndmask_b32_e64 v145, 0, 1, vcc_lo
	v_add_co_ci_u32_e32 v134, vcc_lo, 0, v134, vcc_lo
	s_delay_alu instid0(VALU_DEP_2)
	v_lshrrev_b32_e32 v144, v145, v144
; %bb.2399:                             ;   in Loop: Header=BB4_1907 Depth=2
	s_and_not1_saveexec_b32 s7, s7
; %bb.2400:                             ;   in Loop: Header=BB4_1907 Depth=2
	s_delay_alu instid0(VALU_DEP_1)
	v_bfe_u32 v134, v144, 23, 1
; %bb.2401:                             ;   in Loop: Header=BB4_1907 Depth=2
	s_or_b32 exec_lo, exec_lo, s7
	v_lshrrev_b32_e32 v144, 21, v144
	s_delay_alu instid0(VALU_DEP_2) | instskip(SKIP_2) | instid1(VALU_DEP_2)
	v_cmp_gt_i32_e32 vcc_lo, 32, v134
	v_min_i32_e32 v145, 31, v134
	v_lshrrev_b32_e32 v135, 24, v135
	v_dual_cndmask_b32 v144, 3, v144 :: v_dual_lshlrev_b32 v145, 2, v145
	s_delay_alu instid0(VALU_DEP_2) | instskip(NEXT) | instid1(VALU_DEP_2)
	v_and_b32_e32 v135, 0x80, v135
	v_or_b32_e32 v134, v134, v144
	v_and_b32_e32 v146, 3, v144
	s_delay_alu instid0(VALU_DEP_2) | instskip(SKIP_1) | instid1(VALU_DEP_1)
	v_cmp_ne_u32_e32 vcc_lo, 0, v134
	v_and_b32_e32 v145, 0xfc, v145
	v_or3_b32 v135, v145, v135, v146
	s_delay_alu instid0(VALU_DEP_1)
	v_cndmask_b32_e32 v134, 0, v135, vcc_lo
.LBB4_2402:                             ;   in Loop: Header=BB4_1907 Depth=2
	s_or_b32 exec_lo, exec_lo, s23
.LBB4_2403:                             ;   in Loop: Header=BB4_1907 Depth=2
	s_delay_alu instid0(SALU_CYCLE_1) | instskip(SKIP_3) | instid1(VALU_DEP_1)
	s_or_b32 exec_lo, exec_lo, s22
	v_lshrrev_b32_e32 v144, 24, v17
	s_mov_b32 s7, 0
	s_mov_b32 s23, exec_lo
                                        ; implicit-def: $sgpr22
	v_cmpx_lt_i16_e64 0x7f, v144
	s_xor_b32 s23, exec_lo, s23
	s_cbranch_execnz .LBB4_2665
; %bb.2404:                             ;   in Loop: Header=BB4_1907 Depth=2
	s_or_saveexec_b32 s23, s23
	v_mov_b32_e32 v135, s22
	s_xor_b32 exec_lo, exec_lo, s23
	s_cbranch_execnz .LBB4_2668
.LBB4_2405:                             ;   in Loop: Header=BB4_1907 Depth=2
	s_or_b32 exec_lo, exec_lo, s23
	s_and_saveexec_b32 s22, s7
	s_cbranch_execz .LBB4_2407
.LBB4_2406:                             ;   in Loop: Header=BB4_1907 Depth=2
	v_bfe_u32 v135, v17, 24, 2
	s_delay_alu instid0(VALU_DEP_1) | instskip(NEXT) | instid1(VALU_DEP_1)
	v_clz_i32_u32_e32 v145, v135
	v_min_u32_e32 v145, 32, v145
	s_delay_alu instid0(VALU_DEP_1) | instskip(SKIP_1) | instid1(VALU_DEP_2)
	v_subrev_nc_u32_e32 v146, 29, v145
	v_sub_nc_u32_e32 v145, 30, v145
	v_lshlrev_b32_e32 v144, v146, v144
	v_bfe_u32 v146, v17, 26, 5
	v_and_b32_e32 v17, 0x80000000, v17
	s_delay_alu instid0(VALU_DEP_2) | instskip(NEXT) | instid1(VALU_DEP_4)
	v_cmp_eq_u32_e32 vcc_lo, 0, v146
	v_dual_cndmask_b32 v145, v146, v145 :: v_dual_and_b32 v144, 3, v144
	s_delay_alu instid0(VALU_DEP_1) | instskip(NEXT) | instid1(VALU_DEP_2)
	v_cndmask_b32_e32 v135, v135, v144, vcc_lo
	v_lshl_add_u32 v144, v145, 23, 0x37800000
	s_delay_alu instid0(VALU_DEP_2) | instskip(NEXT) | instid1(VALU_DEP_1)
	v_lshlrev_b32_e32 v135, 21, v135
	v_or3_b32 v135, v17, v144, v135
.LBB4_2407:                             ;   in Loop: Header=BB4_1907 Depth=2
	s_or_b32 exec_lo, exec_lo, s22
	v_lshrrev_b32_e32 v17, 24, v13
	s_mov_b32 s7, 0
	s_mov_b32 s23, exec_lo
                                        ; implicit-def: $sgpr22
	s_delay_alu instid0(VALU_DEP_1)
	v_cmpx_lt_i16_e32 0x7f, v17
	s_xor_b32 s23, exec_lo, s23
	s_cbranch_execnz .LBB4_2669
; %bb.2408:                             ;   in Loop: Header=BB4_1907 Depth=2
	s_or_saveexec_b32 s23, s23
	v_mov_b32_e32 v144, s22
	s_xor_b32 exec_lo, exec_lo, s23
	s_cbranch_execnz .LBB4_2672
.LBB4_2409:                             ;   in Loop: Header=BB4_1907 Depth=2
	s_or_b32 exec_lo, exec_lo, s23
	s_and_saveexec_b32 s22, s7
	s_cbranch_execz .LBB4_2411
.LBB4_2410:                             ;   in Loop: Header=BB4_1907 Depth=2
	v_bfe_u32 v144, v13, 24, 2
	s_delay_alu instid0(VALU_DEP_1) | instskip(NEXT) | instid1(VALU_DEP_1)
	v_clz_i32_u32_e32 v145, v144
	v_min_u32_e32 v145, 32, v145
	s_delay_alu instid0(VALU_DEP_1) | instskip(SKIP_1) | instid1(VALU_DEP_2)
	v_subrev_nc_u32_e32 v146, 29, v145
	v_sub_nc_u32_e32 v145, 30, v145
	v_lshlrev_b32_e32 v17, v146, v17
	v_bfe_u32 v146, v13, 26, 5
	v_and_b32_e32 v13, 0x80000000, v13
	s_delay_alu instid0(VALU_DEP_3) | instskip(NEXT) | instid1(VALU_DEP_3)
	v_and_b32_e32 v17, 3, v17
	v_cmp_eq_u32_e32 vcc_lo, 0, v146
	v_cndmask_b32_e32 v145, v146, v145, vcc_lo
	s_delay_alu instid0(VALU_DEP_3) | instskip(NEXT) | instid1(VALU_DEP_2)
	v_cndmask_b32_e32 v17, v144, v17, vcc_lo
	v_lshl_add_u32 v144, v145, 23, 0x37800000
	s_delay_alu instid0(VALU_DEP_2) | instskip(NEXT) | instid1(VALU_DEP_1)
	v_lshlrev_b32_e32 v17, 21, v17
	v_or3_b32 v144, v13, v144, v17
.LBB4_2411:                             ;   in Loop: Header=BB4_1907 Depth=2
	s_or_b32 exec_lo, exec_lo, s22
	s_delay_alu instid0(VALU_DEP_1) | instskip(NEXT) | instid1(VALU_DEP_1)
	v_mul_f32_e32 v13, v135, v144
	v_and_b32_e32 v17, 0x7f800000, v13
	s_delay_alu instid0(VALU_DEP_1)
	v_cmp_ne_u32_e32 vcc_lo, 0x7f800000, v17
	v_mov_b32_e32 v17, 0x8000
	s_and_saveexec_b32 s22, vcc_lo
	s_cbranch_execz .LBB4_1906
; %bb.2412:                             ;   in Loop: Header=BB4_1907 Depth=2
	v_mov_b32_e32 v17, 0
	s_mov_b32 s23, exec_lo
	v_cmpx_ne_u32_e32 0, v13
	s_cbranch_execz .LBB4_1905
; %bb.2413:                             ;   in Loop: Header=BB4_1907 Depth=2
	v_bfe_u32 v17, v13, 23, 8
	s_delay_alu instid0(VALU_DEP_1) | instskip(SKIP_1) | instid1(VALU_DEP_2)
	v_sub_nc_u32_e32 v144, 0x70, v17
	v_cmp_gt_u32_e32 vcc_lo, 0x71, v17
	v_dual_cndmask_b32 v144, 0, v144 :: v_dual_and_b32 v135, 0x7fffff, v13
	s_delay_alu instid0(VALU_DEP_1) | instskip(SKIP_2) | instid1(VALU_DEP_4)
	v_or_b32_e32 v145, 0x800000, v135
	v_cmp_eq_u32_e32 vcc_lo, 0, v17
	v_add_nc_u32_e32 v17, 0xffffff91, v17
	v_cndmask_b32_e64 v144, v144, 0x6f, vcc_lo
	s_delay_alu instid0(VALU_DEP_2) | instskip(SKIP_1) | instid1(VALU_DEP_3)
	v_cndmask_b32_e64 v17, v17, 0xffffff92, vcc_lo
	v_cndmask_b32_e32 v135, v145, v135, vcc_lo
	v_lshl_add_u32 v145, 0x200000, v144, -1
	v_lshlrev_b32_e64 v148, v144, 0x100000
	s_delay_alu instid0(VALU_DEP_3) | instskip(SKIP_1) | instid1(VALU_DEP_4)
	v_lshrrev_b32_e32 v146, v144, v135
	v_add_nc_u32_e32 v144, v144, v17
	v_and_b32_e32 v135, v145, v135
	s_delay_alu instid0(VALU_DEP_3) | instskip(NEXT) | instid1(VALU_DEP_2)
	v_bfe_u32 v147, v146, 21, 1
	v_cmp_eq_u32_e64 s7, v135, v148
	s_delay_alu instid0(VALU_DEP_2) | instskip(NEXT) | instid1(VALU_DEP_1)
	v_add_nc_u32_e32 v145, -1, v147
	v_cndmask_b32_e64 v135, 0, v145, s7
	v_lshrrev_b32_e32 v145, 23, v146
	s_mov_b32 s7, exec_lo
	s_delay_alu instid0(VALU_DEP_2) | instskip(NEXT) | instid1(VALU_DEP_2)
	v_add_nc_u32_e32 v135, v135, v146
	v_xor_b32_e32 v145, 1, v145
	s_delay_alu instid0(VALU_DEP_2) | instskip(NEXT) | instid1(VALU_DEP_1)
	v_and_b32_e32 v17, 0x1fffff, v135
	v_add_nc_u32_e32 v135, v17, v146
                                        ; implicit-def: $vgpr17
	s_delay_alu instid0(VALU_DEP_3)
	v_cmpx_ne_u32_e64 v144, v145
	s_xor_b32 s7, exec_lo, s7
; %bb.2414:                             ;   in Loop: Header=BB4_1907 Depth=2
	s_delay_alu instid0(VALU_DEP_2) | instskip(SKIP_2) | instid1(VALU_DEP_2)
	v_cmp_lt_u32_e32 vcc_lo, 0xffffff, v135
	v_sub_nc_u32_e32 v17, v144, v145
	v_cndmask_b32_e64 v144, 0, 1, vcc_lo
	v_add_co_ci_u32_e32 v17, vcc_lo, 0, v17, vcc_lo
	s_delay_alu instid0(VALU_DEP_2)
	v_lshrrev_b32_e32 v135, v144, v135
; %bb.2415:                             ;   in Loop: Header=BB4_1907 Depth=2
	s_and_not1_saveexec_b32 s7, s7
	s_cbranch_execz .LBB4_1904
; %bb.2416:                             ;   in Loop: Header=BB4_1907 Depth=2
	s_delay_alu instid0(VALU_DEP_1)
	v_bfe_u32 v17, v135, 23, 1
	s_branch .LBB4_1904
.LBB4_2417:                             ;   in Loop: Header=BB4_1907 Depth=2
	s_mov_b32 s7, -1
	s_mov_b32 s24, exec_lo
                                        ; implicit-def: $sgpr22
	v_cmpx_eq_u16_e32 0x80, v103
; %bb.2418:                             ;   in Loop: Header=BB4_1907 Depth=2
	s_mov_b32 s22, 0x7f800001
	s_xor_b32 s7, exec_lo, -1
; %bb.2419:                             ;   in Loop: Header=BB4_1907 Depth=2
	s_or_b32 exec_lo, exec_lo, s24
	s_delay_alu instid0(SALU_CYCLE_1)
	s_and_b32 s7, s7, exec_lo
                                        ; implicit-def: $vgpr103
	s_or_saveexec_b32 s23, s23
	v_mov_b32_e32 v102, s22
	s_xor_b32 exec_lo, exec_lo, s23
	s_cbranch_execz .LBB4_1909
.LBB4_2420:                             ;   in Loop: Header=BB4_1907 Depth=2
	v_cmp_ne_u16_e32 vcc_lo, 0, v103
	v_mov_b32_e32 v102, 0
	s_and_not1_b32 s7, s7, exec_lo
	s_and_b32 s22, vcc_lo, exec_lo
	s_delay_alu instid0(SALU_CYCLE_1)
	s_or_b32 s7, s7, s22
	s_or_b32 exec_lo, exec_lo, s23
	s_and_saveexec_b32 s22, s7
	s_cbranch_execnz .LBB4_1910
	s_branch .LBB4_1911
.LBB4_2421:                             ;   in Loop: Header=BB4_1907 Depth=2
	s_mov_b32 s7, -1
	s_mov_b32 s24, exec_lo
                                        ; implicit-def: $sgpr22
	v_cmpx_eq_u16_e32 0x80, v112
; %bb.2422:                             ;   in Loop: Header=BB4_1907 Depth=2
	s_mov_b32 s22, 0x7f800001
	s_xor_b32 s7, exec_lo, -1
; %bb.2423:                             ;   in Loop: Header=BB4_1907 Depth=2
	s_or_b32 exec_lo, exec_lo, s24
	s_delay_alu instid0(SALU_CYCLE_1)
	s_and_b32 s7, s7, exec_lo
                                        ; implicit-def: $vgpr112
	s_or_saveexec_b32 s23, s23
	v_mov_b32_e32 v103, s22
	s_xor_b32 exec_lo, exec_lo, s23
	s_cbranch_execz .LBB4_1913
.LBB4_2424:                             ;   in Loop: Header=BB4_1907 Depth=2
	v_cmp_ne_u16_e32 vcc_lo, 0, v112
	v_mov_b32_e32 v103, 0
	s_and_not1_b32 s7, s7, exec_lo
	s_and_b32 s22, vcc_lo, exec_lo
	s_delay_alu instid0(SALU_CYCLE_1)
	s_or_b32 s7, s7, s22
	s_or_b32 exec_lo, exec_lo, s23
	s_and_saveexec_b32 s22, s7
	s_cbranch_execnz .LBB4_1914
	s_branch .LBB4_1915
.LBB4_2425:                             ;   in Loop: Header=BB4_1907 Depth=2
	s_mov_b32 s7, -1
	s_mov_b32 s24, exec_lo
                                        ; implicit-def: $sgpr22
	v_cmpx_eq_u16_e32 0x80, v112
; %bb.2426:                             ;   in Loop: Header=BB4_1907 Depth=2
	s_mov_b32 s22, 0x7f800001
	s_xor_b32 s7, exec_lo, -1
; %bb.2427:                             ;   in Loop: Header=BB4_1907 Depth=2
	s_or_b32 exec_lo, exec_lo, s24
	s_delay_alu instid0(SALU_CYCLE_1)
	s_and_b32 s7, s7, exec_lo
	s_or_saveexec_b32 s23, s23
	v_mov_b32_e32 v103, s22
	s_xor_b32 exec_lo, exec_lo, s23
	s_cbranch_execz .LBB4_1925
.LBB4_2428:                             ;   in Loop: Header=BB4_1907 Depth=2
	v_cmp_ne_u16_e32 vcc_lo, 0, v112
	v_mov_b32_e32 v103, 0
	s_and_not1_b32 s7, s7, exec_lo
	s_and_b32 s22, vcc_lo, exec_lo
	s_delay_alu instid0(SALU_CYCLE_1)
	s_or_b32 s7, s7, s22
	s_or_b32 exec_lo, exec_lo, s23
	s_and_saveexec_b32 s22, s7
	s_cbranch_execnz .LBB4_1926
	s_branch .LBB4_1927
.LBB4_2429:                             ;   in Loop: Header=BB4_1907 Depth=2
	s_mov_b32 s7, -1
	s_mov_b32 s24, exec_lo
                                        ; implicit-def: $sgpr22
	v_cmpx_eq_u16_e32 0x80, v112
; %bb.2430:                             ;   in Loop: Header=BB4_1907 Depth=2
	s_mov_b32 s22, 0x7f800001
	s_xor_b32 s7, exec_lo, -1
; %bb.2431:                             ;   in Loop: Header=BB4_1907 Depth=2
	s_or_b32 exec_lo, exec_lo, s24
	s_delay_alu instid0(SALU_CYCLE_1)
	s_and_b32 s7, s7, exec_lo
	s_or_saveexec_b32 s23, s23
	v_mov_b32_e32 v113, s22
	s_xor_b32 exec_lo, exec_lo, s23
	s_cbranch_execz .LBB4_1929
.LBB4_2432:                             ;   in Loop: Header=BB4_1907 Depth=2
	v_cmp_ne_u16_e32 vcc_lo, 0, v112
	v_mov_b32_e32 v113, 0
	s_and_not1_b32 s7, s7, exec_lo
	s_and_b32 s22, vcc_lo, exec_lo
	s_delay_alu instid0(SALU_CYCLE_1)
	s_or_b32 s7, s7, s22
	s_or_b32 exec_lo, exec_lo, s23
	s_and_saveexec_b32 s22, s7
	s_cbranch_execnz .LBB4_1930
	s_branch .LBB4_1931
.LBB4_2433:                             ;   in Loop: Header=BB4_1907 Depth=2
	s_mov_b32 s7, -1
	s_mov_b32 s24, exec_lo
                                        ; implicit-def: $sgpr22
	v_cmpx_eq_u16_e32 0x80, v114
; %bb.2434:                             ;   in Loop: Header=BB4_1907 Depth=2
	s_mov_b32 s22, 0x7f800001
	s_xor_b32 s7, exec_lo, -1
; %bb.2435:                             ;   in Loop: Header=BB4_1907 Depth=2
	s_or_b32 exec_lo, exec_lo, s24
	s_delay_alu instid0(SALU_CYCLE_1)
	s_and_b32 s7, s7, exec_lo
                                        ; implicit-def: $vgpr114
	s_or_saveexec_b32 s23, s23
	v_mov_b32_e32 v112, s22
	s_xor_b32 exec_lo, exec_lo, s23
	s_cbranch_execz .LBB4_1941
.LBB4_2436:                             ;   in Loop: Header=BB4_1907 Depth=2
	v_cmp_ne_u16_e32 vcc_lo, 0, v114
	v_mov_b32_e32 v112, 0
	s_and_not1_b32 s7, s7, exec_lo
	s_and_b32 s22, vcc_lo, exec_lo
	s_delay_alu instid0(SALU_CYCLE_1)
	s_or_b32 s7, s7, s22
	s_or_b32 exec_lo, exec_lo, s23
	s_and_saveexec_b32 s22, s7
	s_cbranch_execnz .LBB4_1942
	s_branch .LBB4_1943
.LBB4_2437:                             ;   in Loop: Header=BB4_1907 Depth=2
	s_mov_b32 s7, -1
	s_mov_b32 s24, exec_lo
                                        ; implicit-def: $sgpr22
	v_cmpx_eq_u16_e32 0x80, v115
; %bb.2438:                             ;   in Loop: Header=BB4_1907 Depth=2
	s_mov_b32 s22, 0x7f800001
	s_xor_b32 s7, exec_lo, -1
; %bb.2439:                             ;   in Loop: Header=BB4_1907 Depth=2
	s_or_b32 exec_lo, exec_lo, s24
	s_delay_alu instid0(SALU_CYCLE_1)
	s_and_b32 s7, s7, exec_lo
                                        ; implicit-def: $vgpr115
	s_or_saveexec_b32 s23, s23
	v_mov_b32_e32 v114, s22
	s_xor_b32 exec_lo, exec_lo, s23
	s_cbranch_execz .LBB4_1945
.LBB4_2440:                             ;   in Loop: Header=BB4_1907 Depth=2
	v_cmp_ne_u16_e32 vcc_lo, 0, v115
	v_mov_b32_e32 v114, 0
	s_and_not1_b32 s7, s7, exec_lo
	s_and_b32 s22, vcc_lo, exec_lo
	s_delay_alu instid0(SALU_CYCLE_1)
	s_or_b32 s7, s7, s22
	s_or_b32 exec_lo, exec_lo, s23
	s_and_saveexec_b32 s22, s7
	s_cbranch_execnz .LBB4_1946
	s_branch .LBB4_1947
.LBB4_2441:                             ;   in Loop: Header=BB4_1907 Depth=2
	s_mov_b32 s7, -1
	s_mov_b32 s24, exec_lo
                                        ; implicit-def: $sgpr22
	v_cmpx_eq_u16_e32 0x80, v114
; %bb.2442:                             ;   in Loop: Header=BB4_1907 Depth=2
	s_mov_b32 s22, 0x7f800001
	s_xor_b32 s7, exec_lo, -1
; %bb.2443:                             ;   in Loop: Header=BB4_1907 Depth=2
	s_or_b32 exec_lo, exec_lo, s24
	s_delay_alu instid0(SALU_CYCLE_1)
	s_and_b32 s7, s7, exec_lo
	s_or_saveexec_b32 s23, s23
	v_mov_b32_e32 v113, s22
	s_xor_b32 exec_lo, exec_lo, s23
	s_cbranch_execz .LBB4_1957
.LBB4_2444:                             ;   in Loop: Header=BB4_1907 Depth=2
	v_cmp_ne_u16_e32 vcc_lo, 0, v114
	v_mov_b32_e32 v113, 0
	s_and_not1_b32 s7, s7, exec_lo
	s_and_b32 s22, vcc_lo, exec_lo
	s_delay_alu instid0(SALU_CYCLE_1)
	s_or_b32 s7, s7, s22
	s_or_b32 exec_lo, exec_lo, s23
	s_and_saveexec_b32 s22, s7
	s_cbranch_execnz .LBB4_1958
	s_branch .LBB4_1959
.LBB4_2445:                             ;   in Loop: Header=BB4_1907 Depth=2
	s_mov_b32 s7, -1
	s_mov_b32 s24, exec_lo
                                        ; implicit-def: $sgpr22
	v_cmpx_eq_u16_e32 0x80, v22
; %bb.2446:                             ;   in Loop: Header=BB4_1907 Depth=2
	s_mov_b32 s22, 0x7f800001
	s_xor_b32 s7, exec_lo, -1
; %bb.2447:                             ;   in Loop: Header=BB4_1907 Depth=2
	s_or_b32 exec_lo, exec_lo, s24
	s_delay_alu instid0(SALU_CYCLE_1)
	s_and_b32 s7, s7, exec_lo
	s_or_saveexec_b32 s23, s23
	v_mov_b32_e32 v114, s22
	s_xor_b32 exec_lo, exec_lo, s23
	s_cbranch_execz .LBB4_1961
.LBB4_2448:                             ;   in Loop: Header=BB4_1907 Depth=2
	v_cmp_ne_u16_e32 vcc_lo, 0, v22
	v_mov_b32_e32 v114, 0
	s_and_not1_b32 s7, s7, exec_lo
	s_and_b32 s22, vcc_lo, exec_lo
	s_delay_alu instid0(SALU_CYCLE_1)
	s_or_b32 s7, s7, s22
	s_or_b32 exec_lo, exec_lo, s23
	s_and_saveexec_b32 s22, s7
	s_cbranch_execnz .LBB4_1962
	s_branch .LBB4_1963
.LBB4_2449:                             ;   in Loop: Header=BB4_1907 Depth=2
	s_mov_b32 s7, -1
	s_mov_b32 s24, exec_lo
                                        ; implicit-def: $sgpr22
	v_cmpx_eq_u16_e32 0x80, v113
; %bb.2450:                             ;   in Loop: Header=BB4_1907 Depth=2
	s_mov_b32 s22, 0x7f800001
	s_xor_b32 s7, exec_lo, -1
; %bb.2451:                             ;   in Loop: Header=BB4_1907 Depth=2
	s_or_b32 exec_lo, exec_lo, s24
	s_delay_alu instid0(SALU_CYCLE_1)
	s_and_b32 s7, s7, exec_lo
                                        ; implicit-def: $vgpr113
	s_or_saveexec_b32 s23, s23
	v_mov_b32_e32 v22, s22
	s_xor_b32 exec_lo, exec_lo, s23
	s_cbranch_execz .LBB4_1973
.LBB4_2452:                             ;   in Loop: Header=BB4_1907 Depth=2
	v_cmp_ne_u16_e32 vcc_lo, 0, v113
	v_mov_b32_e32 v22, 0
	s_and_not1_b32 s7, s7, exec_lo
	s_and_b32 s22, vcc_lo, exec_lo
	s_delay_alu instid0(SALU_CYCLE_1)
	s_or_b32 s7, s7, s22
	s_or_b32 exec_lo, exec_lo, s23
	s_and_saveexec_b32 s22, s7
	s_cbranch_execnz .LBB4_1974
	s_branch .LBB4_1975
.LBB4_2453:                             ;   in Loop: Header=BB4_1907 Depth=2
	s_mov_b32 s7, -1
	s_mov_b32 s24, exec_lo
                                        ; implicit-def: $sgpr22
	v_cmpx_eq_u16_e32 0x80, v114
; %bb.2454:                             ;   in Loop: Header=BB4_1907 Depth=2
	s_mov_b32 s22, 0x7f800001
	s_xor_b32 s7, exec_lo, -1
; %bb.2455:                             ;   in Loop: Header=BB4_1907 Depth=2
	s_or_b32 exec_lo, exec_lo, s24
	s_delay_alu instid0(SALU_CYCLE_1)
	s_and_b32 s7, s7, exec_lo
                                        ; implicit-def: $vgpr114
	s_or_saveexec_b32 s23, s23
	v_mov_b32_e32 v113, s22
	s_xor_b32 exec_lo, exec_lo, s23
	s_cbranch_execz .LBB4_1977
.LBB4_2456:                             ;   in Loop: Header=BB4_1907 Depth=2
	v_cmp_ne_u16_e32 vcc_lo, 0, v114
	v_mov_b32_e32 v113, 0
	s_and_not1_b32 s7, s7, exec_lo
	s_and_b32 s22, vcc_lo, exec_lo
	s_delay_alu instid0(SALU_CYCLE_1)
	s_or_b32 s7, s7, s22
	s_or_b32 exec_lo, exec_lo, s23
	s_and_saveexec_b32 s22, s7
	s_cbranch_execnz .LBB4_1978
	s_branch .LBB4_1979
.LBB4_2457:                             ;   in Loop: Header=BB4_1907 Depth=2
	s_mov_b32 s7, -1
	s_mov_b32 s24, exec_lo
                                        ; implicit-def: $sgpr22
	v_cmpx_eq_u16_e32 0x80, v114
; %bb.2458:                             ;   in Loop: Header=BB4_1907 Depth=2
	s_mov_b32 s22, 0x7f800001
	s_xor_b32 s7, exec_lo, -1
; %bb.2459:                             ;   in Loop: Header=BB4_1907 Depth=2
	s_or_b32 exec_lo, exec_lo, s24
	s_delay_alu instid0(SALU_CYCLE_1)
	s_and_b32 s7, s7, exec_lo
	s_or_saveexec_b32 s23, s23
	v_mov_b32_e32 v113, s22
	s_xor_b32 exec_lo, exec_lo, s23
	s_cbranch_execz .LBB4_1989
.LBB4_2460:                             ;   in Loop: Header=BB4_1907 Depth=2
	v_cmp_ne_u16_e32 vcc_lo, 0, v114
	v_mov_b32_e32 v113, 0
	s_and_not1_b32 s7, s7, exec_lo
	s_and_b32 s22, vcc_lo, exec_lo
	s_delay_alu instid0(SALU_CYCLE_1)
	s_or_b32 s7, s7, s22
	s_or_b32 exec_lo, exec_lo, s23
	s_and_saveexec_b32 s22, s7
	s_cbranch_execnz .LBB4_1990
	s_branch .LBB4_1991
.LBB4_2461:                             ;   in Loop: Header=BB4_1907 Depth=2
	s_mov_b32 s7, -1
	s_mov_b32 s24, exec_lo
                                        ; implicit-def: $sgpr22
	v_cmpx_eq_u16_e32 0x80, v114
; %bb.2462:                             ;   in Loop: Header=BB4_1907 Depth=2
	s_mov_b32 s22, 0x7f800001
	s_xor_b32 s7, exec_lo, -1
; %bb.2463:                             ;   in Loop: Header=BB4_1907 Depth=2
	s_or_b32 exec_lo, exec_lo, s24
	s_delay_alu instid0(SALU_CYCLE_1)
	s_and_b32 s7, s7, exec_lo
	s_or_saveexec_b32 s23, s23
	v_mov_b32_e32 v115, s22
	s_xor_b32 exec_lo, exec_lo, s23
	s_cbranch_execz .LBB4_1993
.LBB4_2464:                             ;   in Loop: Header=BB4_1907 Depth=2
	v_cmp_ne_u16_e32 vcc_lo, 0, v114
	v_mov_b32_e32 v115, 0
	s_and_not1_b32 s7, s7, exec_lo
	s_and_b32 s22, vcc_lo, exec_lo
	s_delay_alu instid0(SALU_CYCLE_1)
	s_or_b32 s7, s7, s22
	s_or_b32 exec_lo, exec_lo, s23
	s_and_saveexec_b32 s22, s7
	s_cbranch_execnz .LBB4_1994
	s_branch .LBB4_1995
.LBB4_2465:                             ;   in Loop: Header=BB4_1907 Depth=2
	s_mov_b32 s7, -1
	s_mov_b32 s24, exec_lo
                                        ; implicit-def: $sgpr22
	v_cmpx_eq_u16_e32 0x80, v116
; %bb.2466:                             ;   in Loop: Header=BB4_1907 Depth=2
	s_mov_b32 s22, 0x7f800001
	s_xor_b32 s7, exec_lo, -1
; %bb.2467:                             ;   in Loop: Header=BB4_1907 Depth=2
	s_or_b32 exec_lo, exec_lo, s24
	s_delay_alu instid0(SALU_CYCLE_1)
	s_and_b32 s7, s7, exec_lo
                                        ; implicit-def: $vgpr116
	s_or_saveexec_b32 s23, s23
	v_mov_b32_e32 v114, s22
	s_xor_b32 exec_lo, exec_lo, s23
	s_cbranch_execz .LBB4_2005
.LBB4_2468:                             ;   in Loop: Header=BB4_1907 Depth=2
	v_cmp_ne_u16_e32 vcc_lo, 0, v116
	v_mov_b32_e32 v114, 0
	s_and_not1_b32 s7, s7, exec_lo
	s_and_b32 s22, vcc_lo, exec_lo
	s_delay_alu instid0(SALU_CYCLE_1)
	s_or_b32 s7, s7, s22
	s_or_b32 exec_lo, exec_lo, s23
	s_and_saveexec_b32 s22, s7
	s_cbranch_execnz .LBB4_2006
	s_branch .LBB4_2007
.LBB4_2469:                             ;   in Loop: Header=BB4_1907 Depth=2
	s_mov_b32 s7, -1
	s_mov_b32 s24, exec_lo
                                        ; implicit-def: $sgpr22
	v_cmpx_eq_u16_e32 0x80, v117
; %bb.2470:                             ;   in Loop: Header=BB4_1907 Depth=2
	s_mov_b32 s22, 0x7f800001
	s_xor_b32 s7, exec_lo, -1
; %bb.2471:                             ;   in Loop: Header=BB4_1907 Depth=2
	s_or_b32 exec_lo, exec_lo, s24
	s_delay_alu instid0(SALU_CYCLE_1)
	s_and_b32 s7, s7, exec_lo
                                        ; implicit-def: $vgpr117
	s_or_saveexec_b32 s23, s23
	v_mov_b32_e32 v116, s22
	s_xor_b32 exec_lo, exec_lo, s23
	s_cbranch_execz .LBB4_2009
.LBB4_2472:                             ;   in Loop: Header=BB4_1907 Depth=2
	v_cmp_ne_u16_e32 vcc_lo, 0, v117
	v_mov_b32_e32 v116, 0
	s_and_not1_b32 s7, s7, exec_lo
	s_and_b32 s22, vcc_lo, exec_lo
	s_delay_alu instid0(SALU_CYCLE_1)
	s_or_b32 s7, s7, s22
	s_or_b32 exec_lo, exec_lo, s23
	s_and_saveexec_b32 s22, s7
	s_cbranch_execnz .LBB4_2010
	s_branch .LBB4_2011
.LBB4_2473:                             ;   in Loop: Header=BB4_1907 Depth=2
	s_mov_b32 s7, -1
	s_mov_b32 s24, exec_lo
                                        ; implicit-def: $sgpr22
	v_cmpx_eq_u16_e32 0x80, v116
; %bb.2474:                             ;   in Loop: Header=BB4_1907 Depth=2
	s_mov_b32 s22, 0x7f800001
	s_xor_b32 s7, exec_lo, -1
; %bb.2475:                             ;   in Loop: Header=BB4_1907 Depth=2
	s_or_b32 exec_lo, exec_lo, s24
	s_delay_alu instid0(SALU_CYCLE_1)
	s_and_b32 s7, s7, exec_lo
	s_or_saveexec_b32 s23, s23
	v_mov_b32_e32 v115, s22
	s_xor_b32 exec_lo, exec_lo, s23
	s_cbranch_execz .LBB4_2021
.LBB4_2476:                             ;   in Loop: Header=BB4_1907 Depth=2
	v_cmp_ne_u16_e32 vcc_lo, 0, v116
	v_mov_b32_e32 v115, 0
	s_and_not1_b32 s7, s7, exec_lo
	s_and_b32 s22, vcc_lo, exec_lo
	s_delay_alu instid0(SALU_CYCLE_1)
	s_or_b32 s7, s7, s22
	s_or_b32 exec_lo, exec_lo, s23
	s_and_saveexec_b32 s22, s7
	s_cbranch_execnz .LBB4_2022
	s_branch .LBB4_2023
.LBB4_2477:                             ;   in Loop: Header=BB4_1907 Depth=2
	s_mov_b32 s7, -1
	s_mov_b32 s24, exec_lo
                                        ; implicit-def: $sgpr22
	v_cmpx_eq_u16_e32 0x80, v23
; %bb.2478:                             ;   in Loop: Header=BB4_1907 Depth=2
	s_mov_b32 s22, 0x7f800001
	s_xor_b32 s7, exec_lo, -1
; %bb.2479:                             ;   in Loop: Header=BB4_1907 Depth=2
	s_or_b32 exec_lo, exec_lo, s24
	s_delay_alu instid0(SALU_CYCLE_1)
	s_and_b32 s7, s7, exec_lo
	s_or_saveexec_b32 s23, s23
	v_mov_b32_e32 v116, s22
	s_xor_b32 exec_lo, exec_lo, s23
	s_cbranch_execz .LBB4_2025
.LBB4_2480:                             ;   in Loop: Header=BB4_1907 Depth=2
	v_cmp_ne_u16_e32 vcc_lo, 0, v23
	v_mov_b32_e32 v116, 0
	s_and_not1_b32 s7, s7, exec_lo
	s_and_b32 s22, vcc_lo, exec_lo
	s_delay_alu instid0(SALU_CYCLE_1)
	s_or_b32 s7, s7, s22
	s_or_b32 exec_lo, exec_lo, s23
	s_and_saveexec_b32 s22, s7
	s_cbranch_execnz .LBB4_2026
	s_branch .LBB4_2027
.LBB4_2481:                             ;   in Loop: Header=BB4_1907 Depth=2
	s_mov_b32 s7, -1
	s_mov_b32 s24, exec_lo
                                        ; implicit-def: $sgpr22
	v_cmpx_eq_u16_e32 0x80, v115
; %bb.2482:                             ;   in Loop: Header=BB4_1907 Depth=2
	s_mov_b32 s22, 0x7f800001
	s_xor_b32 s7, exec_lo, -1
; %bb.2483:                             ;   in Loop: Header=BB4_1907 Depth=2
	s_or_b32 exec_lo, exec_lo, s24
	s_delay_alu instid0(SALU_CYCLE_1)
	s_and_b32 s7, s7, exec_lo
                                        ; implicit-def: $vgpr115
	s_or_saveexec_b32 s23, s23
	v_mov_b32_e32 v23, s22
	s_xor_b32 exec_lo, exec_lo, s23
	s_cbranch_execz .LBB4_2037
.LBB4_2484:                             ;   in Loop: Header=BB4_1907 Depth=2
	v_cmp_ne_u16_e32 vcc_lo, 0, v115
	v_mov_b32_e32 v23, 0
	s_and_not1_b32 s7, s7, exec_lo
	s_and_b32 s22, vcc_lo, exec_lo
	s_delay_alu instid0(SALU_CYCLE_1)
	s_or_b32 s7, s7, s22
	s_or_b32 exec_lo, exec_lo, s23
	s_and_saveexec_b32 s22, s7
	s_cbranch_execnz .LBB4_2038
	s_branch .LBB4_2039
.LBB4_2485:                             ;   in Loop: Header=BB4_1907 Depth=2
	s_mov_b32 s7, -1
	s_mov_b32 s24, exec_lo
                                        ; implicit-def: $sgpr22
	v_cmpx_eq_u16_e32 0x80, v116
; %bb.2486:                             ;   in Loop: Header=BB4_1907 Depth=2
	s_mov_b32 s22, 0x7f800001
	s_xor_b32 s7, exec_lo, -1
; %bb.2487:                             ;   in Loop: Header=BB4_1907 Depth=2
	s_or_b32 exec_lo, exec_lo, s24
	s_delay_alu instid0(SALU_CYCLE_1)
	s_and_b32 s7, s7, exec_lo
                                        ; implicit-def: $vgpr116
	s_or_saveexec_b32 s23, s23
	v_mov_b32_e32 v115, s22
	s_xor_b32 exec_lo, exec_lo, s23
	s_cbranch_execz .LBB4_2041
.LBB4_2488:                             ;   in Loop: Header=BB4_1907 Depth=2
	v_cmp_ne_u16_e32 vcc_lo, 0, v116
	v_mov_b32_e32 v115, 0
	s_and_not1_b32 s7, s7, exec_lo
	s_and_b32 s22, vcc_lo, exec_lo
	s_delay_alu instid0(SALU_CYCLE_1)
	s_or_b32 s7, s7, s22
	s_or_b32 exec_lo, exec_lo, s23
	s_and_saveexec_b32 s22, s7
	s_cbranch_execnz .LBB4_2042
	s_branch .LBB4_2043
.LBB4_2489:                             ;   in Loop: Header=BB4_1907 Depth=2
	s_mov_b32 s7, -1
	s_mov_b32 s24, exec_lo
                                        ; implicit-def: $sgpr22
	v_cmpx_eq_u16_e32 0x80, v116
; %bb.2490:                             ;   in Loop: Header=BB4_1907 Depth=2
	s_mov_b32 s22, 0x7f800001
	s_xor_b32 s7, exec_lo, -1
; %bb.2491:                             ;   in Loop: Header=BB4_1907 Depth=2
	s_or_b32 exec_lo, exec_lo, s24
	s_delay_alu instid0(SALU_CYCLE_1)
	s_and_b32 s7, s7, exec_lo
	s_or_saveexec_b32 s23, s23
	v_mov_b32_e32 v115, s22
	s_xor_b32 exec_lo, exec_lo, s23
	s_cbranch_execz .LBB4_2053
.LBB4_2492:                             ;   in Loop: Header=BB4_1907 Depth=2
	v_cmp_ne_u16_e32 vcc_lo, 0, v116
	v_mov_b32_e32 v115, 0
	s_and_not1_b32 s7, s7, exec_lo
	s_and_b32 s22, vcc_lo, exec_lo
	s_delay_alu instid0(SALU_CYCLE_1)
	s_or_b32 s7, s7, s22
	s_or_b32 exec_lo, exec_lo, s23
	s_and_saveexec_b32 s22, s7
	s_cbranch_execnz .LBB4_2054
	s_branch .LBB4_2055
.LBB4_2493:                             ;   in Loop: Header=BB4_1907 Depth=2
	s_mov_b32 s7, -1
	s_mov_b32 s24, exec_lo
                                        ; implicit-def: $sgpr22
	v_cmpx_eq_u16_e32 0x80, v116
; %bb.2494:                             ;   in Loop: Header=BB4_1907 Depth=2
	s_mov_b32 s22, 0x7f800001
	s_xor_b32 s7, exec_lo, -1
; %bb.2495:                             ;   in Loop: Header=BB4_1907 Depth=2
	s_or_b32 exec_lo, exec_lo, s24
	s_delay_alu instid0(SALU_CYCLE_1)
	s_and_b32 s7, s7, exec_lo
	s_or_saveexec_b32 s23, s23
	v_mov_b32_e32 v117, s22
	s_xor_b32 exec_lo, exec_lo, s23
	s_cbranch_execz .LBB4_2057
.LBB4_2496:                             ;   in Loop: Header=BB4_1907 Depth=2
	v_cmp_ne_u16_e32 vcc_lo, 0, v116
	v_mov_b32_e32 v117, 0
	s_and_not1_b32 s7, s7, exec_lo
	s_and_b32 s22, vcc_lo, exec_lo
	s_delay_alu instid0(SALU_CYCLE_1)
	s_or_b32 s7, s7, s22
	s_or_b32 exec_lo, exec_lo, s23
	s_and_saveexec_b32 s22, s7
	s_cbranch_execnz .LBB4_2058
	s_branch .LBB4_2059
.LBB4_2497:                             ;   in Loop: Header=BB4_1907 Depth=2
	s_mov_b32 s7, -1
	s_mov_b32 s24, exec_lo
                                        ; implicit-def: $sgpr22
	v_cmpx_eq_u16_e32 0x80, v118
; %bb.2498:                             ;   in Loop: Header=BB4_1907 Depth=2
	s_mov_b32 s22, 0x7f800001
	s_xor_b32 s7, exec_lo, -1
; %bb.2499:                             ;   in Loop: Header=BB4_1907 Depth=2
	s_or_b32 exec_lo, exec_lo, s24
	s_delay_alu instid0(SALU_CYCLE_1)
	s_and_b32 s7, s7, exec_lo
                                        ; implicit-def: $vgpr118
	s_or_saveexec_b32 s23, s23
	v_mov_b32_e32 v116, s22
	s_xor_b32 exec_lo, exec_lo, s23
	s_cbranch_execz .LBB4_2069
.LBB4_2500:                             ;   in Loop: Header=BB4_1907 Depth=2
	v_cmp_ne_u16_e32 vcc_lo, 0, v118
	v_mov_b32_e32 v116, 0
	s_and_not1_b32 s7, s7, exec_lo
	s_and_b32 s22, vcc_lo, exec_lo
	s_delay_alu instid0(SALU_CYCLE_1)
	s_or_b32 s7, s7, s22
	s_or_b32 exec_lo, exec_lo, s23
	s_and_saveexec_b32 s22, s7
	s_cbranch_execnz .LBB4_2070
	s_branch .LBB4_2071
.LBB4_2501:                             ;   in Loop: Header=BB4_1907 Depth=2
	s_mov_b32 s7, -1
	s_mov_b32 s24, exec_lo
                                        ; implicit-def: $sgpr22
	v_cmpx_eq_u16_e32 0x80, v119
; %bb.2502:                             ;   in Loop: Header=BB4_1907 Depth=2
	s_mov_b32 s22, 0x7f800001
	s_xor_b32 s7, exec_lo, -1
; %bb.2503:                             ;   in Loop: Header=BB4_1907 Depth=2
	s_or_b32 exec_lo, exec_lo, s24
	s_delay_alu instid0(SALU_CYCLE_1)
	s_and_b32 s7, s7, exec_lo
                                        ; implicit-def: $vgpr119
	s_or_saveexec_b32 s23, s23
	v_mov_b32_e32 v118, s22
	s_xor_b32 exec_lo, exec_lo, s23
	s_cbranch_execz .LBB4_2073
.LBB4_2504:                             ;   in Loop: Header=BB4_1907 Depth=2
	v_cmp_ne_u16_e32 vcc_lo, 0, v119
	v_mov_b32_e32 v118, 0
	s_and_not1_b32 s7, s7, exec_lo
	s_and_b32 s22, vcc_lo, exec_lo
	s_delay_alu instid0(SALU_CYCLE_1)
	s_or_b32 s7, s7, s22
	s_or_b32 exec_lo, exec_lo, s23
	s_and_saveexec_b32 s22, s7
	s_cbranch_execnz .LBB4_2074
	s_branch .LBB4_2075
.LBB4_2505:                             ;   in Loop: Header=BB4_1907 Depth=2
	s_mov_b32 s7, -1
	s_mov_b32 s24, exec_lo
                                        ; implicit-def: $sgpr22
	v_cmpx_eq_u16_e32 0x80, v118
; %bb.2506:                             ;   in Loop: Header=BB4_1907 Depth=2
	s_mov_b32 s22, 0x7f800001
	s_xor_b32 s7, exec_lo, -1
; %bb.2507:                             ;   in Loop: Header=BB4_1907 Depth=2
	s_or_b32 exec_lo, exec_lo, s24
	s_delay_alu instid0(SALU_CYCLE_1)
	s_and_b32 s7, s7, exec_lo
	s_or_saveexec_b32 s23, s23
	v_mov_b32_e32 v117, s22
	s_xor_b32 exec_lo, exec_lo, s23
	s_cbranch_execz .LBB4_2085
.LBB4_2508:                             ;   in Loop: Header=BB4_1907 Depth=2
	v_cmp_ne_u16_e32 vcc_lo, 0, v118
	v_mov_b32_e32 v117, 0
	s_and_not1_b32 s7, s7, exec_lo
	s_and_b32 s22, vcc_lo, exec_lo
	s_delay_alu instid0(SALU_CYCLE_1)
	s_or_b32 s7, s7, s22
	s_or_b32 exec_lo, exec_lo, s23
	s_and_saveexec_b32 s22, s7
	s_cbranch_execnz .LBB4_2086
	s_branch .LBB4_2087
.LBB4_2509:                             ;   in Loop: Header=BB4_1907 Depth=2
	s_mov_b32 s7, -1
	s_mov_b32 s24, exec_lo
                                        ; implicit-def: $sgpr22
	v_cmpx_eq_u16_e32 0x80, v24
; %bb.2510:                             ;   in Loop: Header=BB4_1907 Depth=2
	s_mov_b32 s22, 0x7f800001
	s_xor_b32 s7, exec_lo, -1
; %bb.2511:                             ;   in Loop: Header=BB4_1907 Depth=2
	s_or_b32 exec_lo, exec_lo, s24
	s_delay_alu instid0(SALU_CYCLE_1)
	s_and_b32 s7, s7, exec_lo
	s_or_saveexec_b32 s23, s23
	v_mov_b32_e32 v118, s22
	s_xor_b32 exec_lo, exec_lo, s23
	s_cbranch_execz .LBB4_2089
.LBB4_2512:                             ;   in Loop: Header=BB4_1907 Depth=2
	v_cmp_ne_u16_e32 vcc_lo, 0, v24
	v_mov_b32_e32 v118, 0
	s_and_not1_b32 s7, s7, exec_lo
	s_and_b32 s22, vcc_lo, exec_lo
	s_delay_alu instid0(SALU_CYCLE_1)
	s_or_b32 s7, s7, s22
	s_or_b32 exec_lo, exec_lo, s23
	s_and_saveexec_b32 s22, s7
	s_cbranch_execnz .LBB4_2090
	s_branch .LBB4_2091
.LBB4_2513:                             ;   in Loop: Header=BB4_1907 Depth=2
	s_mov_b32 s7, -1
	s_mov_b32 s24, exec_lo
                                        ; implicit-def: $sgpr22
	v_cmpx_eq_u16_e32 0x80, v117
; %bb.2514:                             ;   in Loop: Header=BB4_1907 Depth=2
	s_mov_b32 s22, 0x7f800001
	s_xor_b32 s7, exec_lo, -1
; %bb.2515:                             ;   in Loop: Header=BB4_1907 Depth=2
	s_or_b32 exec_lo, exec_lo, s24
	s_delay_alu instid0(SALU_CYCLE_1)
	s_and_b32 s7, s7, exec_lo
                                        ; implicit-def: $vgpr117
	s_or_saveexec_b32 s23, s23
	v_mov_b32_e32 v24, s22
	s_xor_b32 exec_lo, exec_lo, s23
	s_cbranch_execz .LBB4_2101
.LBB4_2516:                             ;   in Loop: Header=BB4_1907 Depth=2
	v_cmp_ne_u16_e32 vcc_lo, 0, v117
	v_mov_b32_e32 v24, 0
	s_and_not1_b32 s7, s7, exec_lo
	s_and_b32 s22, vcc_lo, exec_lo
	s_delay_alu instid0(SALU_CYCLE_1)
	s_or_b32 s7, s7, s22
	s_or_b32 exec_lo, exec_lo, s23
	s_and_saveexec_b32 s22, s7
	s_cbranch_execnz .LBB4_2102
	s_branch .LBB4_2103
.LBB4_2517:                             ;   in Loop: Header=BB4_1907 Depth=2
	s_mov_b32 s7, -1
	s_mov_b32 s24, exec_lo
                                        ; implicit-def: $sgpr22
	v_cmpx_eq_u16_e32 0x80, v118
; %bb.2518:                             ;   in Loop: Header=BB4_1907 Depth=2
	s_mov_b32 s22, 0x7f800001
	s_xor_b32 s7, exec_lo, -1
; %bb.2519:                             ;   in Loop: Header=BB4_1907 Depth=2
	s_or_b32 exec_lo, exec_lo, s24
	s_delay_alu instid0(SALU_CYCLE_1)
	s_and_b32 s7, s7, exec_lo
                                        ; implicit-def: $vgpr118
	s_or_saveexec_b32 s23, s23
	v_mov_b32_e32 v117, s22
	s_xor_b32 exec_lo, exec_lo, s23
	s_cbranch_execz .LBB4_2105
.LBB4_2520:                             ;   in Loop: Header=BB4_1907 Depth=2
	v_cmp_ne_u16_e32 vcc_lo, 0, v118
	v_mov_b32_e32 v117, 0
	s_and_not1_b32 s7, s7, exec_lo
	s_and_b32 s22, vcc_lo, exec_lo
	s_delay_alu instid0(SALU_CYCLE_1)
	s_or_b32 s7, s7, s22
	s_or_b32 exec_lo, exec_lo, s23
	s_and_saveexec_b32 s22, s7
	s_cbranch_execnz .LBB4_2106
	s_branch .LBB4_2107
.LBB4_2521:                             ;   in Loop: Header=BB4_1907 Depth=2
	s_mov_b32 s7, -1
	s_mov_b32 s24, exec_lo
                                        ; implicit-def: $sgpr22
	v_cmpx_eq_u16_e32 0x80, v118
; %bb.2522:                             ;   in Loop: Header=BB4_1907 Depth=2
	s_mov_b32 s22, 0x7f800001
	s_xor_b32 s7, exec_lo, -1
; %bb.2523:                             ;   in Loop: Header=BB4_1907 Depth=2
	s_or_b32 exec_lo, exec_lo, s24
	s_delay_alu instid0(SALU_CYCLE_1)
	s_and_b32 s7, s7, exec_lo
	s_or_saveexec_b32 s23, s23
	v_mov_b32_e32 v117, s22
	s_xor_b32 exec_lo, exec_lo, s23
	s_cbranch_execz .LBB4_2117
.LBB4_2524:                             ;   in Loop: Header=BB4_1907 Depth=2
	v_cmp_ne_u16_e32 vcc_lo, 0, v118
	v_mov_b32_e32 v117, 0
	s_and_not1_b32 s7, s7, exec_lo
	s_and_b32 s22, vcc_lo, exec_lo
	s_delay_alu instid0(SALU_CYCLE_1)
	s_or_b32 s7, s7, s22
	s_or_b32 exec_lo, exec_lo, s23
	s_and_saveexec_b32 s22, s7
	s_cbranch_execnz .LBB4_2118
	s_branch .LBB4_2119
.LBB4_2525:                             ;   in Loop: Header=BB4_1907 Depth=2
	s_mov_b32 s7, -1
	s_mov_b32 s24, exec_lo
                                        ; implicit-def: $sgpr22
	v_cmpx_eq_u16_e32 0x80, v118
; %bb.2526:                             ;   in Loop: Header=BB4_1907 Depth=2
	s_mov_b32 s22, 0x7f800001
	s_xor_b32 s7, exec_lo, -1
; %bb.2527:                             ;   in Loop: Header=BB4_1907 Depth=2
	s_or_b32 exec_lo, exec_lo, s24
	s_delay_alu instid0(SALU_CYCLE_1)
	s_and_b32 s7, s7, exec_lo
	s_or_saveexec_b32 s23, s23
	v_mov_b32_e32 v119, s22
	s_xor_b32 exec_lo, exec_lo, s23
	s_cbranch_execz .LBB4_2121
.LBB4_2528:                             ;   in Loop: Header=BB4_1907 Depth=2
	v_cmp_ne_u16_e32 vcc_lo, 0, v118
	v_mov_b32_e32 v119, 0
	s_and_not1_b32 s7, s7, exec_lo
	s_and_b32 s22, vcc_lo, exec_lo
	s_delay_alu instid0(SALU_CYCLE_1)
	s_or_b32 s7, s7, s22
	s_or_b32 exec_lo, exec_lo, s23
	s_and_saveexec_b32 s22, s7
	s_cbranch_execnz .LBB4_2122
	s_branch .LBB4_2123
.LBB4_2529:                             ;   in Loop: Header=BB4_1907 Depth=2
	s_mov_b32 s7, -1
	s_mov_b32 s24, exec_lo
                                        ; implicit-def: $sgpr22
	v_cmpx_eq_u16_e64 0x80, v128
; %bb.2530:                             ;   in Loop: Header=BB4_1907 Depth=2
	s_mov_b32 s22, 0x7f800001
	s_xor_b32 s7, exec_lo, -1
; %bb.2531:                             ;   in Loop: Header=BB4_1907 Depth=2
	s_or_b32 exec_lo, exec_lo, s24
	s_delay_alu instid0(SALU_CYCLE_1)
	s_and_b32 s7, s7, exec_lo
                                        ; implicit-def: $vgpr128
	s_or_saveexec_b32 s23, s23
	v_mov_b32_e32 v118, s22
	s_xor_b32 exec_lo, exec_lo, s23
	s_cbranch_execz .LBB4_2133
.LBB4_2532:                             ;   in Loop: Header=BB4_1907 Depth=2
	v_cmp_ne_u16_e64 vcc_lo, 0, v128
	v_mov_b32_e32 v118, 0
	s_and_not1_b32 s7, s7, exec_lo
	s_delay_alu instid0(VALU_DEP_2) | instskip(NEXT) | instid1(SALU_CYCLE_1)
	s_and_b32 s22, vcc_lo, exec_lo
	s_or_b32 s7, s7, s22
	s_or_b32 exec_lo, exec_lo, s23
	s_and_saveexec_b32 s22, s7
	s_cbranch_execnz .LBB4_2134
	s_branch .LBB4_2135
.LBB4_2533:                             ;   in Loop: Header=BB4_1907 Depth=2
	s_mov_b32 s7, -1
	s_mov_b32 s24, exec_lo
                                        ; implicit-def: $sgpr22
	v_cmpx_eq_u16_e64 0x80, v129
; %bb.2534:                             ;   in Loop: Header=BB4_1907 Depth=2
	s_mov_b32 s22, 0x7f800001
	s_xor_b32 s7, exec_lo, -1
; %bb.2535:                             ;   in Loop: Header=BB4_1907 Depth=2
	s_or_b32 exec_lo, exec_lo, s24
	s_delay_alu instid0(SALU_CYCLE_1)
	s_and_b32 s7, s7, exec_lo
                                        ; implicit-def: $vgpr129
	s_or_saveexec_b32 s23, s23
	v_mov_b32_e32 v128, s22
	s_xor_b32 exec_lo, exec_lo, s23
	s_cbranch_execz .LBB4_2137
.LBB4_2536:                             ;   in Loop: Header=BB4_1907 Depth=2
	v_cmp_ne_u16_e64 vcc_lo, 0, v129
	v_mov_b32_e32 v128, 0
	s_and_not1_b32 s7, s7, exec_lo
	s_delay_alu instid0(VALU_DEP_2) | instskip(NEXT) | instid1(SALU_CYCLE_1)
	s_and_b32 s22, vcc_lo, exec_lo
	s_or_b32 s7, s7, s22
	s_or_b32 exec_lo, exec_lo, s23
	s_and_saveexec_b32 s22, s7
	s_cbranch_execnz .LBB4_2138
	s_branch .LBB4_2139
.LBB4_2537:                             ;   in Loop: Header=BB4_1907 Depth=2
	s_mov_b32 s7, -1
	s_mov_b32 s24, exec_lo
                                        ; implicit-def: $sgpr22
	v_cmpx_eq_u16_e64 0x80, v128
; %bb.2538:                             ;   in Loop: Header=BB4_1907 Depth=2
	s_mov_b32 s22, 0x7f800001
	s_xor_b32 s7, exec_lo, -1
; %bb.2539:                             ;   in Loop: Header=BB4_1907 Depth=2
	s_or_b32 exec_lo, exec_lo, s24
	s_delay_alu instid0(SALU_CYCLE_1)
	s_and_b32 s7, s7, exec_lo
	s_or_saveexec_b32 s23, s23
	v_mov_b32_e32 v119, s22
	s_xor_b32 exec_lo, exec_lo, s23
	s_cbranch_execz .LBB4_2149
.LBB4_2540:                             ;   in Loop: Header=BB4_1907 Depth=2
	v_cmp_ne_u16_e64 vcc_lo, 0, v128
	v_mov_b32_e32 v119, 0
	s_and_not1_b32 s7, s7, exec_lo
	s_delay_alu instid0(VALU_DEP_2) | instskip(NEXT) | instid1(SALU_CYCLE_1)
	s_and_b32 s22, vcc_lo, exec_lo
	s_or_b32 s7, s7, s22
	s_or_b32 exec_lo, exec_lo, s23
	s_and_saveexec_b32 s22, s7
	s_cbranch_execnz .LBB4_2150
	s_branch .LBB4_2151
.LBB4_2541:                             ;   in Loop: Header=BB4_1907 Depth=2
	s_mov_b32 s7, -1
	s_mov_b32 s24, exec_lo
                                        ; implicit-def: $sgpr22
	v_cmpx_eq_u16_e32 0x80, v25
; %bb.2542:                             ;   in Loop: Header=BB4_1907 Depth=2
	s_mov_b32 s22, 0x7f800001
	s_xor_b32 s7, exec_lo, -1
; %bb.2543:                             ;   in Loop: Header=BB4_1907 Depth=2
	s_or_b32 exec_lo, exec_lo, s24
	s_delay_alu instid0(SALU_CYCLE_1)
	s_and_b32 s7, s7, exec_lo
	s_or_saveexec_b32 s23, s23
	v_mov_b32_e32 v128, s22
	s_xor_b32 exec_lo, exec_lo, s23
	s_cbranch_execz .LBB4_2153
.LBB4_2544:                             ;   in Loop: Header=BB4_1907 Depth=2
	v_cmp_ne_u16_e32 vcc_lo, 0, v25
	v_mov_b32_e32 v128, 0
	s_and_not1_b32 s7, s7, exec_lo
	s_and_b32 s22, vcc_lo, exec_lo
	s_delay_alu instid0(SALU_CYCLE_1)
	s_or_b32 s7, s7, s22
	s_or_b32 exec_lo, exec_lo, s23
	s_and_saveexec_b32 s22, s7
	s_cbranch_execnz .LBB4_2154
	s_branch .LBB4_2155
.LBB4_2545:                             ;   in Loop: Header=BB4_1907 Depth=2
	s_mov_b32 s7, -1
	s_mov_b32 s24, exec_lo
                                        ; implicit-def: $sgpr22
	v_cmpx_eq_u16_e32 0x80, v119
; %bb.2546:                             ;   in Loop: Header=BB4_1907 Depth=2
	s_mov_b32 s22, 0x7f800001
	s_xor_b32 s7, exec_lo, -1
; %bb.2547:                             ;   in Loop: Header=BB4_1907 Depth=2
	s_or_b32 exec_lo, exec_lo, s24
	s_delay_alu instid0(SALU_CYCLE_1)
	s_and_b32 s7, s7, exec_lo
                                        ; implicit-def: $vgpr119
	s_or_saveexec_b32 s23, s23
	v_mov_b32_e32 v25, s22
	s_xor_b32 exec_lo, exec_lo, s23
	s_cbranch_execz .LBB4_2165
.LBB4_2548:                             ;   in Loop: Header=BB4_1907 Depth=2
	v_cmp_ne_u16_e32 vcc_lo, 0, v119
	v_mov_b32_e32 v25, 0
	s_and_not1_b32 s7, s7, exec_lo
	s_and_b32 s22, vcc_lo, exec_lo
	s_delay_alu instid0(SALU_CYCLE_1)
	s_or_b32 s7, s7, s22
	s_or_b32 exec_lo, exec_lo, s23
	s_and_saveexec_b32 s22, s7
	s_cbranch_execnz .LBB4_2166
	s_branch .LBB4_2167
.LBB4_2549:                             ;   in Loop: Header=BB4_1907 Depth=2
	s_mov_b32 s7, -1
	s_mov_b32 s24, exec_lo
                                        ; implicit-def: $sgpr22
	v_cmpx_eq_u16_e64 0x80, v128
; %bb.2550:                             ;   in Loop: Header=BB4_1907 Depth=2
	s_mov_b32 s22, 0x7f800001
	s_xor_b32 s7, exec_lo, -1
; %bb.2551:                             ;   in Loop: Header=BB4_1907 Depth=2
	s_or_b32 exec_lo, exec_lo, s24
	s_delay_alu instid0(SALU_CYCLE_1)
	s_and_b32 s7, s7, exec_lo
                                        ; implicit-def: $vgpr128
	s_or_saveexec_b32 s23, s23
	v_mov_b32_e32 v119, s22
	s_xor_b32 exec_lo, exec_lo, s23
	s_cbranch_execz .LBB4_2169
.LBB4_2552:                             ;   in Loop: Header=BB4_1907 Depth=2
	v_cmp_ne_u16_e64 vcc_lo, 0, v128
	v_mov_b32_e32 v119, 0
	s_and_not1_b32 s7, s7, exec_lo
	s_delay_alu instid0(VALU_DEP_2) | instskip(NEXT) | instid1(SALU_CYCLE_1)
	s_and_b32 s22, vcc_lo, exec_lo
	s_or_b32 s7, s7, s22
	s_or_b32 exec_lo, exec_lo, s23
	s_and_saveexec_b32 s22, s7
	s_cbranch_execnz .LBB4_2170
	s_branch .LBB4_2171
.LBB4_2553:                             ;   in Loop: Header=BB4_1907 Depth=2
	s_mov_b32 s7, -1
	s_mov_b32 s24, exec_lo
                                        ; implicit-def: $sgpr22
	v_cmpx_eq_u16_e64 0x80, v128
; %bb.2554:                             ;   in Loop: Header=BB4_1907 Depth=2
	s_mov_b32 s22, 0x7f800001
	s_xor_b32 s7, exec_lo, -1
; %bb.2555:                             ;   in Loop: Header=BB4_1907 Depth=2
	s_or_b32 exec_lo, exec_lo, s24
	s_delay_alu instid0(SALU_CYCLE_1)
	s_and_b32 s7, s7, exec_lo
	s_or_saveexec_b32 s23, s23
	v_mov_b32_e32 v119, s22
	s_xor_b32 exec_lo, exec_lo, s23
	s_cbranch_execz .LBB4_2181
.LBB4_2556:                             ;   in Loop: Header=BB4_1907 Depth=2
	v_cmp_ne_u16_e64 vcc_lo, 0, v128
	v_mov_b32_e32 v119, 0
	s_and_not1_b32 s7, s7, exec_lo
	s_delay_alu instid0(VALU_DEP_2) | instskip(NEXT) | instid1(SALU_CYCLE_1)
	s_and_b32 s22, vcc_lo, exec_lo
	s_or_b32 s7, s7, s22
	s_or_b32 exec_lo, exec_lo, s23
	s_and_saveexec_b32 s22, s7
	s_cbranch_execnz .LBB4_2182
	s_branch .LBB4_2183
.LBB4_2557:                             ;   in Loop: Header=BB4_1907 Depth=2
	s_mov_b32 s7, -1
	s_mov_b32 s24, exec_lo
                                        ; implicit-def: $sgpr22
	v_cmpx_eq_u16_e64 0x80, v128
; %bb.2558:                             ;   in Loop: Header=BB4_1907 Depth=2
	s_mov_b32 s22, 0x7f800001
	s_xor_b32 s7, exec_lo, -1
; %bb.2559:                             ;   in Loop: Header=BB4_1907 Depth=2
	s_or_b32 exec_lo, exec_lo, s24
	s_delay_alu instid0(SALU_CYCLE_1)
	s_and_b32 s7, s7, exec_lo
	s_or_saveexec_b32 s23, s23
	v_mov_b32_e32 v129, s22
	s_xor_b32 exec_lo, exec_lo, s23
	s_cbranch_execz .LBB4_2185
.LBB4_2560:                             ;   in Loop: Header=BB4_1907 Depth=2
	v_cmp_ne_u16_e64 vcc_lo, 0, v128
	v_mov_b32_e32 v129, 0
	s_and_not1_b32 s7, s7, exec_lo
	s_delay_alu instid0(VALU_DEP_2) | instskip(NEXT) | instid1(SALU_CYCLE_1)
	s_and_b32 s22, vcc_lo, exec_lo
	s_or_b32 s7, s7, s22
	s_or_b32 exec_lo, exec_lo, s23
	s_and_saveexec_b32 s22, s7
	s_cbranch_execnz .LBB4_2186
	s_branch .LBB4_2187
.LBB4_2561:                             ;   in Loop: Header=BB4_1907 Depth=2
	s_mov_b32 s7, -1
	s_mov_b32 s24, exec_lo
                                        ; implicit-def: $sgpr22
	v_cmpx_eq_u16_e64 0x80, v130
; %bb.2562:                             ;   in Loop: Header=BB4_1907 Depth=2
	s_mov_b32 s22, 0x7f800001
	s_xor_b32 s7, exec_lo, -1
; %bb.2563:                             ;   in Loop: Header=BB4_1907 Depth=2
	s_or_b32 exec_lo, exec_lo, s24
	s_delay_alu instid0(SALU_CYCLE_1)
	s_and_b32 s7, s7, exec_lo
                                        ; implicit-def: $vgpr130
	s_or_saveexec_b32 s23, s23
	v_mov_b32_e32 v128, s22
	s_xor_b32 exec_lo, exec_lo, s23
	s_cbranch_execz .LBB4_2197
.LBB4_2564:                             ;   in Loop: Header=BB4_1907 Depth=2
	v_cmp_ne_u16_e64 vcc_lo, 0, v130
	v_mov_b32_e32 v128, 0
	s_and_not1_b32 s7, s7, exec_lo
	s_delay_alu instid0(VALU_DEP_2) | instskip(NEXT) | instid1(SALU_CYCLE_1)
	s_and_b32 s22, vcc_lo, exec_lo
	s_or_b32 s7, s7, s22
	s_or_b32 exec_lo, exec_lo, s23
	s_and_saveexec_b32 s22, s7
	s_cbranch_execnz .LBB4_2198
	s_branch .LBB4_2199
.LBB4_2565:                             ;   in Loop: Header=BB4_1907 Depth=2
	s_mov_b32 s7, -1
	s_mov_b32 s24, exec_lo
                                        ; implicit-def: $sgpr22
	v_cmpx_eq_u16_e64 0x80, v131
; %bb.2566:                             ;   in Loop: Header=BB4_1907 Depth=2
	s_mov_b32 s22, 0x7f800001
	s_xor_b32 s7, exec_lo, -1
; %bb.2567:                             ;   in Loop: Header=BB4_1907 Depth=2
	s_or_b32 exec_lo, exec_lo, s24
	s_delay_alu instid0(SALU_CYCLE_1)
	s_and_b32 s7, s7, exec_lo
                                        ; implicit-def: $vgpr131
	s_or_saveexec_b32 s23, s23
	v_mov_b32_e32 v130, s22
	s_xor_b32 exec_lo, exec_lo, s23
	s_cbranch_execz .LBB4_2201
.LBB4_2568:                             ;   in Loop: Header=BB4_1907 Depth=2
	v_cmp_ne_u16_e64 vcc_lo, 0, v131
	v_mov_b32_e32 v130, 0
	s_and_not1_b32 s7, s7, exec_lo
	s_delay_alu instid0(VALU_DEP_2) | instskip(NEXT) | instid1(SALU_CYCLE_1)
	s_and_b32 s22, vcc_lo, exec_lo
	s_or_b32 s7, s7, s22
	s_or_b32 exec_lo, exec_lo, s23
	s_and_saveexec_b32 s22, s7
	s_cbranch_execnz .LBB4_2202
	s_branch .LBB4_2203
.LBB4_2569:                             ;   in Loop: Header=BB4_1907 Depth=2
	s_mov_b32 s7, -1
	s_mov_b32 s24, exec_lo
                                        ; implicit-def: $sgpr22
	v_cmpx_eq_u16_e64 0x80, v130
; %bb.2570:                             ;   in Loop: Header=BB4_1907 Depth=2
	s_mov_b32 s22, 0x7f800001
	s_xor_b32 s7, exec_lo, -1
; %bb.2571:                             ;   in Loop: Header=BB4_1907 Depth=2
	s_or_b32 exec_lo, exec_lo, s24
	s_delay_alu instid0(SALU_CYCLE_1)
	s_and_b32 s7, s7, exec_lo
	s_or_saveexec_b32 s23, s23
	v_mov_b32_e32 v129, s22
	s_xor_b32 exec_lo, exec_lo, s23
	s_cbranch_execz .LBB4_2213
.LBB4_2572:                             ;   in Loop: Header=BB4_1907 Depth=2
	v_cmp_ne_u16_e64 vcc_lo, 0, v130
	v_mov_b32_e32 v129, 0
	s_and_not1_b32 s7, s7, exec_lo
	s_delay_alu instid0(VALU_DEP_2) | instskip(NEXT) | instid1(SALU_CYCLE_1)
	s_and_b32 s22, vcc_lo, exec_lo
	s_or_b32 s7, s7, s22
	s_or_b32 exec_lo, exec_lo, s23
	s_and_saveexec_b32 s22, s7
	s_cbranch_execnz .LBB4_2214
	s_branch .LBB4_2215
.LBB4_2573:                             ;   in Loop: Header=BB4_1907 Depth=2
	s_mov_b32 s7, -1
	s_mov_b32 s24, exec_lo
                                        ; implicit-def: $sgpr22
	v_cmpx_eq_u16_e32 0x80, v14
; %bb.2574:                             ;   in Loop: Header=BB4_1907 Depth=2
	s_mov_b32 s22, 0x7f800001
	s_xor_b32 s7, exec_lo, -1
; %bb.2575:                             ;   in Loop: Header=BB4_1907 Depth=2
	s_or_b32 exec_lo, exec_lo, s24
	s_delay_alu instid0(SALU_CYCLE_1)
	s_and_b32 s7, s7, exec_lo
	s_or_saveexec_b32 s23, s23
	v_mov_b32_e32 v130, s22
	s_xor_b32 exec_lo, exec_lo, s23
	s_cbranch_execz .LBB4_2217
.LBB4_2576:                             ;   in Loop: Header=BB4_1907 Depth=2
	v_cmp_ne_u16_e32 vcc_lo, 0, v14
	v_mov_b32_e32 v130, 0
	s_and_not1_b32 s7, s7, exec_lo
	s_and_b32 s22, vcc_lo, exec_lo
	s_delay_alu instid0(SALU_CYCLE_1)
	s_or_b32 s7, s7, s22
	s_or_b32 exec_lo, exec_lo, s23
	s_and_saveexec_b32 s22, s7
	s_cbranch_execnz .LBB4_2218
	s_branch .LBB4_2219
.LBB4_2577:                             ;   in Loop: Header=BB4_1907 Depth=2
	s_mov_b32 s7, -1
	s_mov_b32 s24, exec_lo
                                        ; implicit-def: $sgpr22
	v_cmpx_eq_u16_e64 0x80, v129
; %bb.2578:                             ;   in Loop: Header=BB4_1907 Depth=2
	s_mov_b32 s22, 0x7f800001
	s_xor_b32 s7, exec_lo, -1
; %bb.2579:                             ;   in Loop: Header=BB4_1907 Depth=2
	s_or_b32 exec_lo, exec_lo, s24
	s_delay_alu instid0(SALU_CYCLE_1)
	s_and_b32 s7, s7, exec_lo
                                        ; implicit-def: $vgpr129
	s_or_saveexec_b32 s23, s23
	v_mov_b32_e32 v14, s22
	s_xor_b32 exec_lo, exec_lo, s23
	s_cbranch_execz .LBB4_2229
.LBB4_2580:                             ;   in Loop: Header=BB4_1907 Depth=2
	v_cmp_ne_u16_e64 vcc_lo, 0, v129
	v_mov_b32_e32 v14, 0
	s_and_not1_b32 s7, s7, exec_lo
	s_delay_alu instid0(VALU_DEP_2) | instskip(NEXT) | instid1(SALU_CYCLE_1)
	s_and_b32 s22, vcc_lo, exec_lo
	s_or_b32 s7, s7, s22
	s_or_b32 exec_lo, exec_lo, s23
	s_and_saveexec_b32 s22, s7
	s_cbranch_execnz .LBB4_2230
	s_branch .LBB4_2231
.LBB4_2581:                             ;   in Loop: Header=BB4_1907 Depth=2
	s_mov_b32 s7, -1
	s_mov_b32 s24, exec_lo
                                        ; implicit-def: $sgpr22
	v_cmpx_eq_u16_e64 0x80, v130
; %bb.2582:                             ;   in Loop: Header=BB4_1907 Depth=2
	s_mov_b32 s22, 0x7f800001
	s_xor_b32 s7, exec_lo, -1
; %bb.2583:                             ;   in Loop: Header=BB4_1907 Depth=2
	s_or_b32 exec_lo, exec_lo, s24
	s_delay_alu instid0(SALU_CYCLE_1)
	s_and_b32 s7, s7, exec_lo
                                        ; implicit-def: $vgpr130
	s_or_saveexec_b32 s23, s23
	v_mov_b32_e32 v129, s22
	s_xor_b32 exec_lo, exec_lo, s23
	s_cbranch_execz .LBB4_2233
.LBB4_2584:                             ;   in Loop: Header=BB4_1907 Depth=2
	v_cmp_ne_u16_e64 vcc_lo, 0, v130
	v_mov_b32_e32 v129, 0
	s_and_not1_b32 s7, s7, exec_lo
	s_delay_alu instid0(VALU_DEP_2) | instskip(NEXT) | instid1(SALU_CYCLE_1)
	s_and_b32 s22, vcc_lo, exec_lo
	s_or_b32 s7, s7, s22
	s_or_b32 exec_lo, exec_lo, s23
	s_and_saveexec_b32 s22, s7
	s_cbranch_execnz .LBB4_2234
	s_branch .LBB4_2235
.LBB4_2585:                             ;   in Loop: Header=BB4_1907 Depth=2
	s_mov_b32 s7, -1
	s_mov_b32 s24, exec_lo
                                        ; implicit-def: $sgpr22
	v_cmpx_eq_u16_e64 0x80, v130
; %bb.2586:                             ;   in Loop: Header=BB4_1907 Depth=2
	s_mov_b32 s22, 0x7f800001
	s_xor_b32 s7, exec_lo, -1
; %bb.2587:                             ;   in Loop: Header=BB4_1907 Depth=2
	s_or_b32 exec_lo, exec_lo, s24
	s_delay_alu instid0(SALU_CYCLE_1)
	s_and_b32 s7, s7, exec_lo
	s_or_saveexec_b32 s23, s23
	v_mov_b32_e32 v129, s22
	s_xor_b32 exec_lo, exec_lo, s23
	s_cbranch_execz .LBB4_2245
.LBB4_2588:                             ;   in Loop: Header=BB4_1907 Depth=2
	v_cmp_ne_u16_e64 vcc_lo, 0, v130
	v_mov_b32_e32 v129, 0
	s_and_not1_b32 s7, s7, exec_lo
	s_delay_alu instid0(VALU_DEP_2) | instskip(NEXT) | instid1(SALU_CYCLE_1)
	s_and_b32 s22, vcc_lo, exec_lo
	s_or_b32 s7, s7, s22
	s_or_b32 exec_lo, exec_lo, s23
	s_and_saveexec_b32 s22, s7
	s_cbranch_execnz .LBB4_2246
	s_branch .LBB4_2247
.LBB4_2589:                             ;   in Loop: Header=BB4_1907 Depth=2
	s_mov_b32 s7, -1
	s_mov_b32 s24, exec_lo
                                        ; implicit-def: $sgpr22
	v_cmpx_eq_u16_e64 0x80, v130
; %bb.2590:                             ;   in Loop: Header=BB4_1907 Depth=2
	s_mov_b32 s22, 0x7f800001
	s_xor_b32 s7, exec_lo, -1
; %bb.2591:                             ;   in Loop: Header=BB4_1907 Depth=2
	s_or_b32 exec_lo, exec_lo, s24
	s_delay_alu instid0(SALU_CYCLE_1)
	s_and_b32 s7, s7, exec_lo
	s_or_saveexec_b32 s23, s23
	v_mov_b32_e32 v131, s22
	s_xor_b32 exec_lo, exec_lo, s23
	s_cbranch_execz .LBB4_2249
.LBB4_2592:                             ;   in Loop: Header=BB4_1907 Depth=2
	v_cmp_ne_u16_e64 vcc_lo, 0, v130
	v_mov_b32_e32 v131, 0
	s_and_not1_b32 s7, s7, exec_lo
	s_delay_alu instid0(VALU_DEP_2) | instskip(NEXT) | instid1(SALU_CYCLE_1)
	s_and_b32 s22, vcc_lo, exec_lo
	s_or_b32 s7, s7, s22
	s_or_b32 exec_lo, exec_lo, s23
	s_and_saveexec_b32 s22, s7
	s_cbranch_execnz .LBB4_2250
	s_branch .LBB4_2251
.LBB4_2593:                             ;   in Loop: Header=BB4_1907 Depth=2
	s_mov_b32 s7, -1
	s_mov_b32 s24, exec_lo
                                        ; implicit-def: $sgpr22
	v_cmpx_eq_u16_e64 0x80, v132
; %bb.2594:                             ;   in Loop: Header=BB4_1907 Depth=2
	s_mov_b32 s22, 0x7f800001
	s_xor_b32 s7, exec_lo, -1
; %bb.2595:                             ;   in Loop: Header=BB4_1907 Depth=2
	s_or_b32 exec_lo, exec_lo, s24
	s_delay_alu instid0(SALU_CYCLE_1)
	s_and_b32 s7, s7, exec_lo
                                        ; implicit-def: $vgpr132
	s_or_saveexec_b32 s23, s23
	v_mov_b32_e32 v130, s22
	s_xor_b32 exec_lo, exec_lo, s23
	s_cbranch_execz .LBB4_2261
.LBB4_2596:                             ;   in Loop: Header=BB4_1907 Depth=2
	v_cmp_ne_u16_e64 vcc_lo, 0, v132
	v_mov_b32_e32 v130, 0
	s_and_not1_b32 s7, s7, exec_lo
	s_delay_alu instid0(VALU_DEP_2) | instskip(NEXT) | instid1(SALU_CYCLE_1)
	s_and_b32 s22, vcc_lo, exec_lo
	s_or_b32 s7, s7, s22
	s_or_b32 exec_lo, exec_lo, s23
	s_and_saveexec_b32 s22, s7
	s_cbranch_execnz .LBB4_2262
	s_branch .LBB4_2263
.LBB4_2597:                             ;   in Loop: Header=BB4_1907 Depth=2
	s_mov_b32 s7, -1
	s_mov_b32 s24, exec_lo
                                        ; implicit-def: $sgpr22
	v_cmpx_eq_u16_e64 0x80, v133
; %bb.2598:                             ;   in Loop: Header=BB4_1907 Depth=2
	s_mov_b32 s22, 0x7f800001
	s_xor_b32 s7, exec_lo, -1
; %bb.2599:                             ;   in Loop: Header=BB4_1907 Depth=2
	s_or_b32 exec_lo, exec_lo, s24
	s_delay_alu instid0(SALU_CYCLE_1)
	s_and_b32 s7, s7, exec_lo
                                        ; implicit-def: $vgpr133
	s_or_saveexec_b32 s23, s23
	v_mov_b32_e32 v132, s22
	s_xor_b32 exec_lo, exec_lo, s23
	s_cbranch_execz .LBB4_2265
.LBB4_2600:                             ;   in Loop: Header=BB4_1907 Depth=2
	v_cmp_ne_u16_e64 vcc_lo, 0, v133
	v_mov_b32_e32 v132, 0
	s_and_not1_b32 s7, s7, exec_lo
	s_delay_alu instid0(VALU_DEP_2) | instskip(NEXT) | instid1(SALU_CYCLE_1)
	s_and_b32 s22, vcc_lo, exec_lo
	s_or_b32 s7, s7, s22
	s_or_b32 exec_lo, exec_lo, s23
	s_and_saveexec_b32 s22, s7
	s_cbranch_execnz .LBB4_2266
	s_branch .LBB4_2267
.LBB4_2601:                             ;   in Loop: Header=BB4_1907 Depth=2
	s_mov_b32 s7, -1
	s_mov_b32 s24, exec_lo
                                        ; implicit-def: $sgpr22
	v_cmpx_eq_u16_e64 0x80, v132
; %bb.2602:                             ;   in Loop: Header=BB4_1907 Depth=2
	s_mov_b32 s22, 0x7f800001
	s_xor_b32 s7, exec_lo, -1
; %bb.2603:                             ;   in Loop: Header=BB4_1907 Depth=2
	s_or_b32 exec_lo, exec_lo, s24
	s_delay_alu instid0(SALU_CYCLE_1)
	s_and_b32 s7, s7, exec_lo
	s_or_saveexec_b32 s23, s23
	v_mov_b32_e32 v131, s22
	s_xor_b32 exec_lo, exec_lo, s23
	s_cbranch_execz .LBB4_2277
.LBB4_2604:                             ;   in Loop: Header=BB4_1907 Depth=2
	v_cmp_ne_u16_e64 vcc_lo, 0, v132
	v_mov_b32_e32 v131, 0
	s_and_not1_b32 s7, s7, exec_lo
	s_delay_alu instid0(VALU_DEP_2) | instskip(NEXT) | instid1(SALU_CYCLE_1)
	s_and_b32 s22, vcc_lo, exec_lo
	s_or_b32 s7, s7, s22
	s_or_b32 exec_lo, exec_lo, s23
	s_and_saveexec_b32 s22, s7
	s_cbranch_execnz .LBB4_2278
	s_branch .LBB4_2279
.LBB4_2605:                             ;   in Loop: Header=BB4_1907 Depth=2
	s_mov_b32 s7, -1
	s_mov_b32 s24, exec_lo
                                        ; implicit-def: $sgpr22
	v_cmpx_eq_u16_e32 0x80, v15
; %bb.2606:                             ;   in Loop: Header=BB4_1907 Depth=2
	s_mov_b32 s22, 0x7f800001
	s_xor_b32 s7, exec_lo, -1
; %bb.2607:                             ;   in Loop: Header=BB4_1907 Depth=2
	s_or_b32 exec_lo, exec_lo, s24
	s_delay_alu instid0(SALU_CYCLE_1)
	s_and_b32 s7, s7, exec_lo
	s_or_saveexec_b32 s23, s23
	v_mov_b32_e32 v132, s22
	s_xor_b32 exec_lo, exec_lo, s23
	s_cbranch_execz .LBB4_2281
.LBB4_2608:                             ;   in Loop: Header=BB4_1907 Depth=2
	v_cmp_ne_u16_e32 vcc_lo, 0, v15
	v_mov_b32_e32 v132, 0
	s_and_not1_b32 s7, s7, exec_lo
	s_and_b32 s22, vcc_lo, exec_lo
	s_delay_alu instid0(SALU_CYCLE_1)
	s_or_b32 s7, s7, s22
	s_or_b32 exec_lo, exec_lo, s23
	s_and_saveexec_b32 s22, s7
	s_cbranch_execnz .LBB4_2282
	s_branch .LBB4_2283
.LBB4_2609:                             ;   in Loop: Header=BB4_1907 Depth=2
	s_mov_b32 s7, -1
	s_mov_b32 s24, exec_lo
                                        ; implicit-def: $sgpr22
	v_cmpx_eq_u16_e64 0x80, v131
; %bb.2610:                             ;   in Loop: Header=BB4_1907 Depth=2
	s_mov_b32 s22, 0x7f800001
	s_xor_b32 s7, exec_lo, -1
; %bb.2611:                             ;   in Loop: Header=BB4_1907 Depth=2
	s_or_b32 exec_lo, exec_lo, s24
	s_delay_alu instid0(SALU_CYCLE_1)
	s_and_b32 s7, s7, exec_lo
                                        ; implicit-def: $vgpr131
	s_or_saveexec_b32 s23, s23
	v_mov_b32_e32 v15, s22
	s_xor_b32 exec_lo, exec_lo, s23
	s_cbranch_execz .LBB4_2293
.LBB4_2612:                             ;   in Loop: Header=BB4_1907 Depth=2
	v_cmp_ne_u16_e64 vcc_lo, 0, v131
	v_mov_b32_e32 v15, 0
	s_and_not1_b32 s7, s7, exec_lo
	s_delay_alu instid0(VALU_DEP_2) | instskip(NEXT) | instid1(SALU_CYCLE_1)
	s_and_b32 s22, vcc_lo, exec_lo
	s_or_b32 s7, s7, s22
	s_or_b32 exec_lo, exec_lo, s23
	s_and_saveexec_b32 s22, s7
	s_cbranch_execnz .LBB4_2294
	s_branch .LBB4_2295
.LBB4_2613:                             ;   in Loop: Header=BB4_1907 Depth=2
	s_mov_b32 s7, -1
	s_mov_b32 s24, exec_lo
                                        ; implicit-def: $sgpr22
	v_cmpx_eq_u16_e64 0x80, v132
; %bb.2614:                             ;   in Loop: Header=BB4_1907 Depth=2
	s_mov_b32 s22, 0x7f800001
	s_xor_b32 s7, exec_lo, -1
; %bb.2615:                             ;   in Loop: Header=BB4_1907 Depth=2
	s_or_b32 exec_lo, exec_lo, s24
	s_delay_alu instid0(SALU_CYCLE_1)
	s_and_b32 s7, s7, exec_lo
                                        ; implicit-def: $vgpr132
	s_or_saveexec_b32 s23, s23
	v_mov_b32_e32 v131, s22
	s_xor_b32 exec_lo, exec_lo, s23
	s_cbranch_execz .LBB4_2297
.LBB4_2616:                             ;   in Loop: Header=BB4_1907 Depth=2
	v_cmp_ne_u16_e64 vcc_lo, 0, v132
	v_mov_b32_e32 v131, 0
	s_and_not1_b32 s7, s7, exec_lo
	s_delay_alu instid0(VALU_DEP_2) | instskip(NEXT) | instid1(SALU_CYCLE_1)
	s_and_b32 s22, vcc_lo, exec_lo
	s_or_b32 s7, s7, s22
	s_or_b32 exec_lo, exec_lo, s23
	s_and_saveexec_b32 s22, s7
	s_cbranch_execnz .LBB4_2298
	s_branch .LBB4_2299
.LBB4_2617:                             ;   in Loop: Header=BB4_1907 Depth=2
	s_mov_b32 s7, -1
	s_mov_b32 s24, exec_lo
                                        ; implicit-def: $sgpr22
	v_cmpx_eq_u16_e64 0x80, v132
; %bb.2618:                             ;   in Loop: Header=BB4_1907 Depth=2
	s_mov_b32 s22, 0x7f800001
	s_xor_b32 s7, exec_lo, -1
; %bb.2619:                             ;   in Loop: Header=BB4_1907 Depth=2
	s_or_b32 exec_lo, exec_lo, s24
	s_delay_alu instid0(SALU_CYCLE_1)
	s_and_b32 s7, s7, exec_lo
	s_or_saveexec_b32 s23, s23
	v_mov_b32_e32 v131, s22
	s_xor_b32 exec_lo, exec_lo, s23
	s_cbranch_execz .LBB4_2309
.LBB4_2620:                             ;   in Loop: Header=BB4_1907 Depth=2
	v_cmp_ne_u16_e64 vcc_lo, 0, v132
	v_mov_b32_e32 v131, 0
	s_and_not1_b32 s7, s7, exec_lo
	s_delay_alu instid0(VALU_DEP_2) | instskip(NEXT) | instid1(SALU_CYCLE_1)
	s_and_b32 s22, vcc_lo, exec_lo
	s_or_b32 s7, s7, s22
	s_or_b32 exec_lo, exec_lo, s23
	s_and_saveexec_b32 s22, s7
	s_cbranch_execnz .LBB4_2310
	s_branch .LBB4_2311
.LBB4_2621:                             ;   in Loop: Header=BB4_1907 Depth=2
	s_mov_b32 s7, -1
	s_mov_b32 s24, exec_lo
                                        ; implicit-def: $sgpr22
	v_cmpx_eq_u16_e64 0x80, v132
; %bb.2622:                             ;   in Loop: Header=BB4_1907 Depth=2
	s_mov_b32 s22, 0x7f800001
	s_xor_b32 s7, exec_lo, -1
; %bb.2623:                             ;   in Loop: Header=BB4_1907 Depth=2
	s_or_b32 exec_lo, exec_lo, s24
	s_delay_alu instid0(SALU_CYCLE_1)
	s_and_b32 s7, s7, exec_lo
	s_or_saveexec_b32 s23, s23
	v_mov_b32_e32 v133, s22
	s_xor_b32 exec_lo, exec_lo, s23
	s_cbranch_execz .LBB4_2313
.LBB4_2624:                             ;   in Loop: Header=BB4_1907 Depth=2
	v_cmp_ne_u16_e64 vcc_lo, 0, v132
	v_mov_b32_e32 v133, 0
	s_and_not1_b32 s7, s7, exec_lo
	s_delay_alu instid0(VALU_DEP_2) | instskip(NEXT) | instid1(SALU_CYCLE_1)
	s_and_b32 s22, vcc_lo, exec_lo
	s_or_b32 s7, s7, s22
	s_or_b32 exec_lo, exec_lo, s23
	s_and_saveexec_b32 s22, s7
	s_cbranch_execnz .LBB4_2314
	s_branch .LBB4_2315
.LBB4_2625:                             ;   in Loop: Header=BB4_1907 Depth=2
	s_mov_b32 s7, -1
	s_mov_b32 s24, exec_lo
                                        ; implicit-def: $sgpr22
	v_cmpx_eq_u16_e64 0x80, v134
; %bb.2626:                             ;   in Loop: Header=BB4_1907 Depth=2
	s_mov_b32 s22, 0x7f800001
	s_xor_b32 s7, exec_lo, -1
; %bb.2627:                             ;   in Loop: Header=BB4_1907 Depth=2
	s_or_b32 exec_lo, exec_lo, s24
	s_delay_alu instid0(SALU_CYCLE_1)
	s_and_b32 s7, s7, exec_lo
                                        ; implicit-def: $vgpr134
	s_or_saveexec_b32 s23, s23
	v_mov_b32_e32 v132, s22
	s_xor_b32 exec_lo, exec_lo, s23
	s_cbranch_execz .LBB4_2325
.LBB4_2628:                             ;   in Loop: Header=BB4_1907 Depth=2
	v_cmp_ne_u16_e64 vcc_lo, 0, v134
	v_mov_b32_e32 v132, 0
	s_and_not1_b32 s7, s7, exec_lo
	s_delay_alu instid0(VALU_DEP_2) | instskip(NEXT) | instid1(SALU_CYCLE_1)
	s_and_b32 s22, vcc_lo, exec_lo
	s_or_b32 s7, s7, s22
	s_or_b32 exec_lo, exec_lo, s23
	s_and_saveexec_b32 s22, s7
	s_cbranch_execnz .LBB4_2326
	s_branch .LBB4_2327
.LBB4_2629:                             ;   in Loop: Header=BB4_1907 Depth=2
	s_mov_b32 s7, -1
	s_mov_b32 s24, exec_lo
                                        ; implicit-def: $sgpr22
	v_cmpx_eq_u16_e64 0x80, v135
; %bb.2630:                             ;   in Loop: Header=BB4_1907 Depth=2
	s_mov_b32 s22, 0x7f800001
	s_xor_b32 s7, exec_lo, -1
; %bb.2631:                             ;   in Loop: Header=BB4_1907 Depth=2
	s_or_b32 exec_lo, exec_lo, s24
	s_delay_alu instid0(SALU_CYCLE_1)
	s_and_b32 s7, s7, exec_lo
                                        ; implicit-def: $vgpr135
	s_or_saveexec_b32 s23, s23
	v_mov_b32_e32 v134, s22
	s_xor_b32 exec_lo, exec_lo, s23
	s_cbranch_execz .LBB4_2329
.LBB4_2632:                             ;   in Loop: Header=BB4_1907 Depth=2
	v_cmp_ne_u16_e64 vcc_lo, 0, v135
	v_mov_b32_e32 v134, 0
	s_and_not1_b32 s7, s7, exec_lo
	s_delay_alu instid0(VALU_DEP_2) | instskip(NEXT) | instid1(SALU_CYCLE_1)
	s_and_b32 s22, vcc_lo, exec_lo
	s_or_b32 s7, s7, s22
	s_or_b32 exec_lo, exec_lo, s23
	s_and_saveexec_b32 s22, s7
	s_cbranch_execnz .LBB4_2330
	s_branch .LBB4_2331
.LBB4_2633:                             ;   in Loop: Header=BB4_1907 Depth=2
	s_mov_b32 s7, -1
	s_mov_b32 s24, exec_lo
                                        ; implicit-def: $sgpr22
	v_cmpx_eq_u16_e64 0x80, v134
; %bb.2634:                             ;   in Loop: Header=BB4_1907 Depth=2
	s_mov_b32 s22, 0x7f800001
	s_xor_b32 s7, exec_lo, -1
; %bb.2635:                             ;   in Loop: Header=BB4_1907 Depth=2
	s_or_b32 exec_lo, exec_lo, s24
	s_delay_alu instid0(SALU_CYCLE_1)
	s_and_b32 s7, s7, exec_lo
	s_or_saveexec_b32 s23, s23
	v_mov_b32_e32 v133, s22
	s_xor_b32 exec_lo, exec_lo, s23
	s_cbranch_execz .LBB4_2341
.LBB4_2636:                             ;   in Loop: Header=BB4_1907 Depth=2
	v_cmp_ne_u16_e64 vcc_lo, 0, v134
	v_mov_b32_e32 v133, 0
	s_and_not1_b32 s7, s7, exec_lo
	s_delay_alu instid0(VALU_DEP_2) | instskip(NEXT) | instid1(SALU_CYCLE_1)
	s_and_b32 s22, vcc_lo, exec_lo
	s_or_b32 s7, s7, s22
	s_or_b32 exec_lo, exec_lo, s23
	s_and_saveexec_b32 s22, s7
	s_cbranch_execnz .LBB4_2342
	s_branch .LBB4_2343
.LBB4_2637:                             ;   in Loop: Header=BB4_1907 Depth=2
	s_mov_b32 s7, -1
	s_mov_b32 s24, exec_lo
                                        ; implicit-def: $sgpr22
	v_cmpx_eq_u16_e32 0x80, v16
; %bb.2638:                             ;   in Loop: Header=BB4_1907 Depth=2
	s_mov_b32 s22, 0x7f800001
	s_xor_b32 s7, exec_lo, -1
; %bb.2639:                             ;   in Loop: Header=BB4_1907 Depth=2
	s_or_b32 exec_lo, exec_lo, s24
	s_delay_alu instid0(SALU_CYCLE_1)
	s_and_b32 s7, s7, exec_lo
	s_or_saveexec_b32 s23, s23
	v_mov_b32_e32 v134, s22
	s_xor_b32 exec_lo, exec_lo, s23
	s_cbranch_execz .LBB4_2345
.LBB4_2640:                             ;   in Loop: Header=BB4_1907 Depth=2
	v_cmp_ne_u16_e32 vcc_lo, 0, v16
	v_mov_b32_e32 v134, 0
	s_and_not1_b32 s7, s7, exec_lo
	s_and_b32 s22, vcc_lo, exec_lo
	s_delay_alu instid0(SALU_CYCLE_1)
	s_or_b32 s7, s7, s22
	s_or_b32 exec_lo, exec_lo, s23
	s_and_saveexec_b32 s22, s7
	s_cbranch_execnz .LBB4_2346
	s_branch .LBB4_2347
.LBB4_2641:                             ;   in Loop: Header=BB4_1907 Depth=2
	s_mov_b32 s7, -1
	s_mov_b32 s24, exec_lo
                                        ; implicit-def: $sgpr22
	v_cmpx_eq_u16_e64 0x80, v133
; %bb.2642:                             ;   in Loop: Header=BB4_1907 Depth=2
	s_mov_b32 s22, 0x7f800001
	s_xor_b32 s7, exec_lo, -1
; %bb.2643:                             ;   in Loop: Header=BB4_1907 Depth=2
	s_or_b32 exec_lo, exec_lo, s24
	s_delay_alu instid0(SALU_CYCLE_1)
	s_and_b32 s7, s7, exec_lo
                                        ; implicit-def: $vgpr133
	s_or_saveexec_b32 s23, s23
	v_mov_b32_e32 v16, s22
	s_xor_b32 exec_lo, exec_lo, s23
	s_cbranch_execz .LBB4_2357
.LBB4_2644:                             ;   in Loop: Header=BB4_1907 Depth=2
	v_cmp_ne_u16_e64 vcc_lo, 0, v133
	v_mov_b32_e32 v16, 0
	s_and_not1_b32 s7, s7, exec_lo
	s_delay_alu instid0(VALU_DEP_2) | instskip(NEXT) | instid1(SALU_CYCLE_1)
	s_and_b32 s22, vcc_lo, exec_lo
	s_or_b32 s7, s7, s22
	s_or_b32 exec_lo, exec_lo, s23
	s_and_saveexec_b32 s22, s7
	s_cbranch_execnz .LBB4_2358
	s_branch .LBB4_2359
.LBB4_2645:                             ;   in Loop: Header=BB4_1907 Depth=2
	s_mov_b32 s7, -1
	s_mov_b32 s24, exec_lo
                                        ; implicit-def: $sgpr22
	v_cmpx_eq_u16_e64 0x80, v134
; %bb.2646:                             ;   in Loop: Header=BB4_1907 Depth=2
	s_mov_b32 s22, 0x7f800001
	s_xor_b32 s7, exec_lo, -1
; %bb.2647:                             ;   in Loop: Header=BB4_1907 Depth=2
	s_or_b32 exec_lo, exec_lo, s24
	s_delay_alu instid0(SALU_CYCLE_1)
	s_and_b32 s7, s7, exec_lo
                                        ; implicit-def: $vgpr134
	s_or_saveexec_b32 s23, s23
	v_mov_b32_e32 v133, s22
	s_xor_b32 exec_lo, exec_lo, s23
	s_cbranch_execz .LBB4_2361
.LBB4_2648:                             ;   in Loop: Header=BB4_1907 Depth=2
	v_cmp_ne_u16_e64 vcc_lo, 0, v134
	v_mov_b32_e32 v133, 0
	s_and_not1_b32 s7, s7, exec_lo
	s_delay_alu instid0(VALU_DEP_2) | instskip(NEXT) | instid1(SALU_CYCLE_1)
	s_and_b32 s22, vcc_lo, exec_lo
	s_or_b32 s7, s7, s22
	s_or_b32 exec_lo, exec_lo, s23
	s_and_saveexec_b32 s22, s7
	s_cbranch_execnz .LBB4_2362
	s_branch .LBB4_2363
.LBB4_2649:                             ;   in Loop: Header=BB4_1907 Depth=2
	s_mov_b32 s7, -1
	s_mov_b32 s24, exec_lo
                                        ; implicit-def: $sgpr22
	v_cmpx_eq_u16_e64 0x80, v134
; %bb.2650:                             ;   in Loop: Header=BB4_1907 Depth=2
	s_mov_b32 s22, 0x7f800001
	s_xor_b32 s7, exec_lo, -1
; %bb.2651:                             ;   in Loop: Header=BB4_1907 Depth=2
	s_or_b32 exec_lo, exec_lo, s24
	s_delay_alu instid0(SALU_CYCLE_1)
	s_and_b32 s7, s7, exec_lo
	s_or_saveexec_b32 s23, s23
	v_mov_b32_e32 v133, s22
	s_xor_b32 exec_lo, exec_lo, s23
	s_cbranch_execz .LBB4_2373
.LBB4_2652:                             ;   in Loop: Header=BB4_1907 Depth=2
	v_cmp_ne_u16_e64 vcc_lo, 0, v134
	v_mov_b32_e32 v133, 0
	s_and_not1_b32 s7, s7, exec_lo
	s_delay_alu instid0(VALU_DEP_2) | instskip(NEXT) | instid1(SALU_CYCLE_1)
	s_and_b32 s22, vcc_lo, exec_lo
	s_or_b32 s7, s7, s22
	s_or_b32 exec_lo, exec_lo, s23
	s_and_saveexec_b32 s22, s7
	s_cbranch_execnz .LBB4_2374
	s_branch .LBB4_2375
.LBB4_2653:                             ;   in Loop: Header=BB4_1907 Depth=2
	s_mov_b32 s7, -1
	s_mov_b32 s24, exec_lo
                                        ; implicit-def: $sgpr22
	v_cmpx_eq_u16_e64 0x80, v134
; %bb.2654:                             ;   in Loop: Header=BB4_1907 Depth=2
	s_mov_b32 s22, 0x7f800001
	s_xor_b32 s7, exec_lo, -1
; %bb.2655:                             ;   in Loop: Header=BB4_1907 Depth=2
	s_or_b32 exec_lo, exec_lo, s24
	s_delay_alu instid0(SALU_CYCLE_1)
	s_and_b32 s7, s7, exec_lo
	s_or_saveexec_b32 s23, s23
	v_mov_b32_e32 v135, s22
	s_xor_b32 exec_lo, exec_lo, s23
	s_cbranch_execz .LBB4_2377
.LBB4_2656:                             ;   in Loop: Header=BB4_1907 Depth=2
	v_cmp_ne_u16_e64 vcc_lo, 0, v134
	v_mov_b32_e32 v135, 0
	s_and_not1_b32 s7, s7, exec_lo
	s_delay_alu instid0(VALU_DEP_2) | instskip(NEXT) | instid1(SALU_CYCLE_1)
	s_and_b32 s22, vcc_lo, exec_lo
	s_or_b32 s7, s7, s22
	s_or_b32 exec_lo, exec_lo, s23
	s_and_saveexec_b32 s22, s7
	s_cbranch_execnz .LBB4_2378
	s_branch .LBB4_2379
.LBB4_2657:                             ;   in Loop: Header=BB4_1907 Depth=2
	s_mov_b32 s7, -1
	s_mov_b32 s24, exec_lo
                                        ; implicit-def: $sgpr22
	v_cmpx_eq_u16_e64 0x80, v144
; %bb.2658:                             ;   in Loop: Header=BB4_1907 Depth=2
	s_mov_b32 s22, 0x7f800001
	s_xor_b32 s7, exec_lo, -1
; %bb.2659:                             ;   in Loop: Header=BB4_1907 Depth=2
	s_or_b32 exec_lo, exec_lo, s24
	s_delay_alu instid0(SALU_CYCLE_1)
	s_and_b32 s7, s7, exec_lo
                                        ; implicit-def: $vgpr144
	s_or_saveexec_b32 s23, s23
	v_mov_b32_e32 v134, s22
	s_xor_b32 exec_lo, exec_lo, s23
	s_cbranch_execz .LBB4_2389
.LBB4_2660:                             ;   in Loop: Header=BB4_1907 Depth=2
	v_cmp_ne_u16_e64 vcc_lo, 0, v144
	v_mov_b32_e32 v134, 0
	s_and_not1_b32 s7, s7, exec_lo
	s_delay_alu instid0(VALU_DEP_2) | instskip(NEXT) | instid1(SALU_CYCLE_1)
	s_and_b32 s22, vcc_lo, exec_lo
	s_or_b32 s7, s7, s22
	s_or_b32 exec_lo, exec_lo, s23
	s_and_saveexec_b32 s22, s7
	s_cbranch_execnz .LBB4_2390
	s_branch .LBB4_2391
.LBB4_2661:                             ;   in Loop: Header=BB4_1907 Depth=2
	s_mov_b32 s7, -1
	s_mov_b32 s24, exec_lo
                                        ; implicit-def: $sgpr22
	v_cmpx_eq_u16_e64 0x80, v145
; %bb.2662:                             ;   in Loop: Header=BB4_1907 Depth=2
	s_mov_b32 s22, 0x7f800001
	s_xor_b32 s7, exec_lo, -1
; %bb.2663:                             ;   in Loop: Header=BB4_1907 Depth=2
	s_or_b32 exec_lo, exec_lo, s24
	s_delay_alu instid0(SALU_CYCLE_1)
	s_and_b32 s7, s7, exec_lo
                                        ; implicit-def: $vgpr145
	s_or_saveexec_b32 s23, s23
	v_mov_b32_e32 v144, s22
	s_xor_b32 exec_lo, exec_lo, s23
	s_cbranch_execz .LBB4_2393
.LBB4_2664:                             ;   in Loop: Header=BB4_1907 Depth=2
	v_cmp_ne_u16_e64 vcc_lo, 0, v145
	v_mov_b32_e32 v144, 0
	s_and_not1_b32 s7, s7, exec_lo
	s_delay_alu instid0(VALU_DEP_2) | instskip(NEXT) | instid1(SALU_CYCLE_1)
	s_and_b32 s22, vcc_lo, exec_lo
	s_or_b32 s7, s7, s22
	s_or_b32 exec_lo, exec_lo, s23
	s_and_saveexec_b32 s22, s7
	s_cbranch_execnz .LBB4_2394
	s_branch .LBB4_2395
.LBB4_2665:                             ;   in Loop: Header=BB4_1907 Depth=2
	s_mov_b32 s7, -1
	s_mov_b32 s24, exec_lo
                                        ; implicit-def: $sgpr22
	v_cmpx_eq_u16_e64 0x80, v144
; %bb.2666:                             ;   in Loop: Header=BB4_1907 Depth=2
	s_mov_b32 s22, 0x7f800001
	s_xor_b32 s7, exec_lo, -1
; %bb.2667:                             ;   in Loop: Header=BB4_1907 Depth=2
	s_or_b32 exec_lo, exec_lo, s24
	s_delay_alu instid0(SALU_CYCLE_1)
	s_and_b32 s7, s7, exec_lo
	s_or_saveexec_b32 s23, s23
	v_mov_b32_e32 v135, s22
	s_xor_b32 exec_lo, exec_lo, s23
	s_cbranch_execz .LBB4_2405
.LBB4_2668:                             ;   in Loop: Header=BB4_1907 Depth=2
	v_cmp_ne_u16_e64 vcc_lo, 0, v144
	v_mov_b32_e32 v135, 0
	s_and_not1_b32 s7, s7, exec_lo
	s_delay_alu instid0(VALU_DEP_2) | instskip(NEXT) | instid1(SALU_CYCLE_1)
	s_and_b32 s22, vcc_lo, exec_lo
	s_or_b32 s7, s7, s22
	s_or_b32 exec_lo, exec_lo, s23
	s_and_saveexec_b32 s22, s7
	s_cbranch_execnz .LBB4_2406
	s_branch .LBB4_2407
.LBB4_2669:                             ;   in Loop: Header=BB4_1907 Depth=2
	s_mov_b32 s7, -1
	s_mov_b32 s24, exec_lo
                                        ; implicit-def: $sgpr22
	v_cmpx_eq_u16_e32 0x80, v17
; %bb.2670:                             ;   in Loop: Header=BB4_1907 Depth=2
	s_mov_b32 s22, 0x7f800001
	s_xor_b32 s7, exec_lo, -1
; %bb.2671:                             ;   in Loop: Header=BB4_1907 Depth=2
	s_or_b32 exec_lo, exec_lo, s24
	s_delay_alu instid0(SALU_CYCLE_1)
	s_and_b32 s7, s7, exec_lo
	s_or_saveexec_b32 s23, s23
	v_mov_b32_e32 v144, s22
	s_xor_b32 exec_lo, exec_lo, s23
	s_cbranch_execz .LBB4_2409
.LBB4_2672:                             ;   in Loop: Header=BB4_1907 Depth=2
	v_cmp_ne_u16_e32 vcc_lo, 0, v17
	v_mov_b32_e32 v144, 0
	s_and_not1_b32 s7, s7, exec_lo
	s_and_b32 s22, vcc_lo, exec_lo
	s_delay_alu instid0(SALU_CYCLE_1)
	s_or_b32 s7, s7, s22
	s_or_b32 exec_lo, exec_lo, s23
	s_and_saveexec_b32 s22, s7
	s_cbranch_execnz .LBB4_2410
	s_branch .LBB4_2411
.LBB4_2673:                             ;   in Loop: Header=BB4_1821 Depth=1
	s_or_b32 exec_lo, exec_lo, s21
.LBB4_2674:                             ;   in Loop: Header=BB4_1821 Depth=1
	s_delay_alu instid0(SALU_CYCLE_1) | instskip(SKIP_3) | instid1(VALU_DEP_1)
	s_or_b32 exec_lo, exec_lo, s10
	v_dual_mov_b32 v16, 0 :: v_dual_and_b32 v11, 0x3ffffc00, v50
	s_mov_b32 s7, 0
	s_mov_b32 s21, exec_lo
                                        ; implicit-def: $vgpr17
                                        ; implicit-def: $vgpr18
                                        ; implicit-def: $vgpr10
	v_cmpx_ne_u32_e64 v11, v50
	s_cbranch_execz .LBB4_3067
; %bb.2675:                             ;   in Loop: Header=BB4_1821 Depth=1
	v_lshlrev_b32_e32 v10, 5, v101
	v_bfe_u32 v15, v50, 9, 1
	s_mov_b32 s22, exec_lo
	s_delay_alu instid0(VALU_DEP_2) | instskip(NEXT) | instid1(VALU_DEP_1)
	v_sub_nc_u32_e32 v10, v84, v10
	v_ashrrev_i32_e32 v12, 31, v10
	s_delay_alu instid0(VALU_DEP_1) | instskip(NEXT) | instid1(VALU_DEP_1)
	v_lshrrev_b32_e32 v12, 27, v12
	v_add_nc_u32_e32 v12, v10, v12
	s_delay_alu instid0(VALU_DEP_1) | instskip(SKIP_1) | instid1(VALU_DEP_2)
	v_and_b32_e32 v13, 0xffffffe0, v12
	v_ashrrev_i32_e32 v12, 5, v12
	v_sub_nc_u32_e32 v24, v10, v13
	v_and_b32_e32 v13, 0x3ff, v50
	v_and_b32_e32 v10, 0x200, v50
	s_delay_alu instid0(VALU_DEP_3) | instskip(NEXT) | instid1(VALU_DEP_2)
	v_lshlrev_b32_e32 v14, 4, v24
	v_sub_nc_u32_e32 v25, v13, v10
	s_delay_alu instid0(VALU_DEP_2) | instskip(NEXT) | instid1(VALU_DEP_2)
	v_lshl_add_u32 v10, v12, 9, v14
	v_cmp_lt_i32_e32 vcc_lo, 15, v25
	s_delay_alu instid0(VALU_DEP_2) | instskip(SKIP_1) | instid1(VALU_DEP_1)
	v_sub_nc_u32_e32 v65, v13, v10
	v_add_co_ci_u32_e64 v14, s7, 0, v15, vcc_lo
	v_sub_nc_u32_e32 v64, v14, v12
	s_delay_alu instid0(VALU_DEP_3)
	v_cmpx_lt_i32_e32 15, v65
	s_cbranch_execz .LBB4_3064
; %bb.2676:                             ;   in Loop: Header=BB4_1821 Depth=1
	s_cbranch_execnz .LBB4_4023
; %bb.2677:                             ;   in Loop: Header=BB4_1821 Depth=1
	ds_load_b128 v[12:15], v0
	ds_load_b64 v[16:17], v0
	v_add_nc_u32_e32 v10, v10, v11
	s_mov_b32 s23, 0
	s_delay_alu instid0(VALU_DEP_1) | instskip(SKIP_2) | instid1(VALU_DEP_1)
	v_ashrrev_i32_e32 v11, 31, v10
	s_waitcnt lgkmcnt(1)
	v_add_co_u32 v18, s7, v12, v10
	v_add_co_ci_u32_e64 v19, s7, v13, v11, s7
	v_add_co_u32 v20, s7, v14, v10
	s_delay_alu instid0(VALU_DEP_1) | instskip(SKIP_2) | instid1(VALU_DEP_1)
	v_add_co_ci_u32_e64 v21, s7, v15, v11, s7
	s_waitcnt lgkmcnt(0)
	v_add_co_u32 v22, s7, v16, v10
	v_add_co_ci_u32_e64 v23, s7, v17, v11, s7
	s_branch .LBB4_2681
.LBB4_2678:                             ;   in Loop: Header=BB4_2681 Depth=2
	s_or_b32 exec_lo, exec_lo, s7
	s_delay_alu instid0(VALU_DEP_1) | instskip(NEXT) | instid1(VALU_DEP_2)
	v_lshrrev_b32_e32 v114, 21, v114
	v_min_i32_e32 v115, 31, v17
	v_cmp_gt_i32_e64 s7, 32, v17
	v_lshrrev_b32_e32 v13, 24, v13
	s_delay_alu instid0(VALU_DEP_3) | instskip(NEXT) | instid1(VALU_DEP_3)
	v_lshlrev_b32_e32 v115, 2, v115
	v_cndmask_b32_e64 v114, 3, v114, s7
	s_delay_alu instid0(VALU_DEP_3) | instskip(NEXT) | instid1(VALU_DEP_3)
	v_and_b32_e32 v13, 0x80, v13
	v_and_b32_e32 v115, 0xfc, v115
	s_delay_alu instid0(VALU_DEP_3) | instskip(SKIP_1) | instid1(VALU_DEP_2)
	v_and_b32_e32 v116, 3, v114
	v_or_b32_e32 v17, v17, v114
	v_or3_b32 v13, v13, v115, v116
	s_delay_alu instid0(VALU_DEP_2) | instskip(NEXT) | instid1(VALU_DEP_2)
	v_cmp_ne_u32_e64 s7, 0, v17
	v_lshlrev_b32_e32 v13, 8, v13
	s_delay_alu instid0(VALU_DEP_1)
	v_cndmask_b32_e64 v17, 0, v13, s7
.LBB4_2679:                             ;   in Loop: Header=BB4_2681 Depth=2
	s_or_b32 exec_lo, exec_lo, s25
.LBB4_2680:                             ;   in Loop: Header=BB4_2681 Depth=2
	s_delay_alu instid0(SALU_CYCLE_1)
	s_or_b32 exec_lo, exec_lo, s24
	v_or_b32_e32 v11, v11, v101
	v_and_b32_e32 v13, 0xff, v68
	v_lshlrev_b32_e32 v67, 8, v67
	v_and_b32_e32 v68, 0xff, v103
	v_lshlrev_b32_e32 v101, 8, v102
	v_or_b32_e32 v17, v17, v113
	v_and_b32_e32 v14, 0xff, v14
	v_lshlrev_b32_e32 v10, 24, v10
	v_lshlrev_b32_e32 v11, 16, v11
	;; [unrolled: 1-line block ×3, first 2 shown]
	v_perm_b32 v66, v67, v66, 0xc0c0500
	v_lshlrev_b32_e32 v12, 24, v12
	v_lshlrev_b32_e32 v67, 16, v68
	v_perm_b32 v15, v101, v15, 0xc0c0500
	v_and_b32_e32 v16, 0xff, v16
	v_lshlrev_b32_e32 v17, 16, v17
	v_add_co_u32 v18, s7, v18, v97
	v_or3_b32 v11, v69, v14, v11
	v_or3_b32 v10, v10, v13, v66
	;; [unrolled: 1-line block ×4, first 2 shown]
	v_sub_nc_u32_e32 v65, v65, v83
	v_add_co_ci_u32_e64 v19, s7, v19, v98, s7
	v_add_co_u32 v20, s7, v20, v97
	s_delay_alu instid0(VALU_DEP_1) | instskip(SKIP_3) | instid1(VALU_DEP_1)
	v_add_co_ci_u32_e64 v21, s7, v21, v98, s7
	global_store_b128 v[22:23], v[10:13], off glc slc dlc
	v_cmp_gt_i32_e64 s7, 16, v65
	v_add_co_u32 v22, s10, v22, v97
	v_add_co_ci_u32_e64 v23, s10, v23, v98, s10
	v_sub_nc_u32_e32 v64, v64, v70
	s_delay_alu instid0(VALU_DEP_4) | instskip(NEXT) | instid1(SALU_CYCLE_1)
	s_or_b32 s23, s7, s23
	s_and_not1_b32 exec_lo, exec_lo, s23
	s_cbranch_execz .LBB4_3063
.LBB4_2681:                             ;   Parent Loop BB4_1821 Depth=1
                                        ; =>  This Inner Loop Header: Depth=2
	global_load_b128 v[14:17], v[18:19], off slc dlc
	global_load_b128 v[10:13], v[20:21], off slc dlc
	s_mov_b32 s10, 0
	s_mov_b32 s25, exec_lo
                                        ; implicit-def: $sgpr24
	s_waitcnt vmcnt(1)
	v_and_b32_e32 v67, 0xff, v14
	s_delay_alu instid0(VALU_DEP_1)
	v_cmpx_lt_i16_e32 0x7f, v67
	s_xor_b32 s25, exec_lo, s25
	s_cbranch_execnz .LBB4_2935
; %bb.2682:                             ;   in Loop: Header=BB4_2681 Depth=2
	s_or_saveexec_b32 s25, s25
	v_mov_b32_e32 v66, s24
	s_xor_b32 exec_lo, exec_lo, s25
	s_cbranch_execnz .LBB4_2938
.LBB4_2683:                             ;   in Loop: Header=BB4_2681 Depth=2
	s_or_b32 exec_lo, exec_lo, s25
	s_and_saveexec_b32 s24, s10
	s_cbranch_execz .LBB4_2685
.LBB4_2684:                             ;   in Loop: Header=BB4_2681 Depth=2
	v_and_b32_e32 v66, 3, v14
	v_bfe_u32 v69, v14, 2, 5
	v_lshlrev_b32_e32 v101, 24, v14
	s_delay_alu instid0(VALU_DEP_3) | instskip(NEXT) | instid1(VALU_DEP_3)
	v_clz_i32_u32_e32 v67, v66
	v_cmp_eq_u32_e64 s7, 0, v69
	s_delay_alu instid0(VALU_DEP_2) | instskip(NEXT) | instid1(VALU_DEP_1)
	v_min_u32_e32 v67, 32, v67
	v_subrev_nc_u32_e32 v68, 29, v67
	v_sub_nc_u32_e32 v67, 30, v67
	s_delay_alu instid0(VALU_DEP_2) | instskip(NEXT) | instid1(VALU_DEP_2)
	v_lshlrev_b32_e32 v68, v68, v14
	v_cndmask_b32_e64 v67, v69, v67, s7
	s_delay_alu instid0(VALU_DEP_2) | instskip(NEXT) | instid1(VALU_DEP_2)
	v_and_b32_e32 v68, 3, v68
	v_lshl_add_u32 v67, v67, 23, 0x37800000
	s_delay_alu instid0(VALU_DEP_2) | instskip(SKIP_1) | instid1(VALU_DEP_2)
	v_cndmask_b32_e64 v66, v66, v68, s7
	v_and_b32_e32 v68, 0x80000000, v101
	v_lshlrev_b32_e32 v66, 21, v66
	s_delay_alu instid0(VALU_DEP_1)
	v_or3_b32 v66, v68, v67, v66
.LBB4_2685:                             ;   in Loop: Header=BB4_2681 Depth=2
	s_or_b32 exec_lo, exec_lo, s24
	s_waitcnt vmcnt(0)
	v_and_b32_e32 v68, 0xff, v10
	s_mov_b32 s10, 0
	s_mov_b32 s25, exec_lo
                                        ; implicit-def: $sgpr24
	s_delay_alu instid0(VALU_DEP_1)
	v_cmpx_lt_i16_e32 0x7f, v68
	s_xor_b32 s25, exec_lo, s25
	s_cbranch_execnz .LBB4_2939
; %bb.2686:                             ;   in Loop: Header=BB4_2681 Depth=2
	s_or_saveexec_b32 s25, s25
	v_mov_b32_e32 v67, s24
	s_xor_b32 exec_lo, exec_lo, s25
	s_cbranch_execnz .LBB4_2942
.LBB4_2687:                             ;   in Loop: Header=BB4_2681 Depth=2
	s_or_b32 exec_lo, exec_lo, s25
	s_and_saveexec_b32 s24, s10
	s_cbranch_execz .LBB4_2689
.LBB4_2688:                             ;   in Loop: Header=BB4_2681 Depth=2
	v_and_b32_e32 v67, 3, v10
	v_bfe_u32 v101, v10, 2, 5
	v_lshlrev_b32_e32 v102, 24, v10
	s_delay_alu instid0(VALU_DEP_3) | instskip(NEXT) | instid1(VALU_DEP_3)
	v_clz_i32_u32_e32 v68, v67
	v_cmp_eq_u32_e64 s7, 0, v101
	s_delay_alu instid0(VALU_DEP_2) | instskip(NEXT) | instid1(VALU_DEP_1)
	v_min_u32_e32 v68, 32, v68
	v_subrev_nc_u32_e32 v69, 29, v68
	v_sub_nc_u32_e32 v68, 30, v68
	s_delay_alu instid0(VALU_DEP_2) | instskip(NEXT) | instid1(VALU_DEP_2)
	v_lshlrev_b32_e32 v69, v69, v10
	v_cndmask_b32_e64 v68, v101, v68, s7
	s_delay_alu instid0(VALU_DEP_2) | instskip(NEXT) | instid1(VALU_DEP_2)
	v_and_b32_e32 v69, 3, v69
	v_lshl_add_u32 v68, v68, 23, 0x37800000
	s_delay_alu instid0(VALU_DEP_2) | instskip(SKIP_1) | instid1(VALU_DEP_2)
	v_cndmask_b32_e64 v67, v67, v69, s7
	v_and_b32_e32 v69, 0x80000000, v102
	v_lshlrev_b32_e32 v67, 21, v67
	s_delay_alu instid0(VALU_DEP_1)
	v_or3_b32 v67, v69, v68, v67
.LBB4_2689:                             ;   in Loop: Header=BB4_2681 Depth=2
	s_or_b32 exec_lo, exec_lo, s24
	s_delay_alu instid0(VALU_DEP_1) | instskip(NEXT) | instid1(VALU_DEP_1)
	v_mul_f32_e32 v67, v66, v67
	v_and_b32_e32 v66, 0x7f800000, v67
	s_delay_alu instid0(VALU_DEP_1) | instskip(SKIP_1) | instid1(VALU_DEP_2)
	v_cmp_ne_u32_e64 s7, 0x7f800000, v66
	v_mov_b32_e32 v66, 0x80
	s_and_saveexec_b32 s24, s7
	s_cbranch_execz .LBB4_2697
; %bb.2690:                             ;   in Loop: Header=BB4_2681 Depth=2
	v_mov_b32_e32 v66, 0
	s_mov_b32 s25, exec_lo
	v_cmpx_ne_u32_e32 0, v67
	s_cbranch_execz .LBB4_2696
; %bb.2691:                             ;   in Loop: Header=BB4_2681 Depth=2
	v_bfe_u32 v66, v67, 23, 8
	v_and_b32_e32 v68, 0x7fffff, v67
	s_delay_alu instid0(VALU_DEP_2) | instskip(SKIP_1) | instid1(VALU_DEP_3)
	v_sub_nc_u32_e32 v69, 0x70, v66
	v_cmp_gt_u32_e64 s7, 0x71, v66
	v_or_b32_e32 v101, 0x800000, v68
	s_delay_alu instid0(VALU_DEP_2) | instskip(SKIP_2) | instid1(VALU_DEP_2)
	v_cndmask_b32_e64 v69, 0, v69, s7
	v_cmp_eq_u32_e64 s7, 0, v66
	v_add_nc_u32_e32 v66, 0xffffff91, v66
	v_cndmask_b32_e64 v69, v69, 0x6f, s7
	v_cndmask_b32_e64 v68, v101, v68, s7
	s_delay_alu instid0(VALU_DEP_3) | instskip(NEXT) | instid1(VALU_DEP_3)
	v_cndmask_b32_e64 v66, v66, 0xffffff92, s7
	v_lshl_add_u32 v101, 0x200000, v69, -1
	s_delay_alu instid0(VALU_DEP_3) | instskip(SKIP_1) | instid1(VALU_DEP_4)
	v_lshrrev_b32_e32 v102, v69, v68
	v_lshlrev_b32_e64 v112, v69, 0x100000
	v_add_nc_u32_e32 v69, v69, v66
	s_delay_alu instid0(VALU_DEP_4) | instskip(NEXT) | instid1(VALU_DEP_4)
	v_and_b32_e32 v68, v101, v68
	v_bfe_u32 v103, v102, 21, 1
	s_delay_alu instid0(VALU_DEP_2) | instskip(NEXT) | instid1(VALU_DEP_2)
	v_cmp_eq_u32_e64 s10, v68, v112
	v_add_nc_u32_e32 v101, -1, v103
	s_delay_alu instid0(VALU_DEP_1) | instskip(SKIP_2) | instid1(VALU_DEP_2)
	v_cndmask_b32_e64 v68, 0, v101, s10
	v_lshrrev_b32_e32 v101, 23, v102
	s_mov_b32 s10, exec_lo
	v_add_nc_u32_e32 v68, v68, v102
	s_delay_alu instid0(VALU_DEP_2) | instskip(NEXT) | instid1(VALU_DEP_2)
	v_xor_b32_e32 v101, 1, v101
	v_and_b32_e32 v66, 0x1fffff, v68
	s_delay_alu instid0(VALU_DEP_1) | instskip(NEXT) | instid1(VALU_DEP_3)
	v_add_nc_u32_e32 v68, v66, v102
                                        ; implicit-def: $vgpr66
	v_cmpx_ne_u32_e64 v69, v101
	s_xor_b32 s10, exec_lo, s10
; %bb.2692:                             ;   in Loop: Header=BB4_2681 Depth=2
	s_delay_alu instid0(VALU_DEP_2) | instskip(SKIP_1) | instid1(VALU_DEP_2)
	v_cmp_lt_u32_e64 s7, 0xffffff, v68
	v_sub_nc_u32_e32 v66, v69, v101
	v_cndmask_b32_e64 v69, 0, 1, s7
	s_delay_alu instid0(VALU_DEP_2) | instskip(NEXT) | instid1(VALU_DEP_2)
	v_add_co_ci_u32_e64 v66, s7, 0, v66, s7
	v_lshrrev_b32_e32 v68, v69, v68
; %bb.2693:                             ;   in Loop: Header=BB4_2681 Depth=2
	s_and_not1_saveexec_b32 s7, s10
; %bb.2694:                             ;   in Loop: Header=BB4_2681 Depth=2
	s_delay_alu instid0(VALU_DEP_1)
	v_bfe_u32 v66, v68, 23, 1
; %bb.2695:                             ;   in Loop: Header=BB4_2681 Depth=2
	s_or_b32 exec_lo, exec_lo, s7
	v_lshrrev_b32_e32 v68, 21, v68
	s_delay_alu instid0(VALU_DEP_2) | instskip(SKIP_2) | instid1(VALU_DEP_3)
	v_cmp_gt_i32_e64 s7, 32, v66
	v_lshrrev_b32_e32 v67, 24, v67
	v_min_i32_e32 v69, 31, v66
	v_cndmask_b32_e64 v68, 3, v68, s7
	s_delay_alu instid0(VALU_DEP_3) | instskip(NEXT) | instid1(VALU_DEP_3)
	v_and_b32_e32 v67, 0x80, v67
	v_lshlrev_b32_e32 v69, 2, v69
	s_delay_alu instid0(VALU_DEP_3) | instskip(SKIP_1) | instid1(VALU_DEP_2)
	v_and_b32_e32 v101, 3, v68
	v_or_b32_e32 v66, v66, v68
	v_or3_b32 v67, v69, v67, v101
	s_delay_alu instid0(VALU_DEP_2) | instskip(NEXT) | instid1(VALU_DEP_1)
	v_cmp_ne_u32_e64 s7, 0, v66
	v_cndmask_b32_e64 v66, 0, v67, s7
.LBB4_2696:                             ;   in Loop: Header=BB4_2681 Depth=2
	s_or_b32 exec_lo, exec_lo, s25
.LBB4_2697:                             ;   in Loop: Header=BB4_2681 Depth=2
	s_delay_alu instid0(SALU_CYCLE_1) | instskip(SKIP_3) | instid1(VALU_DEP_1)
	s_or_b32 exec_lo, exec_lo, s24
	v_lshrrev_b16 v68, 8, v14
	s_mov_b32 s10, 0
	s_mov_b32 s25, exec_lo
                                        ; implicit-def: $sgpr24
	v_cmpx_lt_i16_e32 0x7f, v68
	s_xor_b32 s25, exec_lo, s25
	s_cbranch_execnz .LBB4_2943
; %bb.2698:                             ;   in Loop: Header=BB4_2681 Depth=2
	s_or_saveexec_b32 s25, s25
	v_mov_b32_e32 v67, s24
	s_xor_b32 exec_lo, exec_lo, s25
	s_cbranch_execnz .LBB4_2946
.LBB4_2699:                             ;   in Loop: Header=BB4_2681 Depth=2
	s_or_b32 exec_lo, exec_lo, s25
	s_and_saveexec_b32 s24, s10
	s_cbranch_execz .LBB4_2701
.LBB4_2700:                             ;   in Loop: Header=BB4_2681 Depth=2
	v_and_b32_e32 v67, 0xffff, v68
	v_lshlrev_b32_e32 v68, 24, v68
	s_delay_alu instid0(VALU_DEP_2) | instskip(NEXT) | instid1(VALU_DEP_2)
	v_and_b32_e32 v69, 3, v67
	v_and_b32_e32 v68, 0x80000000, v68
	s_delay_alu instid0(VALU_DEP_2) | instskip(NEXT) | instid1(VALU_DEP_1)
	v_clz_i32_u32_e32 v101, v69
	v_min_u32_e32 v101, 32, v101
	s_delay_alu instid0(VALU_DEP_1) | instskip(SKIP_1) | instid1(VALU_DEP_2)
	v_subrev_nc_u32_e32 v102, 29, v101
	v_sub_nc_u32_e32 v101, 30, v101
	v_lshlrev_b32_e32 v102, v102, v67
	v_bfe_u32 v67, v67, 2, 5
	s_delay_alu instid0(VALU_DEP_2) | instskip(NEXT) | instid1(VALU_DEP_2)
	v_and_b32_e32 v102, 3, v102
	v_cmp_eq_u32_e64 s7, 0, v67
	s_delay_alu instid0(VALU_DEP_1) | instskip(NEXT) | instid1(VALU_DEP_3)
	v_cndmask_b32_e64 v67, v67, v101, s7
	v_cndmask_b32_e64 v69, v69, v102, s7
	s_delay_alu instid0(VALU_DEP_2) | instskip(NEXT) | instid1(VALU_DEP_2)
	v_lshl_add_u32 v67, v67, 23, 0x37800000
	v_lshlrev_b32_e32 v69, 21, v69
	s_delay_alu instid0(VALU_DEP_1)
	v_or3_b32 v67, v68, v67, v69
.LBB4_2701:                             ;   in Loop: Header=BB4_2681 Depth=2
	s_or_b32 exec_lo, exec_lo, s24
	v_lshrrev_b16 v68, 8, v10
	s_mov_b32 s10, 0
	s_mov_b32 s25, exec_lo
                                        ; implicit-def: $sgpr24
	s_delay_alu instid0(VALU_DEP_1)
	v_cmpx_lt_i16_e32 0x7f, v68
	s_xor_b32 s25, exec_lo, s25
	s_cbranch_execnz .LBB4_2947
; %bb.2702:                             ;   in Loop: Header=BB4_2681 Depth=2
	s_or_saveexec_b32 s25, s25
	v_mov_b32_e32 v69, s24
	s_xor_b32 exec_lo, exec_lo, s25
	s_cbranch_execnz .LBB4_2950
.LBB4_2703:                             ;   in Loop: Header=BB4_2681 Depth=2
	s_or_b32 exec_lo, exec_lo, s25
	s_and_saveexec_b32 s24, s10
	s_cbranch_execz .LBB4_2705
.LBB4_2704:                             ;   in Loop: Header=BB4_2681 Depth=2
	v_and_b32_e32 v69, 0xffff, v68
	v_lshlrev_b32_e32 v68, 24, v68
	s_delay_alu instid0(VALU_DEP_2) | instskip(NEXT) | instid1(VALU_DEP_2)
	v_and_b32_e32 v101, 3, v69
	v_and_b32_e32 v68, 0x80000000, v68
	s_delay_alu instid0(VALU_DEP_2) | instskip(NEXT) | instid1(VALU_DEP_1)
	v_clz_i32_u32_e32 v102, v101
	v_min_u32_e32 v102, 32, v102
	s_delay_alu instid0(VALU_DEP_1) | instskip(SKIP_1) | instid1(VALU_DEP_2)
	v_subrev_nc_u32_e32 v103, 29, v102
	v_sub_nc_u32_e32 v102, 30, v102
	v_lshlrev_b32_e32 v103, v103, v69
	v_bfe_u32 v69, v69, 2, 5
	s_delay_alu instid0(VALU_DEP_2) | instskip(NEXT) | instid1(VALU_DEP_2)
	v_and_b32_e32 v103, 3, v103
	v_cmp_eq_u32_e64 s7, 0, v69
	s_delay_alu instid0(VALU_DEP_1) | instskip(NEXT) | instid1(VALU_DEP_3)
	v_cndmask_b32_e64 v69, v69, v102, s7
	v_cndmask_b32_e64 v101, v101, v103, s7
	s_delay_alu instid0(VALU_DEP_2) | instskip(NEXT) | instid1(VALU_DEP_2)
	v_lshl_add_u32 v69, v69, 23, 0x37800000
	v_lshlrev_b32_e32 v101, 21, v101
	s_delay_alu instid0(VALU_DEP_1)
	v_or3_b32 v69, v68, v69, v101
.LBB4_2705:                             ;   in Loop: Header=BB4_2681 Depth=2
	s_or_b32 exec_lo, exec_lo, s24
	s_delay_alu instid0(VALU_DEP_1) | instskip(NEXT) | instid1(VALU_DEP_1)
	v_mul_f32_e32 v68, v67, v69
	v_and_b32_e32 v67, 0x7f800000, v68
	s_delay_alu instid0(VALU_DEP_1) | instskip(SKIP_1) | instid1(VALU_DEP_2)
	v_cmp_ne_u32_e64 s7, 0x7f800000, v67
	v_mov_b32_e32 v67, 0x80
	s_and_saveexec_b32 s24, s7
	s_cbranch_execz .LBB4_2713
; %bb.2706:                             ;   in Loop: Header=BB4_2681 Depth=2
	v_mov_b32_e32 v67, 0
	s_mov_b32 s25, exec_lo
	v_cmpx_ne_u32_e32 0, v68
	s_cbranch_execz .LBB4_2712
; %bb.2707:                             ;   in Loop: Header=BB4_2681 Depth=2
	v_bfe_u32 v67, v68, 23, 8
	v_and_b32_e32 v69, 0x7fffff, v68
	s_delay_alu instid0(VALU_DEP_2) | instskip(SKIP_1) | instid1(VALU_DEP_3)
	v_sub_nc_u32_e32 v101, 0x70, v67
	v_cmp_gt_u32_e64 s7, 0x71, v67
	v_or_b32_e32 v102, 0x800000, v69
	s_delay_alu instid0(VALU_DEP_2) | instskip(SKIP_2) | instid1(VALU_DEP_2)
	v_cndmask_b32_e64 v101, 0, v101, s7
	v_cmp_eq_u32_e64 s7, 0, v67
	v_add_nc_u32_e32 v67, 0xffffff91, v67
	v_cndmask_b32_e64 v101, v101, 0x6f, s7
	v_cndmask_b32_e64 v69, v102, v69, s7
	s_delay_alu instid0(VALU_DEP_3) | instskip(NEXT) | instid1(VALU_DEP_3)
	v_cndmask_b32_e64 v67, v67, 0xffffff92, s7
	v_lshl_add_u32 v102, 0x200000, v101, -1
	s_delay_alu instid0(VALU_DEP_3) | instskip(SKIP_1) | instid1(VALU_DEP_4)
	v_lshrrev_b32_e32 v103, v101, v69
	v_lshlrev_b32_e64 v113, v101, 0x100000
	v_add_nc_u32_e32 v101, v101, v67
	s_delay_alu instid0(VALU_DEP_4) | instskip(NEXT) | instid1(VALU_DEP_4)
	v_and_b32_e32 v69, v102, v69
	v_bfe_u32 v112, v103, 21, 1
	s_delay_alu instid0(VALU_DEP_2) | instskip(NEXT) | instid1(VALU_DEP_2)
	v_cmp_eq_u32_e64 s10, v69, v113
	v_add_nc_u32_e32 v102, -1, v112
	s_delay_alu instid0(VALU_DEP_1) | instskip(SKIP_2) | instid1(VALU_DEP_2)
	v_cndmask_b32_e64 v69, 0, v102, s10
	v_lshrrev_b32_e32 v102, 23, v103
	s_mov_b32 s10, exec_lo
	v_add_nc_u32_e32 v69, v69, v103
	s_delay_alu instid0(VALU_DEP_2) | instskip(NEXT) | instid1(VALU_DEP_2)
	v_xor_b32_e32 v102, 1, v102
	v_and_b32_e32 v67, 0x1fffff, v69
	s_delay_alu instid0(VALU_DEP_1) | instskip(NEXT) | instid1(VALU_DEP_3)
	v_add_nc_u32_e32 v69, v67, v103
                                        ; implicit-def: $vgpr67
	v_cmpx_ne_u32_e64 v101, v102
	s_xor_b32 s10, exec_lo, s10
; %bb.2708:                             ;   in Loop: Header=BB4_2681 Depth=2
	s_delay_alu instid0(VALU_DEP_2) | instskip(SKIP_1) | instid1(VALU_DEP_2)
	v_cmp_lt_u32_e64 s7, 0xffffff, v69
	v_sub_nc_u32_e32 v67, v101, v102
	v_cndmask_b32_e64 v101, 0, 1, s7
	s_delay_alu instid0(VALU_DEP_2) | instskip(NEXT) | instid1(VALU_DEP_2)
	v_add_co_ci_u32_e64 v67, s7, 0, v67, s7
	v_lshrrev_b32_e32 v69, v101, v69
; %bb.2709:                             ;   in Loop: Header=BB4_2681 Depth=2
	s_and_not1_saveexec_b32 s7, s10
; %bb.2710:                             ;   in Loop: Header=BB4_2681 Depth=2
	s_delay_alu instid0(VALU_DEP_1)
	v_bfe_u32 v67, v69, 23, 1
; %bb.2711:                             ;   in Loop: Header=BB4_2681 Depth=2
	s_or_b32 exec_lo, exec_lo, s7
	v_lshrrev_b32_e32 v69, 21, v69
	s_delay_alu instid0(VALU_DEP_2) | instskip(SKIP_2) | instid1(VALU_DEP_3)
	v_cmp_gt_i32_e64 s7, 32, v67
	v_lshrrev_b32_e32 v68, 24, v68
	v_min_i32_e32 v101, 31, v67
	v_cndmask_b32_e64 v69, 3, v69, s7
	s_delay_alu instid0(VALU_DEP_3) | instskip(NEXT) | instid1(VALU_DEP_3)
	v_and_b32_e32 v68, 0x80, v68
	v_lshlrev_b32_e32 v101, 2, v101
	s_delay_alu instid0(VALU_DEP_3) | instskip(SKIP_1) | instid1(VALU_DEP_2)
	v_and_b32_e32 v102, 3, v69
	v_or_b32_e32 v67, v67, v69
	v_or3_b32 v68, v101, v68, v102
	s_delay_alu instid0(VALU_DEP_2) | instskip(NEXT) | instid1(VALU_DEP_1)
	v_cmp_ne_u32_e64 s7, 0, v67
	v_cndmask_b32_e64 v67, 0, v68, s7
.LBB4_2712:                             ;   in Loop: Header=BB4_2681 Depth=2
	s_or_b32 exec_lo, exec_lo, s25
.LBB4_2713:                             ;   in Loop: Header=BB4_2681 Depth=2
	s_delay_alu instid0(SALU_CYCLE_1) | instskip(SKIP_3) | instid1(VALU_DEP_1)
	s_or_b32 exec_lo, exec_lo, s24
	v_lshrrev_b32_e32 v69, 16, v14
	s_mov_b32 s10, 0
	s_mov_b32 s25, exec_lo
                                        ; implicit-def: $sgpr24
	v_and_b32_e32 v101, 0xff, v69
	s_delay_alu instid0(VALU_DEP_1)
	v_cmpx_lt_i16_e32 0x7f, v101
	s_xor_b32 s25, exec_lo, s25
	s_cbranch_execnz .LBB4_2951
; %bb.2714:                             ;   in Loop: Header=BB4_2681 Depth=2
	s_or_saveexec_b32 s25, s25
	v_mov_b32_e32 v68, s24
	s_xor_b32 exec_lo, exec_lo, s25
	s_cbranch_execnz .LBB4_2954
.LBB4_2715:                             ;   in Loop: Header=BB4_2681 Depth=2
	s_or_b32 exec_lo, exec_lo, s25
	s_and_saveexec_b32 s24, s10
	s_cbranch_execz .LBB4_2717
.LBB4_2716:                             ;   in Loop: Header=BB4_2681 Depth=2
	v_bfe_u32 v68, v14, 16, 2
	v_lshlrev_b32_e32 v103, 8, v14
	s_delay_alu instid0(VALU_DEP_2) | instskip(NEXT) | instid1(VALU_DEP_1)
	v_clz_i32_u32_e32 v101, v68
	v_min_u32_e32 v101, 32, v101
	s_delay_alu instid0(VALU_DEP_1) | instskip(SKIP_1) | instid1(VALU_DEP_2)
	v_subrev_nc_u32_e32 v102, 29, v101
	v_sub_nc_u32_e32 v101, 30, v101
	v_lshlrev_b32_e32 v69, v102, v69
	v_bfe_u32 v102, v14, 18, 5
	s_delay_alu instid0(VALU_DEP_2) | instskip(NEXT) | instid1(VALU_DEP_2)
	v_and_b32_e32 v69, 3, v69
	v_cmp_eq_u32_e64 s7, 0, v102
	s_delay_alu instid0(VALU_DEP_1) | instskip(NEXT) | instid1(VALU_DEP_3)
	v_cndmask_b32_e64 v101, v102, v101, s7
	v_cndmask_b32_e64 v68, v68, v69, s7
	v_and_b32_e32 v69, 0x80000000, v103
	s_delay_alu instid0(VALU_DEP_3) | instskip(NEXT) | instid1(VALU_DEP_3)
	v_lshl_add_u32 v101, v101, 23, 0x37800000
	v_lshlrev_b32_e32 v68, 21, v68
	s_delay_alu instid0(VALU_DEP_1)
	v_or3_b32 v68, v69, v101, v68
.LBB4_2717:                             ;   in Loop: Header=BB4_2681 Depth=2
	s_or_b32 exec_lo, exec_lo, s24
	v_lshrrev_b32_e32 v69, 16, v10
	s_mov_b32 s10, 0
	s_mov_b32 s25, exec_lo
                                        ; implicit-def: $sgpr24
	s_delay_alu instid0(VALU_DEP_1) | instskip(NEXT) | instid1(VALU_DEP_1)
	v_and_b32_e32 v102, 0xff, v69
	v_cmpx_lt_i16_e32 0x7f, v102
	s_xor_b32 s25, exec_lo, s25
	s_cbranch_execnz .LBB4_2955
; %bb.2718:                             ;   in Loop: Header=BB4_2681 Depth=2
	s_or_saveexec_b32 s25, s25
	v_mov_b32_e32 v101, s24
	s_xor_b32 exec_lo, exec_lo, s25
	s_cbranch_execnz .LBB4_2958
.LBB4_2719:                             ;   in Loop: Header=BB4_2681 Depth=2
	s_or_b32 exec_lo, exec_lo, s25
	s_and_saveexec_b32 s24, s10
	s_cbranch_execz .LBB4_2721
.LBB4_2720:                             ;   in Loop: Header=BB4_2681 Depth=2
	v_bfe_u32 v101, v10, 16, 2
	v_lshlrev_b32_e32 v112, 8, v10
	s_delay_alu instid0(VALU_DEP_2) | instskip(NEXT) | instid1(VALU_DEP_1)
	v_clz_i32_u32_e32 v102, v101
	v_min_u32_e32 v102, 32, v102
	s_delay_alu instid0(VALU_DEP_1) | instskip(SKIP_1) | instid1(VALU_DEP_2)
	v_subrev_nc_u32_e32 v103, 29, v102
	v_sub_nc_u32_e32 v102, 30, v102
	v_lshlrev_b32_e32 v69, v103, v69
	v_bfe_u32 v103, v10, 18, 5
	s_delay_alu instid0(VALU_DEP_2) | instskip(NEXT) | instid1(VALU_DEP_2)
	v_and_b32_e32 v69, 3, v69
	v_cmp_eq_u32_e64 s7, 0, v103
	s_delay_alu instid0(VALU_DEP_1) | instskip(NEXT) | instid1(VALU_DEP_3)
	v_cndmask_b32_e64 v102, v103, v102, s7
	v_cndmask_b32_e64 v69, v101, v69, s7
	v_and_b32_e32 v101, 0x80000000, v112
	s_delay_alu instid0(VALU_DEP_3) | instskip(NEXT) | instid1(VALU_DEP_3)
	v_lshl_add_u32 v102, v102, 23, 0x37800000
	v_lshlrev_b32_e32 v69, 21, v69
	s_delay_alu instid0(VALU_DEP_1)
	v_or3_b32 v101, v101, v102, v69
.LBB4_2721:                             ;   in Loop: Header=BB4_2681 Depth=2
	s_or_b32 exec_lo, exec_lo, s24
	s_delay_alu instid0(VALU_DEP_1) | instskip(NEXT) | instid1(VALU_DEP_1)
	v_mul_f32_e32 v69, v68, v101
	v_and_b32_e32 v68, 0x7f800000, v69
	s_delay_alu instid0(VALU_DEP_1) | instskip(SKIP_1) | instid1(VALU_DEP_2)
	v_cmp_ne_u32_e64 s7, 0x7f800000, v68
	v_mov_b32_e32 v68, 0x80
	s_and_saveexec_b32 s24, s7
	s_cbranch_execz .LBB4_2729
; %bb.2722:                             ;   in Loop: Header=BB4_2681 Depth=2
	v_mov_b32_e32 v68, 0
	s_mov_b32 s25, exec_lo
	v_cmpx_ne_u32_e32 0, v69
	s_cbranch_execz .LBB4_2728
; %bb.2723:                             ;   in Loop: Header=BB4_2681 Depth=2
	v_bfe_u32 v68, v69, 23, 8
	v_and_b32_e32 v101, 0x7fffff, v69
	s_delay_alu instid0(VALU_DEP_2) | instskip(SKIP_1) | instid1(VALU_DEP_3)
	v_sub_nc_u32_e32 v102, 0x70, v68
	v_cmp_gt_u32_e64 s7, 0x71, v68
	v_or_b32_e32 v103, 0x800000, v101
	s_delay_alu instid0(VALU_DEP_2) | instskip(SKIP_2) | instid1(VALU_DEP_2)
	v_cndmask_b32_e64 v102, 0, v102, s7
	v_cmp_eq_u32_e64 s7, 0, v68
	v_add_nc_u32_e32 v68, 0xffffff91, v68
	v_cndmask_b32_e64 v102, v102, 0x6f, s7
	v_cndmask_b32_e64 v101, v103, v101, s7
	s_delay_alu instid0(VALU_DEP_3) | instskip(NEXT) | instid1(VALU_DEP_3)
	v_cndmask_b32_e64 v68, v68, 0xffffff92, s7
	v_lshl_add_u32 v103, 0x200000, v102, -1
	s_delay_alu instid0(VALU_DEP_3) | instskip(SKIP_1) | instid1(VALU_DEP_4)
	v_lshrrev_b32_e32 v112, v102, v101
	v_lshlrev_b32_e64 v114, v102, 0x100000
	v_add_nc_u32_e32 v102, v102, v68
	s_delay_alu instid0(VALU_DEP_4) | instskip(NEXT) | instid1(VALU_DEP_4)
	v_and_b32_e32 v101, v103, v101
	v_bfe_u32 v113, v112, 21, 1
	s_delay_alu instid0(VALU_DEP_2) | instskip(NEXT) | instid1(VALU_DEP_2)
	v_cmp_eq_u32_e64 s10, v101, v114
	v_add_nc_u32_e32 v103, -1, v113
	s_delay_alu instid0(VALU_DEP_1) | instskip(SKIP_2) | instid1(VALU_DEP_2)
	v_cndmask_b32_e64 v101, 0, v103, s10
	v_lshrrev_b32_e32 v103, 23, v112
	s_mov_b32 s10, exec_lo
	v_add_nc_u32_e32 v101, v101, v112
	s_delay_alu instid0(VALU_DEP_2) | instskip(NEXT) | instid1(VALU_DEP_2)
	v_xor_b32_e32 v103, 1, v103
	v_and_b32_e32 v68, 0x1fffff, v101
	s_delay_alu instid0(VALU_DEP_1) | instskip(NEXT) | instid1(VALU_DEP_3)
	v_add_nc_u32_e32 v101, v68, v112
                                        ; implicit-def: $vgpr68
	v_cmpx_ne_u32_e64 v102, v103
	s_xor_b32 s10, exec_lo, s10
; %bb.2724:                             ;   in Loop: Header=BB4_2681 Depth=2
	s_delay_alu instid0(VALU_DEP_2) | instskip(SKIP_1) | instid1(VALU_DEP_2)
	v_cmp_lt_u32_e64 s7, 0xffffff, v101
	v_sub_nc_u32_e32 v68, v102, v103
	v_cndmask_b32_e64 v102, 0, 1, s7
	s_delay_alu instid0(VALU_DEP_2) | instskip(NEXT) | instid1(VALU_DEP_2)
	v_add_co_ci_u32_e64 v68, s7, 0, v68, s7
	v_lshrrev_b32_e32 v101, v102, v101
; %bb.2725:                             ;   in Loop: Header=BB4_2681 Depth=2
	s_and_not1_saveexec_b32 s7, s10
; %bb.2726:                             ;   in Loop: Header=BB4_2681 Depth=2
	s_delay_alu instid0(VALU_DEP_1)
	v_bfe_u32 v68, v101, 23, 1
; %bb.2727:                             ;   in Loop: Header=BB4_2681 Depth=2
	s_or_b32 exec_lo, exec_lo, s7
	v_lshrrev_b32_e32 v101, 21, v101
	s_delay_alu instid0(VALU_DEP_2) | instskip(SKIP_2) | instid1(VALU_DEP_3)
	v_cmp_gt_i32_e64 s7, 32, v68
	v_lshrrev_b32_e32 v69, 24, v69
	v_min_i32_e32 v102, 31, v68
	v_cndmask_b32_e64 v101, 3, v101, s7
	s_delay_alu instid0(VALU_DEP_3) | instskip(NEXT) | instid1(VALU_DEP_3)
	v_and_b32_e32 v69, 0x80, v69
	v_lshlrev_b32_e32 v102, 2, v102
	s_delay_alu instid0(VALU_DEP_3) | instskip(SKIP_1) | instid1(VALU_DEP_2)
	v_and_b32_e32 v103, 3, v101
	v_or_b32_e32 v68, v68, v101
	v_or3_b32 v69, v102, v69, v103
	s_delay_alu instid0(VALU_DEP_2) | instskip(NEXT) | instid1(VALU_DEP_1)
	v_cmp_ne_u32_e64 s7, 0, v68
	v_cndmask_b32_e64 v68, 0, v69, s7
.LBB4_2728:                             ;   in Loop: Header=BB4_2681 Depth=2
	s_or_b32 exec_lo, exec_lo, s25
.LBB4_2729:                             ;   in Loop: Header=BB4_2681 Depth=2
	s_delay_alu instid0(SALU_CYCLE_1) | instskip(SKIP_3) | instid1(VALU_DEP_1)
	s_or_b32 exec_lo, exec_lo, s24
	v_lshrrev_b32_e32 v101, 24, v14
	s_mov_b32 s10, 0
	s_mov_b32 s25, exec_lo
                                        ; implicit-def: $sgpr24
	v_cmpx_lt_i16_e32 0x7f, v101
	s_xor_b32 s25, exec_lo, s25
	s_cbranch_execnz .LBB4_2959
; %bb.2730:                             ;   in Loop: Header=BB4_2681 Depth=2
	s_or_saveexec_b32 s25, s25
	v_mov_b32_e32 v69, s24
	s_xor_b32 exec_lo, exec_lo, s25
	s_cbranch_execnz .LBB4_2962
.LBB4_2731:                             ;   in Loop: Header=BB4_2681 Depth=2
	s_or_b32 exec_lo, exec_lo, s25
	s_and_saveexec_b32 s24, s10
	s_cbranch_execz .LBB4_2733
.LBB4_2732:                             ;   in Loop: Header=BB4_2681 Depth=2
	v_bfe_u32 v69, v14, 24, 2
	s_delay_alu instid0(VALU_DEP_1) | instskip(NEXT) | instid1(VALU_DEP_1)
	v_clz_i32_u32_e32 v102, v69
	v_min_u32_e32 v102, 32, v102
	s_delay_alu instid0(VALU_DEP_1) | instskip(SKIP_1) | instid1(VALU_DEP_2)
	v_subrev_nc_u32_e32 v103, 29, v102
	v_sub_nc_u32_e32 v102, 30, v102
	v_lshlrev_b32_e32 v101, v103, v101
	v_bfe_u32 v103, v14, 26, 5
	v_and_b32_e32 v14, 0x80000000, v14
	s_delay_alu instid0(VALU_DEP_3) | instskip(NEXT) | instid1(VALU_DEP_3)
	v_and_b32_e32 v101, 3, v101
	v_cmp_eq_u32_e64 s7, 0, v103
	s_delay_alu instid0(VALU_DEP_1) | instskip(NEXT) | instid1(VALU_DEP_3)
	v_cndmask_b32_e64 v102, v103, v102, s7
	v_cndmask_b32_e64 v69, v69, v101, s7
	s_delay_alu instid0(VALU_DEP_2) | instskip(NEXT) | instid1(VALU_DEP_2)
	v_lshl_add_u32 v101, v102, 23, 0x37800000
	v_lshlrev_b32_e32 v69, 21, v69
	s_delay_alu instid0(VALU_DEP_1)
	v_or3_b32 v69, v14, v101, v69
.LBB4_2733:                             ;   in Loop: Header=BB4_2681 Depth=2
	s_or_b32 exec_lo, exec_lo, s24
	v_lshrrev_b32_e32 v14, 24, v10
	s_mov_b32 s10, 0
	s_mov_b32 s25, exec_lo
                                        ; implicit-def: $sgpr24
	s_delay_alu instid0(VALU_DEP_1)
	v_cmpx_lt_i16_e32 0x7f, v14
	s_xor_b32 s25, exec_lo, s25
	s_cbranch_execnz .LBB4_2963
; %bb.2734:                             ;   in Loop: Header=BB4_2681 Depth=2
	s_or_saveexec_b32 s25, s25
	v_mov_b32_e32 v101, s24
	s_xor_b32 exec_lo, exec_lo, s25
	s_cbranch_execnz .LBB4_2966
.LBB4_2735:                             ;   in Loop: Header=BB4_2681 Depth=2
	s_or_b32 exec_lo, exec_lo, s25
	s_and_saveexec_b32 s24, s10
	s_cbranch_execz .LBB4_2737
.LBB4_2736:                             ;   in Loop: Header=BB4_2681 Depth=2
	v_bfe_u32 v101, v10, 24, 2
	s_delay_alu instid0(VALU_DEP_1) | instskip(NEXT) | instid1(VALU_DEP_1)
	v_clz_i32_u32_e32 v102, v101
	v_min_u32_e32 v102, 32, v102
	s_delay_alu instid0(VALU_DEP_1) | instskip(SKIP_1) | instid1(VALU_DEP_2)
	v_subrev_nc_u32_e32 v103, 29, v102
	v_sub_nc_u32_e32 v102, 30, v102
	v_lshlrev_b32_e32 v14, v103, v14
	v_bfe_u32 v103, v10, 26, 5
	v_and_b32_e32 v10, 0x80000000, v10
	s_delay_alu instid0(VALU_DEP_3) | instskip(NEXT) | instid1(VALU_DEP_3)
	v_and_b32_e32 v14, 3, v14
	v_cmp_eq_u32_e64 s7, 0, v103
	s_delay_alu instid0(VALU_DEP_1) | instskip(NEXT) | instid1(VALU_DEP_3)
	v_cndmask_b32_e64 v102, v103, v102, s7
	v_cndmask_b32_e64 v14, v101, v14, s7
	s_delay_alu instid0(VALU_DEP_2) | instskip(NEXT) | instid1(VALU_DEP_2)
	v_lshl_add_u32 v101, v102, 23, 0x37800000
	v_lshlrev_b32_e32 v14, 21, v14
	s_delay_alu instid0(VALU_DEP_1)
	v_or3_b32 v101, v10, v101, v14
.LBB4_2737:                             ;   in Loop: Header=BB4_2681 Depth=2
	s_or_b32 exec_lo, exec_lo, s24
	s_delay_alu instid0(VALU_DEP_1) | instskip(NEXT) | instid1(VALU_DEP_1)
	v_mul_f32_e32 v14, v69, v101
	v_and_b32_e32 v10, 0x7f800000, v14
	s_delay_alu instid0(VALU_DEP_1) | instskip(SKIP_1) | instid1(VALU_DEP_2)
	v_cmp_ne_u32_e64 s7, 0x7f800000, v10
	v_mov_b32_e32 v10, 0x80
	s_and_saveexec_b32 s24, s7
	s_cbranch_execz .LBB4_2745
; %bb.2738:                             ;   in Loop: Header=BB4_2681 Depth=2
	v_mov_b32_e32 v10, 0
	s_mov_b32 s25, exec_lo
	v_cmpx_ne_u32_e32 0, v14
	s_cbranch_execz .LBB4_2744
; %bb.2739:                             ;   in Loop: Header=BB4_2681 Depth=2
	v_bfe_u32 v10, v14, 23, 8
	v_and_b32_e32 v69, 0x7fffff, v14
	s_delay_alu instid0(VALU_DEP_2) | instskip(SKIP_1) | instid1(VALU_DEP_3)
	v_sub_nc_u32_e32 v101, 0x70, v10
	v_cmp_gt_u32_e64 s7, 0x71, v10
	v_or_b32_e32 v102, 0x800000, v69
	s_delay_alu instid0(VALU_DEP_2) | instskip(SKIP_2) | instid1(VALU_DEP_2)
	v_cndmask_b32_e64 v101, 0, v101, s7
	v_cmp_eq_u32_e64 s7, 0, v10
	v_add_nc_u32_e32 v10, 0xffffff91, v10
	v_cndmask_b32_e64 v101, v101, 0x6f, s7
	v_cndmask_b32_e64 v69, v102, v69, s7
	s_delay_alu instid0(VALU_DEP_3) | instskip(NEXT) | instid1(VALU_DEP_3)
	v_cndmask_b32_e64 v10, v10, 0xffffff92, s7
	v_lshl_add_u32 v102, 0x200000, v101, -1
	s_delay_alu instid0(VALU_DEP_3) | instskip(SKIP_1) | instid1(VALU_DEP_4)
	v_lshrrev_b32_e32 v103, v101, v69
	v_lshlrev_b32_e64 v113, v101, 0x100000
	v_add_nc_u32_e32 v101, v101, v10
	s_delay_alu instid0(VALU_DEP_4) | instskip(NEXT) | instid1(VALU_DEP_4)
	v_and_b32_e32 v69, v102, v69
	v_bfe_u32 v112, v103, 21, 1
	s_delay_alu instid0(VALU_DEP_2) | instskip(NEXT) | instid1(VALU_DEP_2)
	v_cmp_eq_u32_e64 s10, v69, v113
	v_add_nc_u32_e32 v102, -1, v112
	s_delay_alu instid0(VALU_DEP_1) | instskip(SKIP_2) | instid1(VALU_DEP_2)
	v_cndmask_b32_e64 v69, 0, v102, s10
	v_lshrrev_b32_e32 v102, 23, v103
	s_mov_b32 s10, exec_lo
	v_add_nc_u32_e32 v69, v69, v103
	s_delay_alu instid0(VALU_DEP_2) | instskip(NEXT) | instid1(VALU_DEP_2)
	v_xor_b32_e32 v102, 1, v102
	v_and_b32_e32 v10, 0x1fffff, v69
	s_delay_alu instid0(VALU_DEP_1) | instskip(NEXT) | instid1(VALU_DEP_3)
	v_add_nc_u32_e32 v69, v10, v103
                                        ; implicit-def: $vgpr10
	v_cmpx_ne_u32_e64 v101, v102
	s_xor_b32 s10, exec_lo, s10
; %bb.2740:                             ;   in Loop: Header=BB4_2681 Depth=2
	s_delay_alu instid0(VALU_DEP_2) | instskip(SKIP_1) | instid1(VALU_DEP_2)
	v_cmp_lt_u32_e64 s7, 0xffffff, v69
	v_sub_nc_u32_e32 v10, v101, v102
	v_cndmask_b32_e64 v101, 0, 1, s7
	s_delay_alu instid0(VALU_DEP_2) | instskip(NEXT) | instid1(VALU_DEP_2)
	v_add_co_ci_u32_e64 v10, s7, 0, v10, s7
	v_lshrrev_b32_e32 v69, v101, v69
; %bb.2741:                             ;   in Loop: Header=BB4_2681 Depth=2
	s_and_not1_saveexec_b32 s7, s10
; %bb.2742:                             ;   in Loop: Header=BB4_2681 Depth=2
	s_delay_alu instid0(VALU_DEP_1)
	v_bfe_u32 v10, v69, 23, 1
; %bb.2743:                             ;   in Loop: Header=BB4_2681 Depth=2
	s_or_b32 exec_lo, exec_lo, s7
	v_lshrrev_b32_e32 v69, 21, v69
	s_delay_alu instid0(VALU_DEP_2) | instskip(SKIP_2) | instid1(VALU_DEP_3)
	v_cmp_gt_i32_e64 s7, 32, v10
	v_lshrrev_b32_e32 v14, 24, v14
	v_min_i32_e32 v101, 31, v10
	v_cndmask_b32_e64 v69, 3, v69, s7
	s_delay_alu instid0(VALU_DEP_3) | instskip(NEXT) | instid1(VALU_DEP_3)
	v_and_b32_e32 v14, 0x80, v14
	v_lshlrev_b32_e32 v101, 2, v101
	s_delay_alu instid0(VALU_DEP_3) | instskip(SKIP_1) | instid1(VALU_DEP_2)
	v_and_b32_e32 v102, 3, v69
	v_or_b32_e32 v10, v10, v69
	v_or3_b32 v14, v101, v14, v102
	s_delay_alu instid0(VALU_DEP_2) | instskip(NEXT) | instid1(VALU_DEP_1)
	v_cmp_ne_u32_e64 s7, 0, v10
	v_cndmask_b32_e64 v10, 0, v14, s7
.LBB4_2744:                             ;   in Loop: Header=BB4_2681 Depth=2
	s_or_b32 exec_lo, exec_lo, s25
.LBB4_2745:                             ;   in Loop: Header=BB4_2681 Depth=2
	s_delay_alu instid0(SALU_CYCLE_1) | instskip(SKIP_3) | instid1(VALU_DEP_1)
	s_or_b32 exec_lo, exec_lo, s24
	v_and_b32_e32 v69, 0xff, v15
	s_mov_b32 s10, 0
	s_mov_b32 s25, exec_lo
                                        ; implicit-def: $sgpr24
	v_cmpx_lt_i16_e32 0x7f, v69
	s_xor_b32 s25, exec_lo, s25
	s_cbranch_execnz .LBB4_2967
; %bb.2746:                             ;   in Loop: Header=BB4_2681 Depth=2
	s_or_saveexec_b32 s25, s25
	v_mov_b32_e32 v14, s24
	s_xor_b32 exec_lo, exec_lo, s25
	s_cbranch_execnz .LBB4_2970
.LBB4_2747:                             ;   in Loop: Header=BB4_2681 Depth=2
	s_or_b32 exec_lo, exec_lo, s25
	s_and_saveexec_b32 s24, s10
	s_cbranch_execz .LBB4_2749
.LBB4_2748:                             ;   in Loop: Header=BB4_2681 Depth=2
	v_and_b32_e32 v14, 3, v15
	v_bfe_u32 v102, v15, 2, 5
	v_lshlrev_b32_e32 v103, 24, v15
	s_delay_alu instid0(VALU_DEP_3) | instskip(NEXT) | instid1(VALU_DEP_3)
	v_clz_i32_u32_e32 v69, v14
	v_cmp_eq_u32_e64 s7, 0, v102
	s_delay_alu instid0(VALU_DEP_2) | instskip(NEXT) | instid1(VALU_DEP_1)
	v_min_u32_e32 v69, 32, v69
	v_subrev_nc_u32_e32 v101, 29, v69
	v_sub_nc_u32_e32 v69, 30, v69
	s_delay_alu instid0(VALU_DEP_2) | instskip(NEXT) | instid1(VALU_DEP_2)
	v_lshlrev_b32_e32 v101, v101, v15
	v_cndmask_b32_e64 v69, v102, v69, s7
	s_delay_alu instid0(VALU_DEP_2) | instskip(NEXT) | instid1(VALU_DEP_2)
	v_and_b32_e32 v101, 3, v101
	v_lshl_add_u32 v69, v69, 23, 0x37800000
	s_delay_alu instid0(VALU_DEP_2) | instskip(SKIP_1) | instid1(VALU_DEP_2)
	v_cndmask_b32_e64 v14, v14, v101, s7
	v_and_b32_e32 v101, 0x80000000, v103
	v_lshlrev_b32_e32 v14, 21, v14
	s_delay_alu instid0(VALU_DEP_1)
	v_or3_b32 v14, v101, v69, v14
.LBB4_2749:                             ;   in Loop: Header=BB4_2681 Depth=2
	s_or_b32 exec_lo, exec_lo, s24
	v_and_b32_e32 v101, 0xff, v11
	s_mov_b32 s10, 0
	s_mov_b32 s25, exec_lo
                                        ; implicit-def: $sgpr24
	s_delay_alu instid0(VALU_DEP_1)
	v_cmpx_lt_i16_e32 0x7f, v101
	s_xor_b32 s25, exec_lo, s25
	s_cbranch_execnz .LBB4_2971
; %bb.2750:                             ;   in Loop: Header=BB4_2681 Depth=2
	s_or_saveexec_b32 s25, s25
	v_mov_b32_e32 v69, s24
	s_xor_b32 exec_lo, exec_lo, s25
	s_cbranch_execnz .LBB4_2974
.LBB4_2751:                             ;   in Loop: Header=BB4_2681 Depth=2
	s_or_b32 exec_lo, exec_lo, s25
	s_and_saveexec_b32 s24, s10
	s_cbranch_execz .LBB4_2753
.LBB4_2752:                             ;   in Loop: Header=BB4_2681 Depth=2
	v_and_b32_e32 v69, 3, v11
	v_bfe_u32 v103, v11, 2, 5
	v_lshlrev_b32_e32 v112, 24, v11
	s_delay_alu instid0(VALU_DEP_3) | instskip(NEXT) | instid1(VALU_DEP_3)
	v_clz_i32_u32_e32 v101, v69
	v_cmp_eq_u32_e64 s7, 0, v103
	s_delay_alu instid0(VALU_DEP_2) | instskip(NEXT) | instid1(VALU_DEP_1)
	v_min_u32_e32 v101, 32, v101
	v_subrev_nc_u32_e32 v102, 29, v101
	v_sub_nc_u32_e32 v101, 30, v101
	s_delay_alu instid0(VALU_DEP_2) | instskip(NEXT) | instid1(VALU_DEP_2)
	v_lshlrev_b32_e32 v102, v102, v11
	v_cndmask_b32_e64 v101, v103, v101, s7
	s_delay_alu instid0(VALU_DEP_2) | instskip(NEXT) | instid1(VALU_DEP_2)
	v_and_b32_e32 v102, 3, v102
	v_lshl_add_u32 v101, v101, 23, 0x37800000
	s_delay_alu instid0(VALU_DEP_2) | instskip(SKIP_1) | instid1(VALU_DEP_2)
	v_cndmask_b32_e64 v69, v69, v102, s7
	v_and_b32_e32 v102, 0x80000000, v112
	v_lshlrev_b32_e32 v69, 21, v69
	s_delay_alu instid0(VALU_DEP_1)
	v_or3_b32 v69, v102, v101, v69
.LBB4_2753:                             ;   in Loop: Header=BB4_2681 Depth=2
	s_or_b32 exec_lo, exec_lo, s24
	s_delay_alu instid0(VALU_DEP_1) | instskip(NEXT) | instid1(VALU_DEP_1)
	v_mul_f32_e32 v69, v14, v69
	v_and_b32_e32 v14, 0x7f800000, v69
	s_delay_alu instid0(VALU_DEP_1) | instskip(SKIP_1) | instid1(VALU_DEP_2)
	v_cmp_ne_u32_e64 s7, 0x7f800000, v14
	v_mov_b32_e32 v14, 0x80
	s_and_saveexec_b32 s24, s7
	s_cbranch_execz .LBB4_2761
; %bb.2754:                             ;   in Loop: Header=BB4_2681 Depth=2
	v_mov_b32_e32 v14, 0
	s_mov_b32 s25, exec_lo
	v_cmpx_ne_u32_e32 0, v69
	s_cbranch_execz .LBB4_2760
; %bb.2755:                             ;   in Loop: Header=BB4_2681 Depth=2
	v_bfe_u32 v14, v69, 23, 8
	v_and_b32_e32 v101, 0x7fffff, v69
	s_delay_alu instid0(VALU_DEP_2) | instskip(SKIP_1) | instid1(VALU_DEP_3)
	v_sub_nc_u32_e32 v102, 0x70, v14
	v_cmp_gt_u32_e64 s7, 0x71, v14
	v_or_b32_e32 v103, 0x800000, v101
	s_delay_alu instid0(VALU_DEP_2) | instskip(SKIP_2) | instid1(VALU_DEP_2)
	v_cndmask_b32_e64 v102, 0, v102, s7
	v_cmp_eq_u32_e64 s7, 0, v14
	v_add_nc_u32_e32 v14, 0xffffff91, v14
	v_cndmask_b32_e64 v102, v102, 0x6f, s7
	v_cndmask_b32_e64 v101, v103, v101, s7
	s_delay_alu instid0(VALU_DEP_3) | instskip(NEXT) | instid1(VALU_DEP_3)
	v_cndmask_b32_e64 v14, v14, 0xffffff92, s7
	v_lshl_add_u32 v103, 0x200000, v102, -1
	s_delay_alu instid0(VALU_DEP_3) | instskip(SKIP_1) | instid1(VALU_DEP_4)
	v_lshrrev_b32_e32 v112, v102, v101
	v_lshlrev_b32_e64 v114, v102, 0x100000
	v_add_nc_u32_e32 v102, v102, v14
	s_delay_alu instid0(VALU_DEP_4) | instskip(NEXT) | instid1(VALU_DEP_4)
	v_and_b32_e32 v101, v103, v101
	v_bfe_u32 v113, v112, 21, 1
	s_delay_alu instid0(VALU_DEP_2) | instskip(NEXT) | instid1(VALU_DEP_2)
	v_cmp_eq_u32_e64 s10, v101, v114
	v_add_nc_u32_e32 v103, -1, v113
	s_delay_alu instid0(VALU_DEP_1) | instskip(SKIP_2) | instid1(VALU_DEP_2)
	v_cndmask_b32_e64 v101, 0, v103, s10
	v_lshrrev_b32_e32 v103, 23, v112
	s_mov_b32 s10, exec_lo
	v_add_nc_u32_e32 v101, v101, v112
	s_delay_alu instid0(VALU_DEP_2) | instskip(NEXT) | instid1(VALU_DEP_2)
	v_xor_b32_e32 v103, 1, v103
	v_and_b32_e32 v14, 0x1fffff, v101
	s_delay_alu instid0(VALU_DEP_1) | instskip(NEXT) | instid1(VALU_DEP_3)
	v_add_nc_u32_e32 v101, v14, v112
                                        ; implicit-def: $vgpr14
	v_cmpx_ne_u32_e64 v102, v103
	s_xor_b32 s10, exec_lo, s10
; %bb.2756:                             ;   in Loop: Header=BB4_2681 Depth=2
	s_delay_alu instid0(VALU_DEP_2) | instskip(SKIP_1) | instid1(VALU_DEP_2)
	v_cmp_lt_u32_e64 s7, 0xffffff, v101
	v_sub_nc_u32_e32 v14, v102, v103
	v_cndmask_b32_e64 v102, 0, 1, s7
	s_delay_alu instid0(VALU_DEP_2) | instskip(NEXT) | instid1(VALU_DEP_2)
	v_add_co_ci_u32_e64 v14, s7, 0, v14, s7
	v_lshrrev_b32_e32 v101, v102, v101
; %bb.2757:                             ;   in Loop: Header=BB4_2681 Depth=2
	s_and_not1_saveexec_b32 s7, s10
; %bb.2758:                             ;   in Loop: Header=BB4_2681 Depth=2
	s_delay_alu instid0(VALU_DEP_1)
	v_bfe_u32 v14, v101, 23, 1
; %bb.2759:                             ;   in Loop: Header=BB4_2681 Depth=2
	s_or_b32 exec_lo, exec_lo, s7
	v_lshrrev_b32_e32 v101, 21, v101
	s_delay_alu instid0(VALU_DEP_2) | instskip(SKIP_2) | instid1(VALU_DEP_3)
	v_cmp_gt_i32_e64 s7, 32, v14
	v_lshrrev_b32_e32 v69, 24, v69
	v_min_i32_e32 v102, 31, v14
	v_cndmask_b32_e64 v101, 3, v101, s7
	s_delay_alu instid0(VALU_DEP_3) | instskip(NEXT) | instid1(VALU_DEP_3)
	v_and_b32_e32 v69, 0x80, v69
	v_lshlrev_b32_e32 v102, 2, v102
	s_delay_alu instid0(VALU_DEP_3) | instskip(SKIP_1) | instid1(VALU_DEP_2)
	v_and_b32_e32 v103, 3, v101
	v_or_b32_e32 v14, v14, v101
	v_or3_b32 v69, v102, v69, v103
	s_delay_alu instid0(VALU_DEP_2) | instskip(NEXT) | instid1(VALU_DEP_1)
	v_cmp_ne_u32_e64 s7, 0, v14
	v_cndmask_b32_e64 v14, 0, v69, s7
.LBB4_2760:                             ;   in Loop: Header=BB4_2681 Depth=2
	s_or_b32 exec_lo, exec_lo, s25
.LBB4_2761:                             ;   in Loop: Header=BB4_2681 Depth=2
	s_delay_alu instid0(SALU_CYCLE_1) | instskip(SKIP_3) | instid1(VALU_DEP_1)
	s_or_b32 exec_lo, exec_lo, s24
	v_lshrrev_b16 v101, 8, v15
	s_mov_b32 s10, 0
	s_mov_b32 s25, exec_lo
                                        ; implicit-def: $sgpr24
	v_cmpx_lt_i16_e32 0x7f, v101
	s_xor_b32 s25, exec_lo, s25
	s_cbranch_execnz .LBB4_2975
; %bb.2762:                             ;   in Loop: Header=BB4_2681 Depth=2
	s_or_saveexec_b32 s25, s25
	v_mov_b32_e32 v69, s24
	s_xor_b32 exec_lo, exec_lo, s25
	s_cbranch_execnz .LBB4_2978
.LBB4_2763:                             ;   in Loop: Header=BB4_2681 Depth=2
	s_or_b32 exec_lo, exec_lo, s25
	s_and_saveexec_b32 s24, s10
	s_cbranch_execz .LBB4_2765
.LBB4_2764:                             ;   in Loop: Header=BB4_2681 Depth=2
	v_and_b32_e32 v69, 0xffff, v101
	v_lshlrev_b32_e32 v101, 24, v101
	s_delay_alu instid0(VALU_DEP_2) | instskip(NEXT) | instid1(VALU_DEP_2)
	v_and_b32_e32 v102, 3, v69
	v_and_b32_e32 v101, 0x80000000, v101
	s_delay_alu instid0(VALU_DEP_2) | instskip(NEXT) | instid1(VALU_DEP_1)
	v_clz_i32_u32_e32 v103, v102
	v_min_u32_e32 v103, 32, v103
	s_delay_alu instid0(VALU_DEP_1) | instskip(SKIP_1) | instid1(VALU_DEP_2)
	v_subrev_nc_u32_e32 v112, 29, v103
	v_sub_nc_u32_e32 v103, 30, v103
	v_lshlrev_b32_e32 v112, v112, v69
	v_bfe_u32 v69, v69, 2, 5
	s_delay_alu instid0(VALU_DEP_2) | instskip(NEXT) | instid1(VALU_DEP_2)
	v_and_b32_e32 v112, 3, v112
	v_cmp_eq_u32_e64 s7, 0, v69
	s_delay_alu instid0(VALU_DEP_1) | instskip(NEXT) | instid1(VALU_DEP_3)
	v_cndmask_b32_e64 v69, v69, v103, s7
	v_cndmask_b32_e64 v102, v102, v112, s7
	s_delay_alu instid0(VALU_DEP_2) | instskip(NEXT) | instid1(VALU_DEP_2)
	v_lshl_add_u32 v69, v69, 23, 0x37800000
	v_lshlrev_b32_e32 v102, 21, v102
	s_delay_alu instid0(VALU_DEP_1)
	v_or3_b32 v69, v101, v69, v102
.LBB4_2765:                             ;   in Loop: Header=BB4_2681 Depth=2
	s_or_b32 exec_lo, exec_lo, s24
	v_lshrrev_b16 v101, 8, v11
	s_mov_b32 s10, 0
	s_mov_b32 s25, exec_lo
                                        ; implicit-def: $sgpr24
	s_delay_alu instid0(VALU_DEP_1)
	v_cmpx_lt_i16_e32 0x7f, v101
	s_xor_b32 s25, exec_lo, s25
	s_cbranch_execnz .LBB4_2979
; %bb.2766:                             ;   in Loop: Header=BB4_2681 Depth=2
	s_or_saveexec_b32 s25, s25
	v_mov_b32_e32 v102, s24
	s_xor_b32 exec_lo, exec_lo, s25
	s_cbranch_execnz .LBB4_2982
.LBB4_2767:                             ;   in Loop: Header=BB4_2681 Depth=2
	s_or_b32 exec_lo, exec_lo, s25
	s_and_saveexec_b32 s24, s10
	s_cbranch_execz .LBB4_2769
.LBB4_2768:                             ;   in Loop: Header=BB4_2681 Depth=2
	v_and_b32_e32 v102, 0xffff, v101
	v_lshlrev_b32_e32 v101, 24, v101
	s_delay_alu instid0(VALU_DEP_2) | instskip(NEXT) | instid1(VALU_DEP_2)
	v_and_b32_e32 v103, 3, v102
	v_and_b32_e32 v101, 0x80000000, v101
	s_delay_alu instid0(VALU_DEP_2) | instskip(NEXT) | instid1(VALU_DEP_1)
	v_clz_i32_u32_e32 v112, v103
	v_min_u32_e32 v112, 32, v112
	s_delay_alu instid0(VALU_DEP_1) | instskip(SKIP_1) | instid1(VALU_DEP_2)
	v_subrev_nc_u32_e32 v113, 29, v112
	v_sub_nc_u32_e32 v112, 30, v112
	v_lshlrev_b32_e32 v113, v113, v102
	v_bfe_u32 v102, v102, 2, 5
	s_delay_alu instid0(VALU_DEP_2) | instskip(NEXT) | instid1(VALU_DEP_2)
	v_and_b32_e32 v113, 3, v113
	v_cmp_eq_u32_e64 s7, 0, v102
	s_delay_alu instid0(VALU_DEP_1) | instskip(NEXT) | instid1(VALU_DEP_3)
	v_cndmask_b32_e64 v102, v102, v112, s7
	v_cndmask_b32_e64 v103, v103, v113, s7
	s_delay_alu instid0(VALU_DEP_2) | instskip(NEXT) | instid1(VALU_DEP_2)
	v_lshl_add_u32 v102, v102, 23, 0x37800000
	v_lshlrev_b32_e32 v103, 21, v103
	s_delay_alu instid0(VALU_DEP_1)
	v_or3_b32 v102, v101, v102, v103
.LBB4_2769:                             ;   in Loop: Header=BB4_2681 Depth=2
	s_or_b32 exec_lo, exec_lo, s24
	s_delay_alu instid0(VALU_DEP_1) | instskip(NEXT) | instid1(VALU_DEP_1)
	v_mul_f32_e32 v101, v69, v102
	v_and_b32_e32 v69, 0x7f800000, v101
	s_delay_alu instid0(VALU_DEP_1) | instskip(SKIP_1) | instid1(VALU_DEP_2)
	v_cmp_ne_u32_e64 s7, 0x7f800000, v69
	v_mov_b32_e32 v69, 0x8000
	s_and_saveexec_b32 s24, s7
	s_cbranch_execz .LBB4_2777
; %bb.2770:                             ;   in Loop: Header=BB4_2681 Depth=2
	v_mov_b32_e32 v69, 0
	s_mov_b32 s25, exec_lo
	v_cmpx_ne_u32_e32 0, v101
	s_cbranch_execz .LBB4_2776
; %bb.2771:                             ;   in Loop: Header=BB4_2681 Depth=2
	v_bfe_u32 v69, v101, 23, 8
	v_and_b32_e32 v102, 0x7fffff, v101
	s_delay_alu instid0(VALU_DEP_2) | instskip(SKIP_1) | instid1(VALU_DEP_3)
	v_sub_nc_u32_e32 v103, 0x70, v69
	v_cmp_gt_u32_e64 s7, 0x71, v69
	v_or_b32_e32 v112, 0x800000, v102
	s_delay_alu instid0(VALU_DEP_2) | instskip(SKIP_2) | instid1(VALU_DEP_2)
	v_cndmask_b32_e64 v103, 0, v103, s7
	v_cmp_eq_u32_e64 s7, 0, v69
	v_add_nc_u32_e32 v69, 0xffffff91, v69
	v_cndmask_b32_e64 v103, v103, 0x6f, s7
	v_cndmask_b32_e64 v102, v112, v102, s7
	s_delay_alu instid0(VALU_DEP_3) | instskip(NEXT) | instid1(VALU_DEP_3)
	v_cndmask_b32_e64 v69, v69, 0xffffff92, s7
	v_lshl_add_u32 v112, 0x200000, v103, -1
	s_delay_alu instid0(VALU_DEP_3) | instskip(SKIP_1) | instid1(VALU_DEP_4)
	v_lshrrev_b32_e32 v113, v103, v102
	v_lshlrev_b32_e64 v115, v103, 0x100000
	v_add_nc_u32_e32 v103, v103, v69
	s_delay_alu instid0(VALU_DEP_4) | instskip(NEXT) | instid1(VALU_DEP_4)
	v_and_b32_e32 v102, v112, v102
	v_bfe_u32 v114, v113, 21, 1
	s_delay_alu instid0(VALU_DEP_2) | instskip(NEXT) | instid1(VALU_DEP_2)
	v_cmp_eq_u32_e64 s10, v102, v115
	v_add_nc_u32_e32 v112, -1, v114
	s_delay_alu instid0(VALU_DEP_1) | instskip(SKIP_2) | instid1(VALU_DEP_2)
	v_cndmask_b32_e64 v102, 0, v112, s10
	v_lshrrev_b32_e32 v112, 23, v113
	s_mov_b32 s10, exec_lo
	v_add_nc_u32_e32 v102, v102, v113
	s_delay_alu instid0(VALU_DEP_2) | instskip(NEXT) | instid1(VALU_DEP_2)
	v_xor_b32_e32 v112, 1, v112
	v_and_b32_e32 v69, 0x1fffff, v102
	s_delay_alu instid0(VALU_DEP_1) | instskip(NEXT) | instid1(VALU_DEP_3)
	v_add_nc_u32_e32 v102, v69, v113
                                        ; implicit-def: $vgpr69
	v_cmpx_ne_u32_e64 v103, v112
	s_xor_b32 s10, exec_lo, s10
; %bb.2772:                             ;   in Loop: Header=BB4_2681 Depth=2
	s_delay_alu instid0(VALU_DEP_2) | instskip(SKIP_1) | instid1(VALU_DEP_2)
	v_cmp_lt_u32_e64 s7, 0xffffff, v102
	v_sub_nc_u32_e32 v69, v103, v112
	v_cndmask_b32_e64 v103, 0, 1, s7
	s_delay_alu instid0(VALU_DEP_2) | instskip(NEXT) | instid1(VALU_DEP_2)
	v_add_co_ci_u32_e64 v69, s7, 0, v69, s7
	v_lshrrev_b32_e32 v102, v103, v102
; %bb.2773:                             ;   in Loop: Header=BB4_2681 Depth=2
	s_and_not1_saveexec_b32 s7, s10
; %bb.2774:                             ;   in Loop: Header=BB4_2681 Depth=2
	s_delay_alu instid0(VALU_DEP_1)
	v_bfe_u32 v69, v102, 23, 1
; %bb.2775:                             ;   in Loop: Header=BB4_2681 Depth=2
	s_or_b32 exec_lo, exec_lo, s7
	v_lshrrev_b32_e32 v102, 21, v102
	s_delay_alu instid0(VALU_DEP_2) | instskip(SKIP_2) | instid1(VALU_DEP_3)
	v_min_i32_e32 v103, 31, v69
	v_cmp_gt_i32_e64 s7, 32, v69
	v_lshrrev_b32_e32 v101, 24, v101
	v_lshlrev_b32_e32 v103, 2, v103
	s_delay_alu instid0(VALU_DEP_3) | instskip(NEXT) | instid1(VALU_DEP_3)
	v_cndmask_b32_e64 v102, 3, v102, s7
	v_and_b32_e32 v101, 0x80, v101
	s_delay_alu instid0(VALU_DEP_3) | instskip(NEXT) | instid1(VALU_DEP_3)
	v_and_b32_e32 v103, 0xfc, v103
	v_and_b32_e32 v112, 3, v102
	v_or_b32_e32 v69, v69, v102
	s_delay_alu instid0(VALU_DEP_2) | instskip(NEXT) | instid1(VALU_DEP_2)
	v_or3_b32 v101, v101, v103, v112
	v_cmp_ne_u32_e64 s7, 0, v69
	s_delay_alu instid0(VALU_DEP_2) | instskip(NEXT) | instid1(VALU_DEP_1)
	v_lshlrev_b32_e32 v101, 8, v101
	v_cndmask_b32_e64 v69, 0, v101, s7
.LBB4_2776:                             ;   in Loop: Header=BB4_2681 Depth=2
	s_or_b32 exec_lo, exec_lo, s25
.LBB4_2777:                             ;   in Loop: Header=BB4_2681 Depth=2
	s_delay_alu instid0(SALU_CYCLE_1) | instskip(SKIP_3) | instid1(VALU_DEP_1)
	s_or_b32 exec_lo, exec_lo, s24
	v_lshrrev_b32_e32 v102, 16, v15
	s_mov_b32 s10, 0
	s_mov_b32 s25, exec_lo
                                        ; implicit-def: $sgpr24
	v_and_b32_e32 v103, 0xff, v102
	s_delay_alu instid0(VALU_DEP_1)
	v_cmpx_lt_i16_e32 0x7f, v103
	s_xor_b32 s25, exec_lo, s25
	s_cbranch_execnz .LBB4_2983
; %bb.2778:                             ;   in Loop: Header=BB4_2681 Depth=2
	s_or_saveexec_b32 s25, s25
	v_mov_b32_e32 v101, s24
	s_xor_b32 exec_lo, exec_lo, s25
	s_cbranch_execnz .LBB4_2986
.LBB4_2779:                             ;   in Loop: Header=BB4_2681 Depth=2
	s_or_b32 exec_lo, exec_lo, s25
	s_and_saveexec_b32 s24, s10
	s_cbranch_execz .LBB4_2781
.LBB4_2780:                             ;   in Loop: Header=BB4_2681 Depth=2
	v_bfe_u32 v101, v15, 16, 2
	v_lshlrev_b32_e32 v113, 8, v15
	s_delay_alu instid0(VALU_DEP_2) | instskip(NEXT) | instid1(VALU_DEP_1)
	v_clz_i32_u32_e32 v103, v101
	v_min_u32_e32 v103, 32, v103
	s_delay_alu instid0(VALU_DEP_1) | instskip(SKIP_1) | instid1(VALU_DEP_2)
	v_subrev_nc_u32_e32 v112, 29, v103
	v_sub_nc_u32_e32 v103, 30, v103
	v_lshlrev_b32_e32 v102, v112, v102
	v_bfe_u32 v112, v15, 18, 5
	s_delay_alu instid0(VALU_DEP_2) | instskip(NEXT) | instid1(VALU_DEP_2)
	v_and_b32_e32 v102, 3, v102
	v_cmp_eq_u32_e64 s7, 0, v112
	s_delay_alu instid0(VALU_DEP_1) | instskip(NEXT) | instid1(VALU_DEP_3)
	v_cndmask_b32_e64 v103, v112, v103, s7
	v_cndmask_b32_e64 v101, v101, v102, s7
	v_and_b32_e32 v102, 0x80000000, v113
	s_delay_alu instid0(VALU_DEP_3) | instskip(NEXT) | instid1(VALU_DEP_3)
	v_lshl_add_u32 v103, v103, 23, 0x37800000
	v_lshlrev_b32_e32 v101, 21, v101
	s_delay_alu instid0(VALU_DEP_1)
	v_or3_b32 v101, v102, v103, v101
.LBB4_2781:                             ;   in Loop: Header=BB4_2681 Depth=2
	s_or_b32 exec_lo, exec_lo, s24
	v_lshrrev_b32_e32 v102, 16, v11
	s_mov_b32 s10, 0
	s_mov_b32 s25, exec_lo
                                        ; implicit-def: $sgpr24
	s_delay_alu instid0(VALU_DEP_1) | instskip(NEXT) | instid1(VALU_DEP_1)
	v_and_b32_e32 v112, 0xff, v102
	v_cmpx_lt_i16_e32 0x7f, v112
	s_xor_b32 s25, exec_lo, s25
	s_cbranch_execnz .LBB4_2987
; %bb.2782:                             ;   in Loop: Header=BB4_2681 Depth=2
	s_or_saveexec_b32 s25, s25
	v_mov_b32_e32 v103, s24
	s_xor_b32 exec_lo, exec_lo, s25
	s_cbranch_execnz .LBB4_2990
.LBB4_2783:                             ;   in Loop: Header=BB4_2681 Depth=2
	s_or_b32 exec_lo, exec_lo, s25
	s_and_saveexec_b32 s24, s10
	s_cbranch_execz .LBB4_2785
.LBB4_2784:                             ;   in Loop: Header=BB4_2681 Depth=2
	v_bfe_u32 v103, v11, 16, 2
	v_lshlrev_b32_e32 v114, 8, v11
	s_delay_alu instid0(VALU_DEP_2) | instskip(NEXT) | instid1(VALU_DEP_1)
	v_clz_i32_u32_e32 v112, v103
	v_min_u32_e32 v112, 32, v112
	s_delay_alu instid0(VALU_DEP_1) | instskip(SKIP_1) | instid1(VALU_DEP_2)
	v_subrev_nc_u32_e32 v113, 29, v112
	v_sub_nc_u32_e32 v112, 30, v112
	v_lshlrev_b32_e32 v102, v113, v102
	v_bfe_u32 v113, v11, 18, 5
	s_delay_alu instid0(VALU_DEP_2) | instskip(NEXT) | instid1(VALU_DEP_2)
	v_and_b32_e32 v102, 3, v102
	v_cmp_eq_u32_e64 s7, 0, v113
	s_delay_alu instid0(VALU_DEP_1) | instskip(NEXT) | instid1(VALU_DEP_3)
	v_cndmask_b32_e64 v112, v113, v112, s7
	v_cndmask_b32_e64 v102, v103, v102, s7
	v_and_b32_e32 v103, 0x80000000, v114
	s_delay_alu instid0(VALU_DEP_3) | instskip(NEXT) | instid1(VALU_DEP_3)
	v_lshl_add_u32 v112, v112, 23, 0x37800000
	v_lshlrev_b32_e32 v102, 21, v102
	s_delay_alu instid0(VALU_DEP_1)
	v_or3_b32 v103, v103, v112, v102
.LBB4_2785:                             ;   in Loop: Header=BB4_2681 Depth=2
	s_or_b32 exec_lo, exec_lo, s24
	s_delay_alu instid0(VALU_DEP_1) | instskip(NEXT) | instid1(VALU_DEP_1)
	v_mul_f32_e32 v102, v101, v103
	v_and_b32_e32 v101, 0x7f800000, v102
	s_delay_alu instid0(VALU_DEP_1) | instskip(SKIP_1) | instid1(VALU_DEP_2)
	v_cmp_ne_u32_e64 s7, 0x7f800000, v101
	v_mov_b32_e32 v101, 0x80
	s_and_saveexec_b32 s24, s7
	s_cbranch_execz .LBB4_2793
; %bb.2786:                             ;   in Loop: Header=BB4_2681 Depth=2
	v_mov_b32_e32 v101, 0
	s_mov_b32 s25, exec_lo
	v_cmpx_ne_u32_e32 0, v102
	s_cbranch_execz .LBB4_2792
; %bb.2787:                             ;   in Loop: Header=BB4_2681 Depth=2
	v_bfe_u32 v101, v102, 23, 8
	v_and_b32_e32 v103, 0x7fffff, v102
	s_delay_alu instid0(VALU_DEP_2) | instskip(SKIP_1) | instid1(VALU_DEP_3)
	v_sub_nc_u32_e32 v112, 0x70, v101
	v_cmp_gt_u32_e64 s7, 0x71, v101
	v_or_b32_e32 v113, 0x800000, v103
	s_delay_alu instid0(VALU_DEP_2) | instskip(SKIP_2) | instid1(VALU_DEP_2)
	v_cndmask_b32_e64 v112, 0, v112, s7
	v_cmp_eq_u32_e64 s7, 0, v101
	v_add_nc_u32_e32 v101, 0xffffff91, v101
	v_cndmask_b32_e64 v112, v112, 0x6f, s7
	v_cndmask_b32_e64 v103, v113, v103, s7
	s_delay_alu instid0(VALU_DEP_3) | instskip(NEXT) | instid1(VALU_DEP_3)
	v_cndmask_b32_e64 v101, v101, 0xffffff92, s7
	v_lshl_add_u32 v113, 0x200000, v112, -1
	s_delay_alu instid0(VALU_DEP_3) | instskip(SKIP_1) | instid1(VALU_DEP_4)
	v_lshrrev_b32_e32 v114, v112, v103
	v_lshlrev_b32_e64 v116, v112, 0x100000
	v_add_nc_u32_e32 v112, v112, v101
	s_delay_alu instid0(VALU_DEP_4) | instskip(NEXT) | instid1(VALU_DEP_4)
	v_and_b32_e32 v103, v113, v103
	v_bfe_u32 v115, v114, 21, 1
	s_delay_alu instid0(VALU_DEP_2) | instskip(NEXT) | instid1(VALU_DEP_2)
	v_cmp_eq_u32_e64 s10, v103, v116
	v_add_nc_u32_e32 v113, -1, v115
	s_delay_alu instid0(VALU_DEP_1) | instskip(SKIP_2) | instid1(VALU_DEP_2)
	v_cndmask_b32_e64 v103, 0, v113, s10
	v_lshrrev_b32_e32 v113, 23, v114
	s_mov_b32 s10, exec_lo
	v_add_nc_u32_e32 v103, v103, v114
	s_delay_alu instid0(VALU_DEP_2) | instskip(NEXT) | instid1(VALU_DEP_2)
	v_xor_b32_e32 v113, 1, v113
	v_and_b32_e32 v101, 0x1fffff, v103
	s_delay_alu instid0(VALU_DEP_1) | instskip(NEXT) | instid1(VALU_DEP_3)
	v_add_nc_u32_e32 v103, v101, v114
                                        ; implicit-def: $vgpr101
	v_cmpx_ne_u32_e64 v112, v113
	s_xor_b32 s10, exec_lo, s10
; %bb.2788:                             ;   in Loop: Header=BB4_2681 Depth=2
	s_delay_alu instid0(VALU_DEP_2) | instskip(SKIP_1) | instid1(VALU_DEP_2)
	v_cmp_lt_u32_e64 s7, 0xffffff, v103
	v_sub_nc_u32_e32 v101, v112, v113
	v_cndmask_b32_e64 v112, 0, 1, s7
	s_delay_alu instid0(VALU_DEP_2) | instskip(NEXT) | instid1(VALU_DEP_2)
	v_add_co_ci_u32_e64 v101, s7, 0, v101, s7
	v_lshrrev_b32_e32 v103, v112, v103
; %bb.2789:                             ;   in Loop: Header=BB4_2681 Depth=2
	s_and_not1_saveexec_b32 s7, s10
; %bb.2790:                             ;   in Loop: Header=BB4_2681 Depth=2
	s_delay_alu instid0(VALU_DEP_1)
	v_bfe_u32 v101, v103, 23, 1
; %bb.2791:                             ;   in Loop: Header=BB4_2681 Depth=2
	s_or_b32 exec_lo, exec_lo, s7
	v_lshrrev_b32_e32 v103, 21, v103
	s_delay_alu instid0(VALU_DEP_2) | instskip(SKIP_2) | instid1(VALU_DEP_3)
	v_min_i32_e32 v112, 31, v101
	v_cmp_gt_i32_e64 s7, 32, v101
	v_lshrrev_b32_e32 v102, 24, v102
	v_lshlrev_b32_e32 v112, 2, v112
	s_delay_alu instid0(VALU_DEP_3) | instskip(NEXT) | instid1(VALU_DEP_3)
	v_cndmask_b32_e64 v103, 3, v103, s7
	v_and_b32_e32 v102, 0x80, v102
	s_delay_alu instid0(VALU_DEP_3) | instskip(NEXT) | instid1(VALU_DEP_3)
	v_and_b32_e32 v112, 0xfc, v112
	v_and_b32_e32 v113, 3, v103
	v_or_b32_e32 v101, v101, v103
	s_delay_alu instid0(VALU_DEP_2) | instskip(NEXT) | instid1(VALU_DEP_2)
	v_or3_b32 v102, v112, v102, v113
	v_cmp_ne_u32_e64 s7, 0, v101
	s_delay_alu instid0(VALU_DEP_1)
	v_cndmask_b32_e64 v101, 0, v102, s7
.LBB4_2792:                             ;   in Loop: Header=BB4_2681 Depth=2
	s_or_b32 exec_lo, exec_lo, s25
.LBB4_2793:                             ;   in Loop: Header=BB4_2681 Depth=2
	s_delay_alu instid0(SALU_CYCLE_1) | instskip(SKIP_3) | instid1(VALU_DEP_1)
	s_or_b32 exec_lo, exec_lo, s24
	v_lshrrev_b32_e32 v103, 24, v15
	s_mov_b32 s10, 0
	s_mov_b32 s25, exec_lo
                                        ; implicit-def: $sgpr24
	v_cmpx_lt_i16_e32 0x7f, v103
	s_xor_b32 s25, exec_lo, s25
	s_cbranch_execnz .LBB4_2991
; %bb.2794:                             ;   in Loop: Header=BB4_2681 Depth=2
	s_or_saveexec_b32 s25, s25
	v_mov_b32_e32 v102, s24
	s_xor_b32 exec_lo, exec_lo, s25
	s_cbranch_execnz .LBB4_2994
.LBB4_2795:                             ;   in Loop: Header=BB4_2681 Depth=2
	s_or_b32 exec_lo, exec_lo, s25
	s_and_saveexec_b32 s24, s10
	s_cbranch_execz .LBB4_2797
.LBB4_2796:                             ;   in Loop: Header=BB4_2681 Depth=2
	v_bfe_u32 v102, v15, 24, 2
	s_delay_alu instid0(VALU_DEP_1) | instskip(NEXT) | instid1(VALU_DEP_1)
	v_clz_i32_u32_e32 v112, v102
	v_min_u32_e32 v112, 32, v112
	s_delay_alu instid0(VALU_DEP_1) | instskip(SKIP_1) | instid1(VALU_DEP_2)
	v_subrev_nc_u32_e32 v113, 29, v112
	v_sub_nc_u32_e32 v112, 30, v112
	v_lshlrev_b32_e32 v103, v113, v103
	v_bfe_u32 v113, v15, 26, 5
	v_and_b32_e32 v15, 0x80000000, v15
	s_delay_alu instid0(VALU_DEP_3) | instskip(NEXT) | instid1(VALU_DEP_3)
	v_and_b32_e32 v103, 3, v103
	v_cmp_eq_u32_e64 s7, 0, v113
	s_delay_alu instid0(VALU_DEP_1) | instskip(NEXT) | instid1(VALU_DEP_3)
	v_cndmask_b32_e64 v112, v113, v112, s7
	v_cndmask_b32_e64 v102, v102, v103, s7
	s_delay_alu instid0(VALU_DEP_2) | instskip(NEXT) | instid1(VALU_DEP_2)
	v_lshl_add_u32 v103, v112, 23, 0x37800000
	v_lshlrev_b32_e32 v102, 21, v102
	s_delay_alu instid0(VALU_DEP_1)
	v_or3_b32 v102, v15, v103, v102
.LBB4_2797:                             ;   in Loop: Header=BB4_2681 Depth=2
	s_or_b32 exec_lo, exec_lo, s24
	v_lshrrev_b32_e32 v15, 24, v11
	s_mov_b32 s10, 0
	s_mov_b32 s25, exec_lo
                                        ; implicit-def: $sgpr24
	s_delay_alu instid0(VALU_DEP_1)
	v_cmpx_lt_i16_e32 0x7f, v15
	s_xor_b32 s25, exec_lo, s25
	s_cbranch_execnz .LBB4_2995
; %bb.2798:                             ;   in Loop: Header=BB4_2681 Depth=2
	s_or_saveexec_b32 s25, s25
	v_mov_b32_e32 v103, s24
	s_xor_b32 exec_lo, exec_lo, s25
	s_cbranch_execnz .LBB4_2998
.LBB4_2799:                             ;   in Loop: Header=BB4_2681 Depth=2
	s_or_b32 exec_lo, exec_lo, s25
	s_and_saveexec_b32 s24, s10
	s_cbranch_execz .LBB4_2801
.LBB4_2800:                             ;   in Loop: Header=BB4_2681 Depth=2
	v_bfe_u32 v103, v11, 24, 2
	s_delay_alu instid0(VALU_DEP_1) | instskip(NEXT) | instid1(VALU_DEP_1)
	v_clz_i32_u32_e32 v112, v103
	v_min_u32_e32 v112, 32, v112
	s_delay_alu instid0(VALU_DEP_1) | instskip(SKIP_1) | instid1(VALU_DEP_2)
	v_subrev_nc_u32_e32 v113, 29, v112
	v_sub_nc_u32_e32 v112, 30, v112
	v_lshlrev_b32_e32 v15, v113, v15
	v_bfe_u32 v113, v11, 26, 5
	v_and_b32_e32 v11, 0x80000000, v11
	s_delay_alu instid0(VALU_DEP_3) | instskip(NEXT) | instid1(VALU_DEP_3)
	v_and_b32_e32 v15, 3, v15
	v_cmp_eq_u32_e64 s7, 0, v113
	s_delay_alu instid0(VALU_DEP_1) | instskip(NEXT) | instid1(VALU_DEP_3)
	v_cndmask_b32_e64 v112, v113, v112, s7
	v_cndmask_b32_e64 v15, v103, v15, s7
	s_delay_alu instid0(VALU_DEP_2) | instskip(NEXT) | instid1(VALU_DEP_2)
	v_lshl_add_u32 v103, v112, 23, 0x37800000
	v_lshlrev_b32_e32 v15, 21, v15
	s_delay_alu instid0(VALU_DEP_1)
	v_or3_b32 v103, v11, v103, v15
.LBB4_2801:                             ;   in Loop: Header=BB4_2681 Depth=2
	s_or_b32 exec_lo, exec_lo, s24
	s_delay_alu instid0(VALU_DEP_1) | instskip(NEXT) | instid1(VALU_DEP_1)
	v_mul_f32_e32 v15, v102, v103
	v_and_b32_e32 v11, 0x7f800000, v15
	s_delay_alu instid0(VALU_DEP_1) | instskip(SKIP_1) | instid1(VALU_DEP_2)
	v_cmp_ne_u32_e64 s7, 0x7f800000, v11
	v_mov_b32_e32 v11, 0x8000
	s_and_saveexec_b32 s24, s7
	s_cbranch_execz .LBB4_2809
; %bb.2802:                             ;   in Loop: Header=BB4_2681 Depth=2
	v_mov_b32_e32 v11, 0
	s_mov_b32 s25, exec_lo
	v_cmpx_ne_u32_e32 0, v15
	s_cbranch_execz .LBB4_2808
; %bb.2803:                             ;   in Loop: Header=BB4_2681 Depth=2
	v_bfe_u32 v11, v15, 23, 8
	v_and_b32_e32 v102, 0x7fffff, v15
	s_delay_alu instid0(VALU_DEP_2) | instskip(SKIP_1) | instid1(VALU_DEP_3)
	v_sub_nc_u32_e32 v103, 0x70, v11
	v_cmp_gt_u32_e64 s7, 0x71, v11
	v_or_b32_e32 v112, 0x800000, v102
	s_delay_alu instid0(VALU_DEP_2) | instskip(SKIP_2) | instid1(VALU_DEP_2)
	v_cndmask_b32_e64 v103, 0, v103, s7
	v_cmp_eq_u32_e64 s7, 0, v11
	v_add_nc_u32_e32 v11, 0xffffff91, v11
	v_cndmask_b32_e64 v103, v103, 0x6f, s7
	v_cndmask_b32_e64 v102, v112, v102, s7
	s_delay_alu instid0(VALU_DEP_3) | instskip(NEXT) | instid1(VALU_DEP_3)
	v_cndmask_b32_e64 v11, v11, 0xffffff92, s7
	v_lshl_add_u32 v112, 0x200000, v103, -1
	s_delay_alu instid0(VALU_DEP_3) | instskip(SKIP_1) | instid1(VALU_DEP_4)
	v_lshrrev_b32_e32 v113, v103, v102
	v_lshlrev_b32_e64 v115, v103, 0x100000
	v_add_nc_u32_e32 v103, v103, v11
	s_delay_alu instid0(VALU_DEP_4) | instskip(NEXT) | instid1(VALU_DEP_4)
	v_and_b32_e32 v102, v112, v102
	v_bfe_u32 v114, v113, 21, 1
	s_delay_alu instid0(VALU_DEP_2) | instskip(NEXT) | instid1(VALU_DEP_2)
	v_cmp_eq_u32_e64 s10, v102, v115
	v_add_nc_u32_e32 v112, -1, v114
	s_delay_alu instid0(VALU_DEP_1) | instskip(SKIP_2) | instid1(VALU_DEP_2)
	v_cndmask_b32_e64 v102, 0, v112, s10
	v_lshrrev_b32_e32 v112, 23, v113
	s_mov_b32 s10, exec_lo
	v_add_nc_u32_e32 v102, v102, v113
	s_delay_alu instid0(VALU_DEP_2) | instskip(NEXT) | instid1(VALU_DEP_2)
	v_xor_b32_e32 v112, 1, v112
	v_and_b32_e32 v11, 0x1fffff, v102
	s_delay_alu instid0(VALU_DEP_1) | instskip(NEXT) | instid1(VALU_DEP_3)
	v_add_nc_u32_e32 v102, v11, v113
                                        ; implicit-def: $vgpr11
	v_cmpx_ne_u32_e64 v103, v112
	s_xor_b32 s10, exec_lo, s10
; %bb.2804:                             ;   in Loop: Header=BB4_2681 Depth=2
	s_delay_alu instid0(VALU_DEP_2) | instskip(SKIP_1) | instid1(VALU_DEP_2)
	v_cmp_lt_u32_e64 s7, 0xffffff, v102
	v_sub_nc_u32_e32 v11, v103, v112
	v_cndmask_b32_e64 v103, 0, 1, s7
	s_delay_alu instid0(VALU_DEP_2) | instskip(NEXT) | instid1(VALU_DEP_2)
	v_add_co_ci_u32_e64 v11, s7, 0, v11, s7
	v_lshrrev_b32_e32 v102, v103, v102
; %bb.2805:                             ;   in Loop: Header=BB4_2681 Depth=2
	s_and_not1_saveexec_b32 s7, s10
; %bb.2806:                             ;   in Loop: Header=BB4_2681 Depth=2
	s_delay_alu instid0(VALU_DEP_1)
	v_bfe_u32 v11, v102, 23, 1
; %bb.2807:                             ;   in Loop: Header=BB4_2681 Depth=2
	s_or_b32 exec_lo, exec_lo, s7
	v_lshrrev_b32_e32 v102, 21, v102
	s_delay_alu instid0(VALU_DEP_2) | instskip(SKIP_2) | instid1(VALU_DEP_3)
	v_min_i32_e32 v103, 31, v11
	v_cmp_gt_i32_e64 s7, 32, v11
	v_lshrrev_b32_e32 v15, 24, v15
	v_lshlrev_b32_e32 v103, 2, v103
	s_delay_alu instid0(VALU_DEP_3) | instskip(NEXT) | instid1(VALU_DEP_3)
	v_cndmask_b32_e64 v102, 3, v102, s7
	v_and_b32_e32 v15, 0x80, v15
	s_delay_alu instid0(VALU_DEP_3) | instskip(NEXT) | instid1(VALU_DEP_3)
	v_and_b32_e32 v103, 0xfc, v103
	v_and_b32_e32 v112, 3, v102
	v_or_b32_e32 v11, v11, v102
	s_delay_alu instid0(VALU_DEP_2) | instskip(NEXT) | instid1(VALU_DEP_2)
	v_or3_b32 v15, v15, v103, v112
	v_cmp_ne_u32_e64 s7, 0, v11
	s_delay_alu instid0(VALU_DEP_2) | instskip(NEXT) | instid1(VALU_DEP_1)
	v_lshlrev_b32_e32 v15, 8, v15
	v_cndmask_b32_e64 v11, 0, v15, s7
.LBB4_2808:                             ;   in Loop: Header=BB4_2681 Depth=2
	s_or_b32 exec_lo, exec_lo, s25
.LBB4_2809:                             ;   in Loop: Header=BB4_2681 Depth=2
	s_delay_alu instid0(SALU_CYCLE_1) | instskip(SKIP_3) | instid1(VALU_DEP_1)
	s_or_b32 exec_lo, exec_lo, s24
	v_and_b32_e32 v102, 0xff, v16
	s_mov_b32 s10, 0
	s_mov_b32 s25, exec_lo
                                        ; implicit-def: $sgpr24
	v_cmpx_lt_i16_e32 0x7f, v102
	s_xor_b32 s25, exec_lo, s25
	s_cbranch_execnz .LBB4_2999
; %bb.2810:                             ;   in Loop: Header=BB4_2681 Depth=2
	s_or_saveexec_b32 s25, s25
	v_mov_b32_e32 v15, s24
	s_xor_b32 exec_lo, exec_lo, s25
	s_cbranch_execnz .LBB4_3002
.LBB4_2811:                             ;   in Loop: Header=BB4_2681 Depth=2
	s_or_b32 exec_lo, exec_lo, s25
	s_and_saveexec_b32 s24, s10
	s_cbranch_execz .LBB4_2813
.LBB4_2812:                             ;   in Loop: Header=BB4_2681 Depth=2
	v_and_b32_e32 v15, 3, v16
	v_bfe_u32 v112, v16, 2, 5
	v_lshlrev_b32_e32 v113, 24, v16
	s_delay_alu instid0(VALU_DEP_3) | instskip(NEXT) | instid1(VALU_DEP_3)
	v_clz_i32_u32_e32 v102, v15
	v_cmp_eq_u32_e64 s7, 0, v112
	s_delay_alu instid0(VALU_DEP_2) | instskip(NEXT) | instid1(VALU_DEP_1)
	v_min_u32_e32 v102, 32, v102
	v_subrev_nc_u32_e32 v103, 29, v102
	v_sub_nc_u32_e32 v102, 30, v102
	s_delay_alu instid0(VALU_DEP_2) | instskip(NEXT) | instid1(VALU_DEP_2)
	v_lshlrev_b32_e32 v103, v103, v16
	v_cndmask_b32_e64 v102, v112, v102, s7
	s_delay_alu instid0(VALU_DEP_2) | instskip(NEXT) | instid1(VALU_DEP_2)
	v_and_b32_e32 v103, 3, v103
	v_lshl_add_u32 v102, v102, 23, 0x37800000
	s_delay_alu instid0(VALU_DEP_2) | instskip(SKIP_1) | instid1(VALU_DEP_2)
	v_cndmask_b32_e64 v15, v15, v103, s7
	v_and_b32_e32 v103, 0x80000000, v113
	v_lshlrev_b32_e32 v15, 21, v15
	s_delay_alu instid0(VALU_DEP_1)
	v_or3_b32 v15, v103, v102, v15
.LBB4_2813:                             ;   in Loop: Header=BB4_2681 Depth=2
	s_or_b32 exec_lo, exec_lo, s24
	v_and_b32_e32 v103, 0xff, v12
	s_mov_b32 s10, 0
	s_mov_b32 s25, exec_lo
                                        ; implicit-def: $sgpr24
	s_delay_alu instid0(VALU_DEP_1)
	v_cmpx_lt_i16_e32 0x7f, v103
	s_xor_b32 s25, exec_lo, s25
	s_cbranch_execnz .LBB4_3003
; %bb.2814:                             ;   in Loop: Header=BB4_2681 Depth=2
	s_or_saveexec_b32 s25, s25
	v_mov_b32_e32 v102, s24
	s_xor_b32 exec_lo, exec_lo, s25
	s_cbranch_execnz .LBB4_3006
.LBB4_2815:                             ;   in Loop: Header=BB4_2681 Depth=2
	s_or_b32 exec_lo, exec_lo, s25
	s_and_saveexec_b32 s24, s10
	s_cbranch_execz .LBB4_2817
.LBB4_2816:                             ;   in Loop: Header=BB4_2681 Depth=2
	v_and_b32_e32 v102, 3, v12
	v_bfe_u32 v113, v12, 2, 5
	v_lshlrev_b32_e32 v114, 24, v12
	s_delay_alu instid0(VALU_DEP_3) | instskip(NEXT) | instid1(VALU_DEP_3)
	v_clz_i32_u32_e32 v103, v102
	v_cmp_eq_u32_e64 s7, 0, v113
	s_delay_alu instid0(VALU_DEP_2) | instskip(NEXT) | instid1(VALU_DEP_1)
	v_min_u32_e32 v103, 32, v103
	v_subrev_nc_u32_e32 v112, 29, v103
	v_sub_nc_u32_e32 v103, 30, v103
	s_delay_alu instid0(VALU_DEP_2) | instskip(NEXT) | instid1(VALU_DEP_2)
	v_lshlrev_b32_e32 v112, v112, v12
	v_cndmask_b32_e64 v103, v113, v103, s7
	s_delay_alu instid0(VALU_DEP_2) | instskip(NEXT) | instid1(VALU_DEP_2)
	v_and_b32_e32 v112, 3, v112
	v_lshl_add_u32 v103, v103, 23, 0x37800000
	s_delay_alu instid0(VALU_DEP_2) | instskip(SKIP_1) | instid1(VALU_DEP_2)
	v_cndmask_b32_e64 v102, v102, v112, s7
	v_and_b32_e32 v112, 0x80000000, v114
	v_lshlrev_b32_e32 v102, 21, v102
	s_delay_alu instid0(VALU_DEP_1)
	v_or3_b32 v102, v112, v103, v102
.LBB4_2817:                             ;   in Loop: Header=BB4_2681 Depth=2
	s_or_b32 exec_lo, exec_lo, s24
	s_delay_alu instid0(VALU_DEP_1) | instskip(NEXT) | instid1(VALU_DEP_1)
	v_mul_f32_e32 v102, v15, v102
	v_and_b32_e32 v15, 0x7f800000, v102
	s_delay_alu instid0(VALU_DEP_1) | instskip(SKIP_1) | instid1(VALU_DEP_2)
	v_cmp_ne_u32_e64 s7, 0x7f800000, v15
	v_mov_b32_e32 v15, 0x80
	s_and_saveexec_b32 s24, s7
	s_cbranch_execz .LBB4_2825
; %bb.2818:                             ;   in Loop: Header=BB4_2681 Depth=2
	v_mov_b32_e32 v15, 0
	s_mov_b32 s25, exec_lo
	v_cmpx_ne_u32_e32 0, v102
	s_cbranch_execz .LBB4_2824
; %bb.2819:                             ;   in Loop: Header=BB4_2681 Depth=2
	v_bfe_u32 v15, v102, 23, 8
	v_and_b32_e32 v103, 0x7fffff, v102
	s_delay_alu instid0(VALU_DEP_2) | instskip(SKIP_1) | instid1(VALU_DEP_3)
	v_sub_nc_u32_e32 v112, 0x70, v15
	v_cmp_gt_u32_e64 s7, 0x71, v15
	v_or_b32_e32 v113, 0x800000, v103
	s_delay_alu instid0(VALU_DEP_2) | instskip(SKIP_2) | instid1(VALU_DEP_2)
	v_cndmask_b32_e64 v112, 0, v112, s7
	v_cmp_eq_u32_e64 s7, 0, v15
	v_add_nc_u32_e32 v15, 0xffffff91, v15
	v_cndmask_b32_e64 v112, v112, 0x6f, s7
	v_cndmask_b32_e64 v103, v113, v103, s7
	s_delay_alu instid0(VALU_DEP_3) | instskip(NEXT) | instid1(VALU_DEP_3)
	v_cndmask_b32_e64 v15, v15, 0xffffff92, s7
	v_lshl_add_u32 v113, 0x200000, v112, -1
	s_delay_alu instid0(VALU_DEP_3) | instskip(SKIP_1) | instid1(VALU_DEP_4)
	v_lshrrev_b32_e32 v114, v112, v103
	v_lshlrev_b32_e64 v116, v112, 0x100000
	v_add_nc_u32_e32 v112, v112, v15
	s_delay_alu instid0(VALU_DEP_4) | instskip(NEXT) | instid1(VALU_DEP_4)
	v_and_b32_e32 v103, v113, v103
	v_bfe_u32 v115, v114, 21, 1
	s_delay_alu instid0(VALU_DEP_2) | instskip(NEXT) | instid1(VALU_DEP_2)
	v_cmp_eq_u32_e64 s10, v103, v116
	v_add_nc_u32_e32 v113, -1, v115
	s_delay_alu instid0(VALU_DEP_1) | instskip(SKIP_2) | instid1(VALU_DEP_2)
	v_cndmask_b32_e64 v103, 0, v113, s10
	v_lshrrev_b32_e32 v113, 23, v114
	s_mov_b32 s10, exec_lo
	v_add_nc_u32_e32 v103, v103, v114
	s_delay_alu instid0(VALU_DEP_2) | instskip(NEXT) | instid1(VALU_DEP_2)
	v_xor_b32_e32 v113, 1, v113
	v_and_b32_e32 v15, 0x1fffff, v103
	s_delay_alu instid0(VALU_DEP_1) | instskip(NEXT) | instid1(VALU_DEP_3)
	v_add_nc_u32_e32 v103, v15, v114
                                        ; implicit-def: $vgpr15
	v_cmpx_ne_u32_e64 v112, v113
	s_xor_b32 s10, exec_lo, s10
; %bb.2820:                             ;   in Loop: Header=BB4_2681 Depth=2
	s_delay_alu instid0(VALU_DEP_2) | instskip(SKIP_1) | instid1(VALU_DEP_2)
	v_cmp_lt_u32_e64 s7, 0xffffff, v103
	v_sub_nc_u32_e32 v15, v112, v113
	v_cndmask_b32_e64 v112, 0, 1, s7
	s_delay_alu instid0(VALU_DEP_2) | instskip(NEXT) | instid1(VALU_DEP_2)
	v_add_co_ci_u32_e64 v15, s7, 0, v15, s7
	v_lshrrev_b32_e32 v103, v112, v103
; %bb.2821:                             ;   in Loop: Header=BB4_2681 Depth=2
	s_and_not1_saveexec_b32 s7, s10
; %bb.2822:                             ;   in Loop: Header=BB4_2681 Depth=2
	s_delay_alu instid0(VALU_DEP_1)
	v_bfe_u32 v15, v103, 23, 1
; %bb.2823:                             ;   in Loop: Header=BB4_2681 Depth=2
	s_or_b32 exec_lo, exec_lo, s7
	v_lshrrev_b32_e32 v103, 21, v103
	s_delay_alu instid0(VALU_DEP_2) | instskip(SKIP_2) | instid1(VALU_DEP_3)
	v_cmp_gt_i32_e64 s7, 32, v15
	v_lshrrev_b32_e32 v102, 24, v102
	v_min_i32_e32 v112, 31, v15
	v_cndmask_b32_e64 v103, 3, v103, s7
	s_delay_alu instid0(VALU_DEP_3) | instskip(NEXT) | instid1(VALU_DEP_3)
	v_and_b32_e32 v102, 0x80, v102
	v_lshlrev_b32_e32 v112, 2, v112
	s_delay_alu instid0(VALU_DEP_3) | instskip(SKIP_1) | instid1(VALU_DEP_2)
	v_and_b32_e32 v113, 3, v103
	v_or_b32_e32 v15, v15, v103
	v_or3_b32 v102, v112, v102, v113
	s_delay_alu instid0(VALU_DEP_2) | instskip(NEXT) | instid1(VALU_DEP_1)
	v_cmp_ne_u32_e64 s7, 0, v15
	v_cndmask_b32_e64 v15, 0, v102, s7
.LBB4_2824:                             ;   in Loop: Header=BB4_2681 Depth=2
	s_or_b32 exec_lo, exec_lo, s25
.LBB4_2825:                             ;   in Loop: Header=BB4_2681 Depth=2
	s_delay_alu instid0(SALU_CYCLE_1) | instskip(SKIP_3) | instid1(VALU_DEP_1)
	s_or_b32 exec_lo, exec_lo, s24
	v_lshrrev_b16 v103, 8, v16
	s_mov_b32 s10, 0
	s_mov_b32 s25, exec_lo
                                        ; implicit-def: $sgpr24
	v_cmpx_lt_i16_e32 0x7f, v103
	s_xor_b32 s25, exec_lo, s25
	s_cbranch_execnz .LBB4_3007
; %bb.2826:                             ;   in Loop: Header=BB4_2681 Depth=2
	s_or_saveexec_b32 s25, s25
	v_mov_b32_e32 v102, s24
	s_xor_b32 exec_lo, exec_lo, s25
	s_cbranch_execnz .LBB4_3010
.LBB4_2827:                             ;   in Loop: Header=BB4_2681 Depth=2
	s_or_b32 exec_lo, exec_lo, s25
	s_and_saveexec_b32 s24, s10
	s_cbranch_execz .LBB4_2829
.LBB4_2828:                             ;   in Loop: Header=BB4_2681 Depth=2
	v_and_b32_e32 v102, 0xffff, v103
	v_lshlrev_b32_e32 v103, 24, v103
	s_delay_alu instid0(VALU_DEP_2) | instskip(NEXT) | instid1(VALU_DEP_2)
	v_and_b32_e32 v112, 3, v102
	v_and_b32_e32 v103, 0x80000000, v103
	s_delay_alu instid0(VALU_DEP_2) | instskip(NEXT) | instid1(VALU_DEP_1)
	v_clz_i32_u32_e32 v113, v112
	v_min_u32_e32 v113, 32, v113
	s_delay_alu instid0(VALU_DEP_1) | instskip(SKIP_1) | instid1(VALU_DEP_2)
	v_subrev_nc_u32_e32 v114, 29, v113
	v_sub_nc_u32_e32 v113, 30, v113
	v_lshlrev_b32_e32 v114, v114, v102
	v_bfe_u32 v102, v102, 2, 5
	s_delay_alu instid0(VALU_DEP_2) | instskip(NEXT) | instid1(VALU_DEP_2)
	v_and_b32_e32 v114, 3, v114
	v_cmp_eq_u32_e64 s7, 0, v102
	s_delay_alu instid0(VALU_DEP_1) | instskip(NEXT) | instid1(VALU_DEP_3)
	v_cndmask_b32_e64 v102, v102, v113, s7
	v_cndmask_b32_e64 v112, v112, v114, s7
	s_delay_alu instid0(VALU_DEP_2) | instskip(NEXT) | instid1(VALU_DEP_2)
	v_lshl_add_u32 v102, v102, 23, 0x37800000
	v_lshlrev_b32_e32 v112, 21, v112
	s_delay_alu instid0(VALU_DEP_1)
	v_or3_b32 v102, v103, v102, v112
.LBB4_2829:                             ;   in Loop: Header=BB4_2681 Depth=2
	s_or_b32 exec_lo, exec_lo, s24
	v_lshrrev_b16 v103, 8, v12
	s_mov_b32 s10, 0
	s_mov_b32 s25, exec_lo
                                        ; implicit-def: $sgpr24
	s_delay_alu instid0(VALU_DEP_1)
	v_cmpx_lt_i16_e32 0x7f, v103
	s_xor_b32 s25, exec_lo, s25
	s_cbranch_execnz .LBB4_3011
; %bb.2830:                             ;   in Loop: Header=BB4_2681 Depth=2
	s_or_saveexec_b32 s25, s25
	v_mov_b32_e32 v112, s24
	s_xor_b32 exec_lo, exec_lo, s25
	s_cbranch_execnz .LBB4_3014
.LBB4_2831:                             ;   in Loop: Header=BB4_2681 Depth=2
	s_or_b32 exec_lo, exec_lo, s25
	s_and_saveexec_b32 s24, s10
	s_cbranch_execz .LBB4_2833
.LBB4_2832:                             ;   in Loop: Header=BB4_2681 Depth=2
	v_and_b32_e32 v112, 0xffff, v103
	v_lshlrev_b32_e32 v103, 24, v103
	s_delay_alu instid0(VALU_DEP_2) | instskip(NEXT) | instid1(VALU_DEP_2)
	v_and_b32_e32 v113, 3, v112
	v_and_b32_e32 v103, 0x80000000, v103
	s_delay_alu instid0(VALU_DEP_2) | instskip(NEXT) | instid1(VALU_DEP_1)
	v_clz_i32_u32_e32 v114, v113
	v_min_u32_e32 v114, 32, v114
	s_delay_alu instid0(VALU_DEP_1) | instskip(SKIP_1) | instid1(VALU_DEP_2)
	v_subrev_nc_u32_e32 v115, 29, v114
	v_sub_nc_u32_e32 v114, 30, v114
	v_lshlrev_b32_e32 v115, v115, v112
	v_bfe_u32 v112, v112, 2, 5
	s_delay_alu instid0(VALU_DEP_2) | instskip(NEXT) | instid1(VALU_DEP_2)
	v_and_b32_e32 v115, 3, v115
	v_cmp_eq_u32_e64 s7, 0, v112
	s_delay_alu instid0(VALU_DEP_1) | instskip(NEXT) | instid1(VALU_DEP_3)
	v_cndmask_b32_e64 v112, v112, v114, s7
	v_cndmask_b32_e64 v113, v113, v115, s7
	s_delay_alu instid0(VALU_DEP_2) | instskip(NEXT) | instid1(VALU_DEP_2)
	v_lshl_add_u32 v112, v112, 23, 0x37800000
	v_lshlrev_b32_e32 v113, 21, v113
	s_delay_alu instid0(VALU_DEP_1)
	v_or3_b32 v112, v103, v112, v113
.LBB4_2833:                             ;   in Loop: Header=BB4_2681 Depth=2
	s_or_b32 exec_lo, exec_lo, s24
	s_delay_alu instid0(VALU_DEP_1) | instskip(NEXT) | instid1(VALU_DEP_1)
	v_mul_f32_e32 v103, v102, v112
	v_and_b32_e32 v102, 0x7f800000, v103
	s_delay_alu instid0(VALU_DEP_1) | instskip(SKIP_1) | instid1(VALU_DEP_2)
	v_cmp_ne_u32_e64 s7, 0x7f800000, v102
	v_mov_b32_e32 v102, 0x80
	s_and_saveexec_b32 s24, s7
	s_cbranch_execz .LBB4_2841
; %bb.2834:                             ;   in Loop: Header=BB4_2681 Depth=2
	v_mov_b32_e32 v102, 0
	s_mov_b32 s25, exec_lo
	v_cmpx_ne_u32_e32 0, v103
	s_cbranch_execz .LBB4_2840
; %bb.2835:                             ;   in Loop: Header=BB4_2681 Depth=2
	v_bfe_u32 v102, v103, 23, 8
	v_and_b32_e32 v112, 0x7fffff, v103
	s_delay_alu instid0(VALU_DEP_2) | instskip(SKIP_1) | instid1(VALU_DEP_3)
	v_sub_nc_u32_e32 v113, 0x70, v102
	v_cmp_gt_u32_e64 s7, 0x71, v102
	v_or_b32_e32 v114, 0x800000, v112
	s_delay_alu instid0(VALU_DEP_2) | instskip(SKIP_2) | instid1(VALU_DEP_2)
	v_cndmask_b32_e64 v113, 0, v113, s7
	v_cmp_eq_u32_e64 s7, 0, v102
	v_add_nc_u32_e32 v102, 0xffffff91, v102
	v_cndmask_b32_e64 v113, v113, 0x6f, s7
	v_cndmask_b32_e64 v112, v114, v112, s7
	s_delay_alu instid0(VALU_DEP_3) | instskip(NEXT) | instid1(VALU_DEP_3)
	v_cndmask_b32_e64 v102, v102, 0xffffff92, s7
	v_lshl_add_u32 v114, 0x200000, v113, -1
	s_delay_alu instid0(VALU_DEP_3) | instskip(SKIP_1) | instid1(VALU_DEP_4)
	v_lshrrev_b32_e32 v115, v113, v112
	v_lshlrev_b32_e64 v117, v113, 0x100000
	v_add_nc_u32_e32 v113, v113, v102
	s_delay_alu instid0(VALU_DEP_4) | instskip(NEXT) | instid1(VALU_DEP_4)
	v_and_b32_e32 v112, v114, v112
	v_bfe_u32 v116, v115, 21, 1
	s_delay_alu instid0(VALU_DEP_2) | instskip(NEXT) | instid1(VALU_DEP_2)
	v_cmp_eq_u32_e64 s10, v112, v117
	v_add_nc_u32_e32 v114, -1, v116
	s_delay_alu instid0(VALU_DEP_1) | instskip(SKIP_2) | instid1(VALU_DEP_2)
	v_cndmask_b32_e64 v112, 0, v114, s10
	v_lshrrev_b32_e32 v114, 23, v115
	s_mov_b32 s10, exec_lo
	v_add_nc_u32_e32 v112, v112, v115
	s_delay_alu instid0(VALU_DEP_2) | instskip(NEXT) | instid1(VALU_DEP_2)
	v_xor_b32_e32 v114, 1, v114
	v_and_b32_e32 v102, 0x1fffff, v112
	s_delay_alu instid0(VALU_DEP_1) | instskip(NEXT) | instid1(VALU_DEP_3)
	v_add_nc_u32_e32 v112, v102, v115
                                        ; implicit-def: $vgpr102
	v_cmpx_ne_u32_e64 v113, v114
	s_xor_b32 s10, exec_lo, s10
; %bb.2836:                             ;   in Loop: Header=BB4_2681 Depth=2
	s_delay_alu instid0(VALU_DEP_2) | instskip(SKIP_1) | instid1(VALU_DEP_2)
	v_cmp_lt_u32_e64 s7, 0xffffff, v112
	v_sub_nc_u32_e32 v102, v113, v114
	v_cndmask_b32_e64 v113, 0, 1, s7
	s_delay_alu instid0(VALU_DEP_2) | instskip(NEXT) | instid1(VALU_DEP_2)
	v_add_co_ci_u32_e64 v102, s7, 0, v102, s7
	v_lshrrev_b32_e32 v112, v113, v112
; %bb.2837:                             ;   in Loop: Header=BB4_2681 Depth=2
	s_and_not1_saveexec_b32 s7, s10
; %bb.2838:                             ;   in Loop: Header=BB4_2681 Depth=2
	s_delay_alu instid0(VALU_DEP_1)
	v_bfe_u32 v102, v112, 23, 1
; %bb.2839:                             ;   in Loop: Header=BB4_2681 Depth=2
	s_or_b32 exec_lo, exec_lo, s7
	v_lshrrev_b32_e32 v112, 21, v112
	s_delay_alu instid0(VALU_DEP_2) | instskip(SKIP_2) | instid1(VALU_DEP_3)
	v_cmp_gt_i32_e64 s7, 32, v102
	v_lshrrev_b32_e32 v103, 24, v103
	v_min_i32_e32 v113, 31, v102
	v_cndmask_b32_e64 v112, 3, v112, s7
	s_delay_alu instid0(VALU_DEP_3) | instskip(NEXT) | instid1(VALU_DEP_3)
	v_and_b32_e32 v103, 0x80, v103
	v_lshlrev_b32_e32 v113, 2, v113
	s_delay_alu instid0(VALU_DEP_3) | instskip(SKIP_1) | instid1(VALU_DEP_2)
	v_and_b32_e32 v114, 3, v112
	v_or_b32_e32 v102, v102, v112
	v_or3_b32 v103, v113, v103, v114
	s_delay_alu instid0(VALU_DEP_2) | instskip(NEXT) | instid1(VALU_DEP_1)
	v_cmp_ne_u32_e64 s7, 0, v102
	v_cndmask_b32_e64 v102, 0, v103, s7
.LBB4_2840:                             ;   in Loop: Header=BB4_2681 Depth=2
	s_or_b32 exec_lo, exec_lo, s25
.LBB4_2841:                             ;   in Loop: Header=BB4_2681 Depth=2
	s_delay_alu instid0(SALU_CYCLE_1) | instskip(SKIP_3) | instid1(VALU_DEP_1)
	s_or_b32 exec_lo, exec_lo, s24
	v_lshrrev_b32_e32 v112, 16, v16
	s_mov_b32 s10, 0
	s_mov_b32 s25, exec_lo
                                        ; implicit-def: $sgpr24
	v_and_b32_e32 v113, 0xff, v112
	s_delay_alu instid0(VALU_DEP_1)
	v_cmpx_lt_i16_e32 0x7f, v113
	s_xor_b32 s25, exec_lo, s25
	s_cbranch_execnz .LBB4_3015
; %bb.2842:                             ;   in Loop: Header=BB4_2681 Depth=2
	s_or_saveexec_b32 s25, s25
	v_mov_b32_e32 v103, s24
	s_xor_b32 exec_lo, exec_lo, s25
	s_cbranch_execnz .LBB4_3018
.LBB4_2843:                             ;   in Loop: Header=BB4_2681 Depth=2
	s_or_b32 exec_lo, exec_lo, s25
	s_and_saveexec_b32 s24, s10
	s_cbranch_execz .LBB4_2845
.LBB4_2844:                             ;   in Loop: Header=BB4_2681 Depth=2
	v_bfe_u32 v103, v16, 16, 2
	v_lshlrev_b32_e32 v115, 8, v16
	s_delay_alu instid0(VALU_DEP_2) | instskip(NEXT) | instid1(VALU_DEP_1)
	v_clz_i32_u32_e32 v113, v103
	v_min_u32_e32 v113, 32, v113
	s_delay_alu instid0(VALU_DEP_1) | instskip(SKIP_1) | instid1(VALU_DEP_2)
	v_subrev_nc_u32_e32 v114, 29, v113
	v_sub_nc_u32_e32 v113, 30, v113
	v_lshlrev_b32_e32 v112, v114, v112
	v_bfe_u32 v114, v16, 18, 5
	s_delay_alu instid0(VALU_DEP_2) | instskip(NEXT) | instid1(VALU_DEP_2)
	v_and_b32_e32 v112, 3, v112
	v_cmp_eq_u32_e64 s7, 0, v114
	s_delay_alu instid0(VALU_DEP_1) | instskip(NEXT) | instid1(VALU_DEP_3)
	v_cndmask_b32_e64 v113, v114, v113, s7
	v_cndmask_b32_e64 v103, v103, v112, s7
	v_and_b32_e32 v112, 0x80000000, v115
	s_delay_alu instid0(VALU_DEP_3) | instskip(NEXT) | instid1(VALU_DEP_3)
	v_lshl_add_u32 v113, v113, 23, 0x37800000
	v_lshlrev_b32_e32 v103, 21, v103
	s_delay_alu instid0(VALU_DEP_1)
	v_or3_b32 v103, v112, v113, v103
.LBB4_2845:                             ;   in Loop: Header=BB4_2681 Depth=2
	s_or_b32 exec_lo, exec_lo, s24
	v_lshrrev_b32_e32 v112, 16, v12
	s_mov_b32 s10, 0
	s_mov_b32 s25, exec_lo
                                        ; implicit-def: $sgpr24
	s_delay_alu instid0(VALU_DEP_1) | instskip(NEXT) | instid1(VALU_DEP_1)
	v_and_b32_e32 v114, 0xff, v112
	v_cmpx_lt_i16_e32 0x7f, v114
	s_xor_b32 s25, exec_lo, s25
	s_cbranch_execnz .LBB4_3019
; %bb.2846:                             ;   in Loop: Header=BB4_2681 Depth=2
	s_or_saveexec_b32 s25, s25
	v_mov_b32_e32 v113, s24
	s_xor_b32 exec_lo, exec_lo, s25
	s_cbranch_execnz .LBB4_3022
.LBB4_2847:                             ;   in Loop: Header=BB4_2681 Depth=2
	s_or_b32 exec_lo, exec_lo, s25
	s_and_saveexec_b32 s24, s10
	s_cbranch_execz .LBB4_2849
.LBB4_2848:                             ;   in Loop: Header=BB4_2681 Depth=2
	v_bfe_u32 v113, v12, 16, 2
	v_lshlrev_b32_e32 v116, 8, v12
	s_delay_alu instid0(VALU_DEP_2) | instskip(NEXT) | instid1(VALU_DEP_1)
	v_clz_i32_u32_e32 v114, v113
	v_min_u32_e32 v114, 32, v114
	s_delay_alu instid0(VALU_DEP_1) | instskip(SKIP_1) | instid1(VALU_DEP_2)
	v_subrev_nc_u32_e32 v115, 29, v114
	v_sub_nc_u32_e32 v114, 30, v114
	v_lshlrev_b32_e32 v112, v115, v112
	v_bfe_u32 v115, v12, 18, 5
	s_delay_alu instid0(VALU_DEP_2) | instskip(NEXT) | instid1(VALU_DEP_2)
	v_and_b32_e32 v112, 3, v112
	v_cmp_eq_u32_e64 s7, 0, v115
	s_delay_alu instid0(VALU_DEP_1) | instskip(NEXT) | instid1(VALU_DEP_3)
	v_cndmask_b32_e64 v114, v115, v114, s7
	v_cndmask_b32_e64 v112, v113, v112, s7
	v_and_b32_e32 v113, 0x80000000, v116
	s_delay_alu instid0(VALU_DEP_3) | instskip(NEXT) | instid1(VALU_DEP_3)
	v_lshl_add_u32 v114, v114, 23, 0x37800000
	v_lshlrev_b32_e32 v112, 21, v112
	s_delay_alu instid0(VALU_DEP_1)
	v_or3_b32 v113, v113, v114, v112
.LBB4_2849:                             ;   in Loop: Header=BB4_2681 Depth=2
	s_or_b32 exec_lo, exec_lo, s24
	s_delay_alu instid0(VALU_DEP_1) | instskip(NEXT) | instid1(VALU_DEP_1)
	v_mul_f32_e32 v112, v103, v113
	v_and_b32_e32 v103, 0x7f800000, v112
	s_delay_alu instid0(VALU_DEP_1) | instskip(SKIP_1) | instid1(VALU_DEP_2)
	v_cmp_ne_u32_e64 s7, 0x7f800000, v103
	v_mov_b32_e32 v103, 0x80
	s_and_saveexec_b32 s24, s7
	s_cbranch_execz .LBB4_2857
; %bb.2850:                             ;   in Loop: Header=BB4_2681 Depth=2
	v_mov_b32_e32 v103, 0
	s_mov_b32 s25, exec_lo
	v_cmpx_ne_u32_e32 0, v112
	s_cbranch_execz .LBB4_2856
; %bb.2851:                             ;   in Loop: Header=BB4_2681 Depth=2
	v_bfe_u32 v103, v112, 23, 8
	v_and_b32_e32 v113, 0x7fffff, v112
	s_delay_alu instid0(VALU_DEP_2) | instskip(SKIP_1) | instid1(VALU_DEP_3)
	v_sub_nc_u32_e32 v114, 0x70, v103
	v_cmp_gt_u32_e64 s7, 0x71, v103
	v_or_b32_e32 v115, 0x800000, v113
	s_delay_alu instid0(VALU_DEP_2) | instskip(SKIP_2) | instid1(VALU_DEP_2)
	v_cndmask_b32_e64 v114, 0, v114, s7
	v_cmp_eq_u32_e64 s7, 0, v103
	v_add_nc_u32_e32 v103, 0xffffff91, v103
	v_cndmask_b32_e64 v114, v114, 0x6f, s7
	v_cndmask_b32_e64 v113, v115, v113, s7
	s_delay_alu instid0(VALU_DEP_3) | instskip(NEXT) | instid1(VALU_DEP_3)
	v_cndmask_b32_e64 v103, v103, 0xffffff92, s7
	v_lshl_add_u32 v115, 0x200000, v114, -1
	s_delay_alu instid0(VALU_DEP_3) | instskip(SKIP_1) | instid1(VALU_DEP_4)
	v_lshrrev_b32_e32 v116, v114, v113
	v_lshlrev_b32_e64 v118, v114, 0x100000
	v_add_nc_u32_e32 v114, v114, v103
	s_delay_alu instid0(VALU_DEP_4) | instskip(NEXT) | instid1(VALU_DEP_4)
	v_and_b32_e32 v113, v115, v113
	v_bfe_u32 v117, v116, 21, 1
	s_delay_alu instid0(VALU_DEP_2) | instskip(NEXT) | instid1(VALU_DEP_2)
	v_cmp_eq_u32_e64 s10, v113, v118
	v_add_nc_u32_e32 v115, -1, v117
	s_delay_alu instid0(VALU_DEP_1) | instskip(SKIP_2) | instid1(VALU_DEP_2)
	v_cndmask_b32_e64 v113, 0, v115, s10
	v_lshrrev_b32_e32 v115, 23, v116
	s_mov_b32 s10, exec_lo
	v_add_nc_u32_e32 v113, v113, v116
	s_delay_alu instid0(VALU_DEP_2) | instskip(NEXT) | instid1(VALU_DEP_2)
	v_xor_b32_e32 v115, 1, v115
	v_and_b32_e32 v103, 0x1fffff, v113
	s_delay_alu instid0(VALU_DEP_1) | instskip(NEXT) | instid1(VALU_DEP_3)
	v_add_nc_u32_e32 v113, v103, v116
                                        ; implicit-def: $vgpr103
	v_cmpx_ne_u32_e64 v114, v115
	s_xor_b32 s10, exec_lo, s10
; %bb.2852:                             ;   in Loop: Header=BB4_2681 Depth=2
	s_delay_alu instid0(VALU_DEP_2) | instskip(SKIP_1) | instid1(VALU_DEP_2)
	v_cmp_lt_u32_e64 s7, 0xffffff, v113
	v_sub_nc_u32_e32 v103, v114, v115
	v_cndmask_b32_e64 v114, 0, 1, s7
	s_delay_alu instid0(VALU_DEP_2) | instskip(NEXT) | instid1(VALU_DEP_2)
	v_add_co_ci_u32_e64 v103, s7, 0, v103, s7
	v_lshrrev_b32_e32 v113, v114, v113
; %bb.2853:                             ;   in Loop: Header=BB4_2681 Depth=2
	s_and_not1_saveexec_b32 s7, s10
; %bb.2854:                             ;   in Loop: Header=BB4_2681 Depth=2
	s_delay_alu instid0(VALU_DEP_1)
	v_bfe_u32 v103, v113, 23, 1
; %bb.2855:                             ;   in Loop: Header=BB4_2681 Depth=2
	s_or_b32 exec_lo, exec_lo, s7
	v_lshrrev_b32_e32 v113, 21, v113
	s_delay_alu instid0(VALU_DEP_2) | instskip(SKIP_2) | instid1(VALU_DEP_3)
	v_cmp_gt_i32_e64 s7, 32, v103
	v_lshrrev_b32_e32 v112, 24, v112
	v_min_i32_e32 v114, 31, v103
	v_cndmask_b32_e64 v113, 3, v113, s7
	s_delay_alu instid0(VALU_DEP_3) | instskip(NEXT) | instid1(VALU_DEP_3)
	v_and_b32_e32 v112, 0x80, v112
	v_lshlrev_b32_e32 v114, 2, v114
	s_delay_alu instid0(VALU_DEP_3) | instskip(SKIP_1) | instid1(VALU_DEP_2)
	v_and_b32_e32 v115, 3, v113
	v_or_b32_e32 v103, v103, v113
	v_or3_b32 v112, v114, v112, v115
	s_delay_alu instid0(VALU_DEP_2) | instskip(NEXT) | instid1(VALU_DEP_1)
	v_cmp_ne_u32_e64 s7, 0, v103
	v_cndmask_b32_e64 v103, 0, v112, s7
.LBB4_2856:                             ;   in Loop: Header=BB4_2681 Depth=2
	s_or_b32 exec_lo, exec_lo, s25
.LBB4_2857:                             ;   in Loop: Header=BB4_2681 Depth=2
	s_delay_alu instid0(SALU_CYCLE_1) | instskip(SKIP_3) | instid1(VALU_DEP_1)
	s_or_b32 exec_lo, exec_lo, s24
	v_lshrrev_b32_e32 v113, 24, v16
	s_mov_b32 s10, 0
	s_mov_b32 s25, exec_lo
                                        ; implicit-def: $sgpr24
	v_cmpx_lt_i16_e32 0x7f, v113
	s_xor_b32 s25, exec_lo, s25
	s_cbranch_execnz .LBB4_3023
; %bb.2858:                             ;   in Loop: Header=BB4_2681 Depth=2
	s_or_saveexec_b32 s25, s25
	v_mov_b32_e32 v112, s24
	s_xor_b32 exec_lo, exec_lo, s25
	s_cbranch_execnz .LBB4_3026
.LBB4_2859:                             ;   in Loop: Header=BB4_2681 Depth=2
	s_or_b32 exec_lo, exec_lo, s25
	s_and_saveexec_b32 s24, s10
	s_cbranch_execz .LBB4_2861
.LBB4_2860:                             ;   in Loop: Header=BB4_2681 Depth=2
	v_bfe_u32 v112, v16, 24, 2
	s_delay_alu instid0(VALU_DEP_1) | instskip(NEXT) | instid1(VALU_DEP_1)
	v_clz_i32_u32_e32 v114, v112
	v_min_u32_e32 v114, 32, v114
	s_delay_alu instid0(VALU_DEP_1) | instskip(SKIP_1) | instid1(VALU_DEP_2)
	v_subrev_nc_u32_e32 v115, 29, v114
	v_sub_nc_u32_e32 v114, 30, v114
	v_lshlrev_b32_e32 v113, v115, v113
	v_bfe_u32 v115, v16, 26, 5
	v_and_b32_e32 v16, 0x80000000, v16
	s_delay_alu instid0(VALU_DEP_3) | instskip(NEXT) | instid1(VALU_DEP_3)
	v_and_b32_e32 v113, 3, v113
	v_cmp_eq_u32_e64 s7, 0, v115
	s_delay_alu instid0(VALU_DEP_1) | instskip(NEXT) | instid1(VALU_DEP_3)
	v_cndmask_b32_e64 v114, v115, v114, s7
	v_cndmask_b32_e64 v112, v112, v113, s7
	s_delay_alu instid0(VALU_DEP_2) | instskip(NEXT) | instid1(VALU_DEP_2)
	v_lshl_add_u32 v113, v114, 23, 0x37800000
	v_lshlrev_b32_e32 v112, 21, v112
	s_delay_alu instid0(VALU_DEP_1)
	v_or3_b32 v112, v16, v113, v112
.LBB4_2861:                             ;   in Loop: Header=BB4_2681 Depth=2
	s_or_b32 exec_lo, exec_lo, s24
	v_lshrrev_b32_e32 v16, 24, v12
	s_mov_b32 s10, 0
	s_mov_b32 s25, exec_lo
                                        ; implicit-def: $sgpr24
	s_delay_alu instid0(VALU_DEP_1)
	v_cmpx_lt_i16_e32 0x7f, v16
	s_xor_b32 s25, exec_lo, s25
	s_cbranch_execnz .LBB4_3027
; %bb.2862:                             ;   in Loop: Header=BB4_2681 Depth=2
	s_or_saveexec_b32 s25, s25
	v_mov_b32_e32 v113, s24
	s_xor_b32 exec_lo, exec_lo, s25
	s_cbranch_execnz .LBB4_3030
.LBB4_2863:                             ;   in Loop: Header=BB4_2681 Depth=2
	s_or_b32 exec_lo, exec_lo, s25
	s_and_saveexec_b32 s24, s10
	s_cbranch_execz .LBB4_2865
.LBB4_2864:                             ;   in Loop: Header=BB4_2681 Depth=2
	v_bfe_u32 v113, v12, 24, 2
	s_delay_alu instid0(VALU_DEP_1) | instskip(NEXT) | instid1(VALU_DEP_1)
	v_clz_i32_u32_e32 v114, v113
	v_min_u32_e32 v114, 32, v114
	s_delay_alu instid0(VALU_DEP_1) | instskip(SKIP_1) | instid1(VALU_DEP_2)
	v_subrev_nc_u32_e32 v115, 29, v114
	v_sub_nc_u32_e32 v114, 30, v114
	v_lshlrev_b32_e32 v16, v115, v16
	v_bfe_u32 v115, v12, 26, 5
	v_and_b32_e32 v12, 0x80000000, v12
	s_delay_alu instid0(VALU_DEP_3) | instskip(NEXT) | instid1(VALU_DEP_3)
	v_and_b32_e32 v16, 3, v16
	v_cmp_eq_u32_e64 s7, 0, v115
	s_delay_alu instid0(VALU_DEP_1) | instskip(NEXT) | instid1(VALU_DEP_3)
	v_cndmask_b32_e64 v114, v115, v114, s7
	v_cndmask_b32_e64 v16, v113, v16, s7
	s_delay_alu instid0(VALU_DEP_2) | instskip(NEXT) | instid1(VALU_DEP_2)
	v_lshl_add_u32 v113, v114, 23, 0x37800000
	v_lshlrev_b32_e32 v16, 21, v16
	s_delay_alu instid0(VALU_DEP_1)
	v_or3_b32 v113, v12, v113, v16
.LBB4_2865:                             ;   in Loop: Header=BB4_2681 Depth=2
	s_or_b32 exec_lo, exec_lo, s24
	s_delay_alu instid0(VALU_DEP_1) | instskip(NEXT) | instid1(VALU_DEP_1)
	v_mul_f32_e32 v16, v112, v113
	v_and_b32_e32 v12, 0x7f800000, v16
	s_delay_alu instid0(VALU_DEP_1) | instskip(SKIP_1) | instid1(VALU_DEP_2)
	v_cmp_ne_u32_e64 s7, 0x7f800000, v12
	v_mov_b32_e32 v12, 0x80
	s_and_saveexec_b32 s24, s7
	s_cbranch_execz .LBB4_2873
; %bb.2866:                             ;   in Loop: Header=BB4_2681 Depth=2
	v_mov_b32_e32 v12, 0
	s_mov_b32 s25, exec_lo
	v_cmpx_ne_u32_e32 0, v16
	s_cbranch_execz .LBB4_2872
; %bb.2867:                             ;   in Loop: Header=BB4_2681 Depth=2
	v_bfe_u32 v12, v16, 23, 8
	v_and_b32_e32 v112, 0x7fffff, v16
	s_delay_alu instid0(VALU_DEP_2) | instskip(SKIP_1) | instid1(VALU_DEP_3)
	v_sub_nc_u32_e32 v113, 0x70, v12
	v_cmp_gt_u32_e64 s7, 0x71, v12
	v_or_b32_e32 v114, 0x800000, v112
	s_delay_alu instid0(VALU_DEP_2) | instskip(SKIP_2) | instid1(VALU_DEP_2)
	v_cndmask_b32_e64 v113, 0, v113, s7
	v_cmp_eq_u32_e64 s7, 0, v12
	v_add_nc_u32_e32 v12, 0xffffff91, v12
	v_cndmask_b32_e64 v113, v113, 0x6f, s7
	v_cndmask_b32_e64 v112, v114, v112, s7
	s_delay_alu instid0(VALU_DEP_3) | instskip(NEXT) | instid1(VALU_DEP_3)
	v_cndmask_b32_e64 v12, v12, 0xffffff92, s7
	v_lshl_add_u32 v114, 0x200000, v113, -1
	s_delay_alu instid0(VALU_DEP_3) | instskip(SKIP_1) | instid1(VALU_DEP_4)
	v_lshrrev_b32_e32 v115, v113, v112
	v_lshlrev_b32_e64 v117, v113, 0x100000
	v_add_nc_u32_e32 v113, v113, v12
	s_delay_alu instid0(VALU_DEP_4) | instskip(NEXT) | instid1(VALU_DEP_4)
	v_and_b32_e32 v112, v114, v112
	v_bfe_u32 v116, v115, 21, 1
	s_delay_alu instid0(VALU_DEP_2) | instskip(NEXT) | instid1(VALU_DEP_2)
	v_cmp_eq_u32_e64 s10, v112, v117
	v_add_nc_u32_e32 v114, -1, v116
	s_delay_alu instid0(VALU_DEP_1) | instskip(SKIP_2) | instid1(VALU_DEP_2)
	v_cndmask_b32_e64 v112, 0, v114, s10
	v_lshrrev_b32_e32 v114, 23, v115
	s_mov_b32 s10, exec_lo
	v_add_nc_u32_e32 v112, v112, v115
	s_delay_alu instid0(VALU_DEP_2) | instskip(NEXT) | instid1(VALU_DEP_2)
	v_xor_b32_e32 v114, 1, v114
	v_and_b32_e32 v12, 0x1fffff, v112
	s_delay_alu instid0(VALU_DEP_1) | instskip(NEXT) | instid1(VALU_DEP_3)
	v_add_nc_u32_e32 v112, v12, v115
                                        ; implicit-def: $vgpr12
	v_cmpx_ne_u32_e64 v113, v114
	s_xor_b32 s10, exec_lo, s10
; %bb.2868:                             ;   in Loop: Header=BB4_2681 Depth=2
	s_delay_alu instid0(VALU_DEP_2) | instskip(SKIP_1) | instid1(VALU_DEP_2)
	v_cmp_lt_u32_e64 s7, 0xffffff, v112
	v_sub_nc_u32_e32 v12, v113, v114
	v_cndmask_b32_e64 v113, 0, 1, s7
	s_delay_alu instid0(VALU_DEP_2) | instskip(NEXT) | instid1(VALU_DEP_2)
	v_add_co_ci_u32_e64 v12, s7, 0, v12, s7
	v_lshrrev_b32_e32 v112, v113, v112
; %bb.2869:                             ;   in Loop: Header=BB4_2681 Depth=2
	s_and_not1_saveexec_b32 s7, s10
; %bb.2870:                             ;   in Loop: Header=BB4_2681 Depth=2
	s_delay_alu instid0(VALU_DEP_1)
	v_bfe_u32 v12, v112, 23, 1
; %bb.2871:                             ;   in Loop: Header=BB4_2681 Depth=2
	s_or_b32 exec_lo, exec_lo, s7
	v_lshrrev_b32_e32 v112, 21, v112
	s_delay_alu instid0(VALU_DEP_2) | instskip(SKIP_2) | instid1(VALU_DEP_3)
	v_cmp_gt_i32_e64 s7, 32, v12
	v_lshrrev_b32_e32 v16, 24, v16
	v_min_i32_e32 v113, 31, v12
	v_cndmask_b32_e64 v112, 3, v112, s7
	s_delay_alu instid0(VALU_DEP_3) | instskip(NEXT) | instid1(VALU_DEP_3)
	v_and_b32_e32 v16, 0x80, v16
	v_lshlrev_b32_e32 v113, 2, v113
	s_delay_alu instid0(VALU_DEP_3) | instskip(SKIP_1) | instid1(VALU_DEP_2)
	v_and_b32_e32 v114, 3, v112
	v_or_b32_e32 v12, v12, v112
	v_or3_b32 v16, v113, v16, v114
	s_delay_alu instid0(VALU_DEP_2) | instskip(NEXT) | instid1(VALU_DEP_1)
	v_cmp_ne_u32_e64 s7, 0, v12
	v_cndmask_b32_e64 v12, 0, v16, s7
.LBB4_2872:                             ;   in Loop: Header=BB4_2681 Depth=2
	s_or_b32 exec_lo, exec_lo, s25
.LBB4_2873:                             ;   in Loop: Header=BB4_2681 Depth=2
	s_delay_alu instid0(SALU_CYCLE_1) | instskip(SKIP_3) | instid1(VALU_DEP_1)
	s_or_b32 exec_lo, exec_lo, s24
	v_and_b32_e32 v112, 0xff, v17
	s_mov_b32 s10, 0
	s_mov_b32 s25, exec_lo
                                        ; implicit-def: $sgpr24
	v_cmpx_lt_i16_e32 0x7f, v112
	s_xor_b32 s25, exec_lo, s25
	s_cbranch_execnz .LBB4_3031
; %bb.2874:                             ;   in Loop: Header=BB4_2681 Depth=2
	s_or_saveexec_b32 s25, s25
	v_mov_b32_e32 v16, s24
	s_xor_b32 exec_lo, exec_lo, s25
	s_cbranch_execnz .LBB4_3034
.LBB4_2875:                             ;   in Loop: Header=BB4_2681 Depth=2
	s_or_b32 exec_lo, exec_lo, s25
	s_and_saveexec_b32 s24, s10
	s_cbranch_execz .LBB4_2877
.LBB4_2876:                             ;   in Loop: Header=BB4_2681 Depth=2
	v_and_b32_e32 v16, 3, v17
	v_bfe_u32 v114, v17, 2, 5
	v_lshlrev_b32_e32 v115, 24, v17
	s_delay_alu instid0(VALU_DEP_3) | instskip(NEXT) | instid1(VALU_DEP_3)
	v_clz_i32_u32_e32 v112, v16
	v_cmp_eq_u32_e64 s7, 0, v114
	s_delay_alu instid0(VALU_DEP_2) | instskip(NEXT) | instid1(VALU_DEP_1)
	v_min_u32_e32 v112, 32, v112
	v_subrev_nc_u32_e32 v113, 29, v112
	v_sub_nc_u32_e32 v112, 30, v112
	s_delay_alu instid0(VALU_DEP_2) | instskip(NEXT) | instid1(VALU_DEP_2)
	v_lshlrev_b32_e32 v113, v113, v17
	v_cndmask_b32_e64 v112, v114, v112, s7
	s_delay_alu instid0(VALU_DEP_2) | instskip(NEXT) | instid1(VALU_DEP_2)
	v_and_b32_e32 v113, 3, v113
	v_lshl_add_u32 v112, v112, 23, 0x37800000
	s_delay_alu instid0(VALU_DEP_2) | instskip(SKIP_1) | instid1(VALU_DEP_2)
	v_cndmask_b32_e64 v16, v16, v113, s7
	v_and_b32_e32 v113, 0x80000000, v115
	v_lshlrev_b32_e32 v16, 21, v16
	s_delay_alu instid0(VALU_DEP_1)
	v_or3_b32 v16, v113, v112, v16
.LBB4_2877:                             ;   in Loop: Header=BB4_2681 Depth=2
	s_or_b32 exec_lo, exec_lo, s24
	v_and_b32_e32 v113, 0xff, v13
	s_mov_b32 s10, 0
	s_mov_b32 s25, exec_lo
                                        ; implicit-def: $sgpr24
	s_delay_alu instid0(VALU_DEP_1)
	v_cmpx_lt_i16_e32 0x7f, v113
	s_xor_b32 s25, exec_lo, s25
	s_cbranch_execnz .LBB4_3035
; %bb.2878:                             ;   in Loop: Header=BB4_2681 Depth=2
	s_or_saveexec_b32 s25, s25
	v_mov_b32_e32 v112, s24
	s_xor_b32 exec_lo, exec_lo, s25
	s_cbranch_execnz .LBB4_3038
.LBB4_2879:                             ;   in Loop: Header=BB4_2681 Depth=2
	s_or_b32 exec_lo, exec_lo, s25
	s_and_saveexec_b32 s24, s10
	s_cbranch_execz .LBB4_2881
.LBB4_2880:                             ;   in Loop: Header=BB4_2681 Depth=2
	v_and_b32_e32 v112, 3, v13
	v_bfe_u32 v115, v13, 2, 5
	v_lshlrev_b32_e32 v116, 24, v13
	s_delay_alu instid0(VALU_DEP_3) | instskip(NEXT) | instid1(VALU_DEP_3)
	v_clz_i32_u32_e32 v113, v112
	v_cmp_eq_u32_e64 s7, 0, v115
	s_delay_alu instid0(VALU_DEP_2) | instskip(NEXT) | instid1(VALU_DEP_1)
	v_min_u32_e32 v113, 32, v113
	v_subrev_nc_u32_e32 v114, 29, v113
	v_sub_nc_u32_e32 v113, 30, v113
	s_delay_alu instid0(VALU_DEP_2) | instskip(NEXT) | instid1(VALU_DEP_2)
	v_lshlrev_b32_e32 v114, v114, v13
	v_cndmask_b32_e64 v113, v115, v113, s7
	s_delay_alu instid0(VALU_DEP_2) | instskip(NEXT) | instid1(VALU_DEP_2)
	v_and_b32_e32 v114, 3, v114
	v_lshl_add_u32 v113, v113, 23, 0x37800000
	s_delay_alu instid0(VALU_DEP_2) | instskip(SKIP_1) | instid1(VALU_DEP_2)
	v_cndmask_b32_e64 v112, v112, v114, s7
	v_and_b32_e32 v114, 0x80000000, v116
	v_lshlrev_b32_e32 v112, 21, v112
	s_delay_alu instid0(VALU_DEP_1)
	v_or3_b32 v112, v114, v113, v112
.LBB4_2881:                             ;   in Loop: Header=BB4_2681 Depth=2
	s_or_b32 exec_lo, exec_lo, s24
	s_delay_alu instid0(VALU_DEP_1) | instskip(NEXT) | instid1(VALU_DEP_1)
	v_mul_f32_e32 v112, v16, v112
	v_and_b32_e32 v16, 0x7f800000, v112
	s_delay_alu instid0(VALU_DEP_1) | instskip(SKIP_1) | instid1(VALU_DEP_2)
	v_cmp_ne_u32_e64 s7, 0x7f800000, v16
	v_mov_b32_e32 v16, 0x80
	s_and_saveexec_b32 s24, s7
	s_cbranch_execz .LBB4_2889
; %bb.2882:                             ;   in Loop: Header=BB4_2681 Depth=2
	v_mov_b32_e32 v16, 0
	s_mov_b32 s25, exec_lo
	v_cmpx_ne_u32_e32 0, v112
	s_cbranch_execz .LBB4_2888
; %bb.2883:                             ;   in Loop: Header=BB4_2681 Depth=2
	v_bfe_u32 v16, v112, 23, 8
	v_and_b32_e32 v113, 0x7fffff, v112
	s_delay_alu instid0(VALU_DEP_2) | instskip(SKIP_1) | instid1(VALU_DEP_3)
	v_sub_nc_u32_e32 v114, 0x70, v16
	v_cmp_gt_u32_e64 s7, 0x71, v16
	v_or_b32_e32 v115, 0x800000, v113
	s_delay_alu instid0(VALU_DEP_2) | instskip(SKIP_2) | instid1(VALU_DEP_2)
	v_cndmask_b32_e64 v114, 0, v114, s7
	v_cmp_eq_u32_e64 s7, 0, v16
	v_add_nc_u32_e32 v16, 0xffffff91, v16
	v_cndmask_b32_e64 v114, v114, 0x6f, s7
	v_cndmask_b32_e64 v113, v115, v113, s7
	s_delay_alu instid0(VALU_DEP_3) | instskip(NEXT) | instid1(VALU_DEP_3)
	v_cndmask_b32_e64 v16, v16, 0xffffff92, s7
	v_lshl_add_u32 v115, 0x200000, v114, -1
	s_delay_alu instid0(VALU_DEP_3) | instskip(SKIP_1) | instid1(VALU_DEP_4)
	v_lshrrev_b32_e32 v116, v114, v113
	v_lshlrev_b32_e64 v118, v114, 0x100000
	v_add_nc_u32_e32 v114, v114, v16
	s_delay_alu instid0(VALU_DEP_4) | instskip(NEXT) | instid1(VALU_DEP_4)
	v_and_b32_e32 v113, v115, v113
	v_bfe_u32 v117, v116, 21, 1
	s_delay_alu instid0(VALU_DEP_2) | instskip(NEXT) | instid1(VALU_DEP_2)
	v_cmp_eq_u32_e64 s10, v113, v118
	v_add_nc_u32_e32 v115, -1, v117
	s_delay_alu instid0(VALU_DEP_1) | instskip(SKIP_2) | instid1(VALU_DEP_2)
	v_cndmask_b32_e64 v113, 0, v115, s10
	v_lshrrev_b32_e32 v115, 23, v116
	s_mov_b32 s10, exec_lo
	v_add_nc_u32_e32 v113, v113, v116
	s_delay_alu instid0(VALU_DEP_2) | instskip(NEXT) | instid1(VALU_DEP_2)
	v_xor_b32_e32 v115, 1, v115
	v_and_b32_e32 v16, 0x1fffff, v113
	s_delay_alu instid0(VALU_DEP_1) | instskip(NEXT) | instid1(VALU_DEP_3)
	v_add_nc_u32_e32 v113, v16, v116
                                        ; implicit-def: $vgpr16
	v_cmpx_ne_u32_e64 v114, v115
	s_xor_b32 s10, exec_lo, s10
; %bb.2884:                             ;   in Loop: Header=BB4_2681 Depth=2
	s_delay_alu instid0(VALU_DEP_2) | instskip(SKIP_1) | instid1(VALU_DEP_2)
	v_cmp_lt_u32_e64 s7, 0xffffff, v113
	v_sub_nc_u32_e32 v16, v114, v115
	v_cndmask_b32_e64 v114, 0, 1, s7
	s_delay_alu instid0(VALU_DEP_2) | instskip(NEXT) | instid1(VALU_DEP_2)
	v_add_co_ci_u32_e64 v16, s7, 0, v16, s7
	v_lshrrev_b32_e32 v113, v114, v113
; %bb.2885:                             ;   in Loop: Header=BB4_2681 Depth=2
	s_and_not1_saveexec_b32 s7, s10
; %bb.2886:                             ;   in Loop: Header=BB4_2681 Depth=2
	s_delay_alu instid0(VALU_DEP_1)
	v_bfe_u32 v16, v113, 23, 1
; %bb.2887:                             ;   in Loop: Header=BB4_2681 Depth=2
	s_or_b32 exec_lo, exec_lo, s7
	v_lshrrev_b32_e32 v113, 21, v113
	s_delay_alu instid0(VALU_DEP_2) | instskip(SKIP_2) | instid1(VALU_DEP_3)
	v_cmp_gt_i32_e64 s7, 32, v16
	v_lshrrev_b32_e32 v112, 24, v112
	v_min_i32_e32 v114, 31, v16
	v_cndmask_b32_e64 v113, 3, v113, s7
	s_delay_alu instid0(VALU_DEP_3) | instskip(NEXT) | instid1(VALU_DEP_3)
	v_and_b32_e32 v112, 0x80, v112
	v_lshlrev_b32_e32 v114, 2, v114
	s_delay_alu instid0(VALU_DEP_3) | instskip(SKIP_1) | instid1(VALU_DEP_2)
	v_and_b32_e32 v115, 3, v113
	v_or_b32_e32 v16, v16, v113
	v_or3_b32 v112, v114, v112, v115
	s_delay_alu instid0(VALU_DEP_2) | instskip(NEXT) | instid1(VALU_DEP_1)
	v_cmp_ne_u32_e64 s7, 0, v16
	v_cndmask_b32_e64 v16, 0, v112, s7
.LBB4_2888:                             ;   in Loop: Header=BB4_2681 Depth=2
	s_or_b32 exec_lo, exec_lo, s25
.LBB4_2889:                             ;   in Loop: Header=BB4_2681 Depth=2
	s_delay_alu instid0(SALU_CYCLE_1) | instskip(SKIP_3) | instid1(VALU_DEP_1)
	s_or_b32 exec_lo, exec_lo, s24
	v_lshrrev_b16 v113, 8, v17
	s_mov_b32 s10, 0
	s_mov_b32 s25, exec_lo
                                        ; implicit-def: $sgpr24
	v_cmpx_lt_i16_e32 0x7f, v113
	s_xor_b32 s25, exec_lo, s25
	s_cbranch_execnz .LBB4_3039
; %bb.2890:                             ;   in Loop: Header=BB4_2681 Depth=2
	s_or_saveexec_b32 s25, s25
	v_mov_b32_e32 v112, s24
	s_xor_b32 exec_lo, exec_lo, s25
	s_cbranch_execnz .LBB4_3042
.LBB4_2891:                             ;   in Loop: Header=BB4_2681 Depth=2
	s_or_b32 exec_lo, exec_lo, s25
	s_and_saveexec_b32 s24, s10
	s_cbranch_execz .LBB4_2893
.LBB4_2892:                             ;   in Loop: Header=BB4_2681 Depth=2
	v_and_b32_e32 v112, 0xffff, v113
	v_lshlrev_b32_e32 v113, 24, v113
	s_delay_alu instid0(VALU_DEP_2) | instskip(NEXT) | instid1(VALU_DEP_2)
	v_and_b32_e32 v114, 3, v112
	v_and_b32_e32 v113, 0x80000000, v113
	s_delay_alu instid0(VALU_DEP_2) | instskip(NEXT) | instid1(VALU_DEP_1)
	v_clz_i32_u32_e32 v115, v114
	v_min_u32_e32 v115, 32, v115
	s_delay_alu instid0(VALU_DEP_1) | instskip(SKIP_1) | instid1(VALU_DEP_2)
	v_subrev_nc_u32_e32 v116, 29, v115
	v_sub_nc_u32_e32 v115, 30, v115
	v_lshlrev_b32_e32 v116, v116, v112
	v_bfe_u32 v112, v112, 2, 5
	s_delay_alu instid0(VALU_DEP_2) | instskip(NEXT) | instid1(VALU_DEP_2)
	v_and_b32_e32 v116, 3, v116
	v_cmp_eq_u32_e64 s7, 0, v112
	s_delay_alu instid0(VALU_DEP_1) | instskip(NEXT) | instid1(VALU_DEP_3)
	v_cndmask_b32_e64 v112, v112, v115, s7
	v_cndmask_b32_e64 v114, v114, v116, s7
	s_delay_alu instid0(VALU_DEP_2) | instskip(NEXT) | instid1(VALU_DEP_2)
	v_lshl_add_u32 v112, v112, 23, 0x37800000
	v_lshlrev_b32_e32 v114, 21, v114
	s_delay_alu instid0(VALU_DEP_1)
	v_or3_b32 v112, v113, v112, v114
.LBB4_2893:                             ;   in Loop: Header=BB4_2681 Depth=2
	s_or_b32 exec_lo, exec_lo, s24
	v_lshrrev_b16 v113, 8, v13
	s_mov_b32 s10, 0
	s_mov_b32 s25, exec_lo
                                        ; implicit-def: $sgpr24
	s_delay_alu instid0(VALU_DEP_1)
	v_cmpx_lt_i16_e32 0x7f, v113
	s_xor_b32 s25, exec_lo, s25
	s_cbranch_execnz .LBB4_3043
; %bb.2894:                             ;   in Loop: Header=BB4_2681 Depth=2
	s_or_saveexec_b32 s25, s25
	v_mov_b32_e32 v114, s24
	s_xor_b32 exec_lo, exec_lo, s25
	s_cbranch_execnz .LBB4_3046
.LBB4_2895:                             ;   in Loop: Header=BB4_2681 Depth=2
	s_or_b32 exec_lo, exec_lo, s25
	s_and_saveexec_b32 s24, s10
	s_cbranch_execz .LBB4_2897
.LBB4_2896:                             ;   in Loop: Header=BB4_2681 Depth=2
	v_and_b32_e32 v114, 0xffff, v113
	v_lshlrev_b32_e32 v113, 24, v113
	s_delay_alu instid0(VALU_DEP_2) | instskip(NEXT) | instid1(VALU_DEP_2)
	v_and_b32_e32 v115, 3, v114
	v_and_b32_e32 v113, 0x80000000, v113
	s_delay_alu instid0(VALU_DEP_2) | instskip(NEXT) | instid1(VALU_DEP_1)
	v_clz_i32_u32_e32 v116, v115
	v_min_u32_e32 v116, 32, v116
	s_delay_alu instid0(VALU_DEP_1) | instskip(SKIP_1) | instid1(VALU_DEP_2)
	v_subrev_nc_u32_e32 v117, 29, v116
	v_sub_nc_u32_e32 v116, 30, v116
	v_lshlrev_b32_e32 v117, v117, v114
	v_bfe_u32 v114, v114, 2, 5
	s_delay_alu instid0(VALU_DEP_2) | instskip(NEXT) | instid1(VALU_DEP_2)
	v_and_b32_e32 v117, 3, v117
	v_cmp_eq_u32_e64 s7, 0, v114
	s_delay_alu instid0(VALU_DEP_1) | instskip(NEXT) | instid1(VALU_DEP_3)
	v_cndmask_b32_e64 v114, v114, v116, s7
	v_cndmask_b32_e64 v115, v115, v117, s7
	s_delay_alu instid0(VALU_DEP_2) | instskip(NEXT) | instid1(VALU_DEP_2)
	v_lshl_add_u32 v114, v114, 23, 0x37800000
	v_lshlrev_b32_e32 v115, 21, v115
	s_delay_alu instid0(VALU_DEP_1)
	v_or3_b32 v114, v113, v114, v115
.LBB4_2897:                             ;   in Loop: Header=BB4_2681 Depth=2
	s_or_b32 exec_lo, exec_lo, s24
	s_delay_alu instid0(VALU_DEP_1) | instskip(NEXT) | instid1(VALU_DEP_1)
	v_mul_f32_e32 v113, v112, v114
	v_and_b32_e32 v112, 0x7f800000, v113
	s_delay_alu instid0(VALU_DEP_1) | instskip(SKIP_1) | instid1(VALU_DEP_2)
	v_cmp_ne_u32_e64 s7, 0x7f800000, v112
	v_mov_b32_e32 v112, 0x8000
	s_and_saveexec_b32 s24, s7
	s_cbranch_execz .LBB4_2905
; %bb.2898:                             ;   in Loop: Header=BB4_2681 Depth=2
	v_mov_b32_e32 v112, 0
	s_mov_b32 s25, exec_lo
	v_cmpx_ne_u32_e32 0, v113
	s_cbranch_execz .LBB4_2904
; %bb.2899:                             ;   in Loop: Header=BB4_2681 Depth=2
	v_bfe_u32 v112, v113, 23, 8
	v_and_b32_e32 v114, 0x7fffff, v113
	s_delay_alu instid0(VALU_DEP_2) | instskip(SKIP_1) | instid1(VALU_DEP_3)
	v_sub_nc_u32_e32 v115, 0x70, v112
	v_cmp_gt_u32_e64 s7, 0x71, v112
	v_or_b32_e32 v116, 0x800000, v114
	s_delay_alu instid0(VALU_DEP_2) | instskip(SKIP_2) | instid1(VALU_DEP_2)
	v_cndmask_b32_e64 v115, 0, v115, s7
	v_cmp_eq_u32_e64 s7, 0, v112
	v_add_nc_u32_e32 v112, 0xffffff91, v112
	v_cndmask_b32_e64 v115, v115, 0x6f, s7
	v_cndmask_b32_e64 v114, v116, v114, s7
	s_delay_alu instid0(VALU_DEP_3) | instskip(NEXT) | instid1(VALU_DEP_3)
	v_cndmask_b32_e64 v112, v112, 0xffffff92, s7
	v_lshl_add_u32 v116, 0x200000, v115, -1
	s_delay_alu instid0(VALU_DEP_3) | instskip(SKIP_1) | instid1(VALU_DEP_4)
	v_lshrrev_b32_e32 v117, v115, v114
	v_lshlrev_b32_e64 v119, v115, 0x100000
	v_add_nc_u32_e32 v115, v115, v112
	s_delay_alu instid0(VALU_DEP_4) | instskip(NEXT) | instid1(VALU_DEP_4)
	v_and_b32_e32 v114, v116, v114
	v_bfe_u32 v118, v117, 21, 1
	s_delay_alu instid0(VALU_DEP_2) | instskip(NEXT) | instid1(VALU_DEP_2)
	v_cmp_eq_u32_e64 s10, v114, v119
	v_add_nc_u32_e32 v116, -1, v118
	s_delay_alu instid0(VALU_DEP_1) | instskip(SKIP_2) | instid1(VALU_DEP_2)
	v_cndmask_b32_e64 v114, 0, v116, s10
	v_lshrrev_b32_e32 v116, 23, v117
	s_mov_b32 s10, exec_lo
	v_add_nc_u32_e32 v114, v114, v117
	s_delay_alu instid0(VALU_DEP_2) | instskip(NEXT) | instid1(VALU_DEP_2)
	v_xor_b32_e32 v116, 1, v116
	v_and_b32_e32 v112, 0x1fffff, v114
	s_delay_alu instid0(VALU_DEP_1) | instskip(NEXT) | instid1(VALU_DEP_3)
	v_add_nc_u32_e32 v114, v112, v117
                                        ; implicit-def: $vgpr112
	v_cmpx_ne_u32_e64 v115, v116
	s_xor_b32 s10, exec_lo, s10
; %bb.2900:                             ;   in Loop: Header=BB4_2681 Depth=2
	s_delay_alu instid0(VALU_DEP_2) | instskip(SKIP_1) | instid1(VALU_DEP_2)
	v_cmp_lt_u32_e64 s7, 0xffffff, v114
	v_sub_nc_u32_e32 v112, v115, v116
	v_cndmask_b32_e64 v115, 0, 1, s7
	s_delay_alu instid0(VALU_DEP_2) | instskip(NEXT) | instid1(VALU_DEP_2)
	v_add_co_ci_u32_e64 v112, s7, 0, v112, s7
	v_lshrrev_b32_e32 v114, v115, v114
; %bb.2901:                             ;   in Loop: Header=BB4_2681 Depth=2
	s_and_not1_saveexec_b32 s7, s10
; %bb.2902:                             ;   in Loop: Header=BB4_2681 Depth=2
	s_delay_alu instid0(VALU_DEP_1)
	v_bfe_u32 v112, v114, 23, 1
; %bb.2903:                             ;   in Loop: Header=BB4_2681 Depth=2
	s_or_b32 exec_lo, exec_lo, s7
	v_lshrrev_b32_e32 v114, 21, v114
	s_delay_alu instid0(VALU_DEP_2) | instskip(SKIP_2) | instid1(VALU_DEP_3)
	v_min_i32_e32 v115, 31, v112
	v_cmp_gt_i32_e64 s7, 32, v112
	v_lshrrev_b32_e32 v113, 24, v113
	v_lshlrev_b32_e32 v115, 2, v115
	s_delay_alu instid0(VALU_DEP_3) | instskip(NEXT) | instid1(VALU_DEP_3)
	v_cndmask_b32_e64 v114, 3, v114, s7
	v_and_b32_e32 v113, 0x80, v113
	s_delay_alu instid0(VALU_DEP_3) | instskip(NEXT) | instid1(VALU_DEP_3)
	v_and_b32_e32 v115, 0xfc, v115
	v_and_b32_e32 v116, 3, v114
	v_or_b32_e32 v112, v112, v114
	s_delay_alu instid0(VALU_DEP_2) | instskip(NEXT) | instid1(VALU_DEP_2)
	v_or3_b32 v113, v113, v115, v116
	v_cmp_ne_u32_e64 s7, 0, v112
	s_delay_alu instid0(VALU_DEP_2) | instskip(NEXT) | instid1(VALU_DEP_1)
	v_lshlrev_b32_e32 v113, 8, v113
	v_cndmask_b32_e64 v112, 0, v113, s7
.LBB4_2904:                             ;   in Loop: Header=BB4_2681 Depth=2
	s_or_b32 exec_lo, exec_lo, s25
.LBB4_2905:                             ;   in Loop: Header=BB4_2681 Depth=2
	s_delay_alu instid0(SALU_CYCLE_1) | instskip(SKIP_3) | instid1(VALU_DEP_1)
	s_or_b32 exec_lo, exec_lo, s24
	v_lshrrev_b32_e32 v114, 16, v17
	s_mov_b32 s10, 0
	s_mov_b32 s25, exec_lo
                                        ; implicit-def: $sgpr24
	v_and_b32_e32 v115, 0xff, v114
	s_delay_alu instid0(VALU_DEP_1)
	v_cmpx_lt_i16_e32 0x7f, v115
	s_xor_b32 s25, exec_lo, s25
	s_cbranch_execnz .LBB4_3047
; %bb.2906:                             ;   in Loop: Header=BB4_2681 Depth=2
	s_or_saveexec_b32 s25, s25
	v_mov_b32_e32 v113, s24
	s_xor_b32 exec_lo, exec_lo, s25
	s_cbranch_execnz .LBB4_3050
.LBB4_2907:                             ;   in Loop: Header=BB4_2681 Depth=2
	s_or_b32 exec_lo, exec_lo, s25
	s_and_saveexec_b32 s24, s10
	s_cbranch_execz .LBB4_2909
.LBB4_2908:                             ;   in Loop: Header=BB4_2681 Depth=2
	v_bfe_u32 v113, v17, 16, 2
	v_lshlrev_b32_e32 v117, 8, v17
	s_delay_alu instid0(VALU_DEP_2) | instskip(NEXT) | instid1(VALU_DEP_1)
	v_clz_i32_u32_e32 v115, v113
	v_min_u32_e32 v115, 32, v115
	s_delay_alu instid0(VALU_DEP_1) | instskip(SKIP_1) | instid1(VALU_DEP_2)
	v_subrev_nc_u32_e32 v116, 29, v115
	v_sub_nc_u32_e32 v115, 30, v115
	v_lshlrev_b32_e32 v114, v116, v114
	v_bfe_u32 v116, v17, 18, 5
	s_delay_alu instid0(VALU_DEP_2) | instskip(NEXT) | instid1(VALU_DEP_2)
	v_and_b32_e32 v114, 3, v114
	v_cmp_eq_u32_e64 s7, 0, v116
	s_delay_alu instid0(VALU_DEP_1) | instskip(NEXT) | instid1(VALU_DEP_3)
	v_cndmask_b32_e64 v115, v116, v115, s7
	v_cndmask_b32_e64 v113, v113, v114, s7
	v_and_b32_e32 v114, 0x80000000, v117
	s_delay_alu instid0(VALU_DEP_3) | instskip(NEXT) | instid1(VALU_DEP_3)
	v_lshl_add_u32 v115, v115, 23, 0x37800000
	v_lshlrev_b32_e32 v113, 21, v113
	s_delay_alu instid0(VALU_DEP_1)
	v_or3_b32 v113, v114, v115, v113
.LBB4_2909:                             ;   in Loop: Header=BB4_2681 Depth=2
	s_or_b32 exec_lo, exec_lo, s24
	v_lshrrev_b32_e32 v114, 16, v13
	s_mov_b32 s10, 0
	s_mov_b32 s25, exec_lo
                                        ; implicit-def: $sgpr24
	s_delay_alu instid0(VALU_DEP_1) | instskip(NEXT) | instid1(VALU_DEP_1)
	v_and_b32_e32 v116, 0xff, v114
	v_cmpx_lt_i16_e32 0x7f, v116
	s_xor_b32 s25, exec_lo, s25
	s_cbranch_execnz .LBB4_3051
; %bb.2910:                             ;   in Loop: Header=BB4_2681 Depth=2
	s_or_saveexec_b32 s25, s25
	v_mov_b32_e32 v115, s24
	s_xor_b32 exec_lo, exec_lo, s25
	s_cbranch_execnz .LBB4_3054
.LBB4_2911:                             ;   in Loop: Header=BB4_2681 Depth=2
	s_or_b32 exec_lo, exec_lo, s25
	s_and_saveexec_b32 s24, s10
	s_cbranch_execz .LBB4_2913
.LBB4_2912:                             ;   in Loop: Header=BB4_2681 Depth=2
	v_bfe_u32 v115, v13, 16, 2
	v_lshlrev_b32_e32 v118, 8, v13
	s_delay_alu instid0(VALU_DEP_2) | instskip(NEXT) | instid1(VALU_DEP_1)
	v_clz_i32_u32_e32 v116, v115
	v_min_u32_e32 v116, 32, v116
	s_delay_alu instid0(VALU_DEP_1) | instskip(SKIP_1) | instid1(VALU_DEP_2)
	v_subrev_nc_u32_e32 v117, 29, v116
	v_sub_nc_u32_e32 v116, 30, v116
	v_lshlrev_b32_e32 v114, v117, v114
	v_bfe_u32 v117, v13, 18, 5
	s_delay_alu instid0(VALU_DEP_2) | instskip(NEXT) | instid1(VALU_DEP_2)
	v_and_b32_e32 v114, 3, v114
	v_cmp_eq_u32_e64 s7, 0, v117
	s_delay_alu instid0(VALU_DEP_1) | instskip(NEXT) | instid1(VALU_DEP_3)
	v_cndmask_b32_e64 v116, v117, v116, s7
	v_cndmask_b32_e64 v114, v115, v114, s7
	v_and_b32_e32 v115, 0x80000000, v118
	s_delay_alu instid0(VALU_DEP_3) | instskip(NEXT) | instid1(VALU_DEP_3)
	v_lshl_add_u32 v116, v116, 23, 0x37800000
	v_lshlrev_b32_e32 v114, 21, v114
	s_delay_alu instid0(VALU_DEP_1)
	v_or3_b32 v115, v115, v116, v114
.LBB4_2913:                             ;   in Loop: Header=BB4_2681 Depth=2
	s_or_b32 exec_lo, exec_lo, s24
	s_delay_alu instid0(VALU_DEP_1) | instskip(NEXT) | instid1(VALU_DEP_1)
	v_mul_f32_e32 v114, v113, v115
	v_and_b32_e32 v113, 0x7f800000, v114
	s_delay_alu instid0(VALU_DEP_1) | instskip(SKIP_1) | instid1(VALU_DEP_2)
	v_cmp_ne_u32_e64 s7, 0x7f800000, v113
	v_mov_b32_e32 v113, 0x80
	s_and_saveexec_b32 s24, s7
	s_cbranch_execz .LBB4_2921
; %bb.2914:                             ;   in Loop: Header=BB4_2681 Depth=2
	v_mov_b32_e32 v113, 0
	s_mov_b32 s25, exec_lo
	v_cmpx_ne_u32_e32 0, v114
	s_cbranch_execz .LBB4_2920
; %bb.2915:                             ;   in Loop: Header=BB4_2681 Depth=2
	v_bfe_u32 v113, v114, 23, 8
	v_and_b32_e32 v115, 0x7fffff, v114
	s_delay_alu instid0(VALU_DEP_2) | instskip(SKIP_1) | instid1(VALU_DEP_3)
	v_sub_nc_u32_e32 v116, 0x70, v113
	v_cmp_gt_u32_e64 s7, 0x71, v113
	v_or_b32_e32 v117, 0x800000, v115
	s_delay_alu instid0(VALU_DEP_2) | instskip(SKIP_2) | instid1(VALU_DEP_2)
	v_cndmask_b32_e64 v116, 0, v116, s7
	v_cmp_eq_u32_e64 s7, 0, v113
	v_add_nc_u32_e32 v113, 0xffffff91, v113
	v_cndmask_b32_e64 v116, v116, 0x6f, s7
	v_cndmask_b32_e64 v115, v117, v115, s7
	s_delay_alu instid0(VALU_DEP_3) | instskip(NEXT) | instid1(VALU_DEP_3)
	v_cndmask_b32_e64 v113, v113, 0xffffff92, s7
	v_lshl_add_u32 v117, 0x200000, v116, -1
	s_delay_alu instid0(VALU_DEP_3) | instskip(SKIP_1) | instid1(VALU_DEP_4)
	v_lshrrev_b32_e32 v118, v116, v115
	v_lshlrev_b32_e64 v128, v116, 0x100000
	v_add_nc_u32_e32 v116, v116, v113
	s_delay_alu instid0(VALU_DEP_4) | instskip(NEXT) | instid1(VALU_DEP_4)
	v_and_b32_e32 v115, v117, v115
	v_bfe_u32 v119, v118, 21, 1
	s_delay_alu instid0(VALU_DEP_2) | instskip(NEXT) | instid1(VALU_DEP_2)
	v_cmp_eq_u32_e64 s10, v115, v128
	v_add_nc_u32_e32 v117, -1, v119
	s_delay_alu instid0(VALU_DEP_1) | instskip(SKIP_2) | instid1(VALU_DEP_2)
	v_cndmask_b32_e64 v115, 0, v117, s10
	v_lshrrev_b32_e32 v117, 23, v118
	s_mov_b32 s10, exec_lo
	v_add_nc_u32_e32 v115, v115, v118
	s_delay_alu instid0(VALU_DEP_2) | instskip(NEXT) | instid1(VALU_DEP_2)
	v_xor_b32_e32 v117, 1, v117
	v_and_b32_e32 v113, 0x1fffff, v115
	s_delay_alu instid0(VALU_DEP_1) | instskip(NEXT) | instid1(VALU_DEP_3)
	v_add_nc_u32_e32 v115, v113, v118
                                        ; implicit-def: $vgpr113
	v_cmpx_ne_u32_e64 v116, v117
	s_xor_b32 s10, exec_lo, s10
; %bb.2916:                             ;   in Loop: Header=BB4_2681 Depth=2
	s_delay_alu instid0(VALU_DEP_2) | instskip(SKIP_1) | instid1(VALU_DEP_2)
	v_cmp_lt_u32_e64 s7, 0xffffff, v115
	v_sub_nc_u32_e32 v113, v116, v117
	v_cndmask_b32_e64 v116, 0, 1, s7
	s_delay_alu instid0(VALU_DEP_2) | instskip(NEXT) | instid1(VALU_DEP_2)
	v_add_co_ci_u32_e64 v113, s7, 0, v113, s7
	v_lshrrev_b32_e32 v115, v116, v115
; %bb.2917:                             ;   in Loop: Header=BB4_2681 Depth=2
	s_and_not1_saveexec_b32 s7, s10
; %bb.2918:                             ;   in Loop: Header=BB4_2681 Depth=2
	s_delay_alu instid0(VALU_DEP_1)
	v_bfe_u32 v113, v115, 23, 1
; %bb.2919:                             ;   in Loop: Header=BB4_2681 Depth=2
	s_or_b32 exec_lo, exec_lo, s7
	v_lshrrev_b32_e32 v115, 21, v115
	s_delay_alu instid0(VALU_DEP_2) | instskip(SKIP_2) | instid1(VALU_DEP_3)
	v_min_i32_e32 v116, 31, v113
	v_cmp_gt_i32_e64 s7, 32, v113
	v_lshrrev_b32_e32 v114, 24, v114
	v_lshlrev_b32_e32 v116, 2, v116
	s_delay_alu instid0(VALU_DEP_3) | instskip(NEXT) | instid1(VALU_DEP_3)
	v_cndmask_b32_e64 v115, 3, v115, s7
	v_and_b32_e32 v114, 0x80, v114
	s_delay_alu instid0(VALU_DEP_3) | instskip(NEXT) | instid1(VALU_DEP_3)
	v_and_b32_e32 v116, 0xfc, v116
	v_and_b32_e32 v117, 3, v115
	v_or_b32_e32 v113, v113, v115
	s_delay_alu instid0(VALU_DEP_2) | instskip(NEXT) | instid1(VALU_DEP_2)
	v_or3_b32 v114, v116, v114, v117
	v_cmp_ne_u32_e64 s7, 0, v113
	s_delay_alu instid0(VALU_DEP_1)
	v_cndmask_b32_e64 v113, 0, v114, s7
.LBB4_2920:                             ;   in Loop: Header=BB4_2681 Depth=2
	s_or_b32 exec_lo, exec_lo, s25
.LBB4_2921:                             ;   in Loop: Header=BB4_2681 Depth=2
	s_delay_alu instid0(SALU_CYCLE_1) | instskip(SKIP_3) | instid1(VALU_DEP_1)
	s_or_b32 exec_lo, exec_lo, s24
	v_lshrrev_b32_e32 v115, 24, v17
	s_mov_b32 s10, 0
	s_mov_b32 s25, exec_lo
                                        ; implicit-def: $sgpr24
	v_cmpx_lt_i16_e32 0x7f, v115
	s_xor_b32 s25, exec_lo, s25
	s_cbranch_execnz .LBB4_3055
; %bb.2922:                             ;   in Loop: Header=BB4_2681 Depth=2
	s_or_saveexec_b32 s25, s25
	v_mov_b32_e32 v114, s24
	s_xor_b32 exec_lo, exec_lo, s25
	s_cbranch_execnz .LBB4_3058
.LBB4_2923:                             ;   in Loop: Header=BB4_2681 Depth=2
	s_or_b32 exec_lo, exec_lo, s25
	s_and_saveexec_b32 s24, s10
	s_cbranch_execz .LBB4_2925
.LBB4_2924:                             ;   in Loop: Header=BB4_2681 Depth=2
	v_bfe_u32 v114, v17, 24, 2
	s_delay_alu instid0(VALU_DEP_1) | instskip(NEXT) | instid1(VALU_DEP_1)
	v_clz_i32_u32_e32 v116, v114
	v_min_u32_e32 v116, 32, v116
	s_delay_alu instid0(VALU_DEP_1) | instskip(SKIP_1) | instid1(VALU_DEP_2)
	v_subrev_nc_u32_e32 v117, 29, v116
	v_sub_nc_u32_e32 v116, 30, v116
	v_lshlrev_b32_e32 v115, v117, v115
	v_bfe_u32 v117, v17, 26, 5
	v_and_b32_e32 v17, 0x80000000, v17
	s_delay_alu instid0(VALU_DEP_3) | instskip(NEXT) | instid1(VALU_DEP_3)
	v_and_b32_e32 v115, 3, v115
	v_cmp_eq_u32_e64 s7, 0, v117
	s_delay_alu instid0(VALU_DEP_1) | instskip(NEXT) | instid1(VALU_DEP_3)
	v_cndmask_b32_e64 v116, v117, v116, s7
	v_cndmask_b32_e64 v114, v114, v115, s7
	s_delay_alu instid0(VALU_DEP_2) | instskip(NEXT) | instid1(VALU_DEP_2)
	v_lshl_add_u32 v115, v116, 23, 0x37800000
	v_lshlrev_b32_e32 v114, 21, v114
	s_delay_alu instid0(VALU_DEP_1)
	v_or3_b32 v114, v17, v115, v114
.LBB4_2925:                             ;   in Loop: Header=BB4_2681 Depth=2
	s_or_b32 exec_lo, exec_lo, s24
	v_lshrrev_b32_e32 v17, 24, v13
	s_mov_b32 s10, 0
	s_mov_b32 s25, exec_lo
                                        ; implicit-def: $sgpr24
	s_delay_alu instid0(VALU_DEP_1)
	v_cmpx_lt_i16_e32 0x7f, v17
	s_xor_b32 s25, exec_lo, s25
	s_cbranch_execnz .LBB4_3059
; %bb.2926:                             ;   in Loop: Header=BB4_2681 Depth=2
	s_or_saveexec_b32 s25, s25
	v_mov_b32_e32 v115, s24
	s_xor_b32 exec_lo, exec_lo, s25
	s_cbranch_execnz .LBB4_3062
.LBB4_2927:                             ;   in Loop: Header=BB4_2681 Depth=2
	s_or_b32 exec_lo, exec_lo, s25
	s_and_saveexec_b32 s24, s10
	s_cbranch_execz .LBB4_2929
.LBB4_2928:                             ;   in Loop: Header=BB4_2681 Depth=2
	v_bfe_u32 v115, v13, 24, 2
	s_delay_alu instid0(VALU_DEP_1) | instskip(NEXT) | instid1(VALU_DEP_1)
	v_clz_i32_u32_e32 v116, v115
	v_min_u32_e32 v116, 32, v116
	s_delay_alu instid0(VALU_DEP_1) | instskip(SKIP_1) | instid1(VALU_DEP_2)
	v_subrev_nc_u32_e32 v117, 29, v116
	v_sub_nc_u32_e32 v116, 30, v116
	v_lshlrev_b32_e32 v17, v117, v17
	v_bfe_u32 v117, v13, 26, 5
	v_and_b32_e32 v13, 0x80000000, v13
	s_delay_alu instid0(VALU_DEP_3) | instskip(NEXT) | instid1(VALU_DEP_3)
	v_and_b32_e32 v17, 3, v17
	v_cmp_eq_u32_e64 s7, 0, v117
	s_delay_alu instid0(VALU_DEP_1) | instskip(NEXT) | instid1(VALU_DEP_3)
	v_cndmask_b32_e64 v116, v117, v116, s7
	v_cndmask_b32_e64 v17, v115, v17, s7
	s_delay_alu instid0(VALU_DEP_2) | instskip(NEXT) | instid1(VALU_DEP_2)
	v_lshl_add_u32 v115, v116, 23, 0x37800000
	v_lshlrev_b32_e32 v17, 21, v17
	s_delay_alu instid0(VALU_DEP_1)
	v_or3_b32 v115, v13, v115, v17
.LBB4_2929:                             ;   in Loop: Header=BB4_2681 Depth=2
	s_or_b32 exec_lo, exec_lo, s24
	s_delay_alu instid0(VALU_DEP_1) | instskip(NEXT) | instid1(VALU_DEP_1)
	v_mul_f32_e32 v13, v114, v115
	v_and_b32_e32 v17, 0x7f800000, v13
	s_delay_alu instid0(VALU_DEP_1) | instskip(SKIP_1) | instid1(VALU_DEP_2)
	v_cmp_ne_u32_e64 s7, 0x7f800000, v17
	v_mov_b32_e32 v17, 0x8000
	s_and_saveexec_b32 s24, s7
	s_cbranch_execz .LBB4_2680
; %bb.2930:                             ;   in Loop: Header=BB4_2681 Depth=2
	v_mov_b32_e32 v17, 0
	s_mov_b32 s25, exec_lo
	v_cmpx_ne_u32_e32 0, v13
	s_cbranch_execz .LBB4_2679
; %bb.2931:                             ;   in Loop: Header=BB4_2681 Depth=2
	v_bfe_u32 v17, v13, 23, 8
	v_and_b32_e32 v114, 0x7fffff, v13
	s_delay_alu instid0(VALU_DEP_2) | instskip(SKIP_1) | instid1(VALU_DEP_3)
	v_sub_nc_u32_e32 v115, 0x70, v17
	v_cmp_gt_u32_e64 s7, 0x71, v17
	v_or_b32_e32 v116, 0x800000, v114
	s_delay_alu instid0(VALU_DEP_2) | instskip(SKIP_2) | instid1(VALU_DEP_2)
	v_cndmask_b32_e64 v115, 0, v115, s7
	v_cmp_eq_u32_e64 s7, 0, v17
	v_add_nc_u32_e32 v17, 0xffffff91, v17
	v_cndmask_b32_e64 v115, v115, 0x6f, s7
	v_cndmask_b32_e64 v114, v116, v114, s7
	s_delay_alu instid0(VALU_DEP_3) | instskip(NEXT) | instid1(VALU_DEP_3)
	v_cndmask_b32_e64 v17, v17, 0xffffff92, s7
	v_lshl_add_u32 v116, 0x200000, v115, -1
	s_delay_alu instid0(VALU_DEP_3) | instskip(SKIP_1) | instid1(VALU_DEP_4)
	v_lshrrev_b32_e32 v117, v115, v114
	v_lshlrev_b32_e64 v119, v115, 0x100000
	v_add_nc_u32_e32 v115, v115, v17
	s_delay_alu instid0(VALU_DEP_4) | instskip(NEXT) | instid1(VALU_DEP_4)
	v_and_b32_e32 v114, v116, v114
	v_bfe_u32 v118, v117, 21, 1
	s_delay_alu instid0(VALU_DEP_2) | instskip(NEXT) | instid1(VALU_DEP_2)
	v_cmp_eq_u32_e64 s10, v114, v119
	v_add_nc_u32_e32 v116, -1, v118
	s_delay_alu instid0(VALU_DEP_1) | instskip(SKIP_2) | instid1(VALU_DEP_2)
	v_cndmask_b32_e64 v114, 0, v116, s10
	v_lshrrev_b32_e32 v116, 23, v117
	s_mov_b32 s10, exec_lo
	v_add_nc_u32_e32 v114, v114, v117
	s_delay_alu instid0(VALU_DEP_2) | instskip(NEXT) | instid1(VALU_DEP_2)
	v_xor_b32_e32 v116, 1, v116
	v_and_b32_e32 v17, 0x1fffff, v114
	s_delay_alu instid0(VALU_DEP_1) | instskip(NEXT) | instid1(VALU_DEP_3)
	v_add_nc_u32_e32 v114, v17, v117
                                        ; implicit-def: $vgpr17
	v_cmpx_ne_u32_e64 v115, v116
	s_xor_b32 s10, exec_lo, s10
; %bb.2932:                             ;   in Loop: Header=BB4_2681 Depth=2
	s_delay_alu instid0(VALU_DEP_2) | instskip(SKIP_1) | instid1(VALU_DEP_2)
	v_cmp_lt_u32_e64 s7, 0xffffff, v114
	v_sub_nc_u32_e32 v17, v115, v116
	v_cndmask_b32_e64 v115, 0, 1, s7
	s_delay_alu instid0(VALU_DEP_2) | instskip(NEXT) | instid1(VALU_DEP_2)
	v_add_co_ci_u32_e64 v17, s7, 0, v17, s7
	v_lshrrev_b32_e32 v114, v115, v114
; %bb.2933:                             ;   in Loop: Header=BB4_2681 Depth=2
	s_and_not1_saveexec_b32 s7, s10
	s_cbranch_execz .LBB4_2678
; %bb.2934:                             ;   in Loop: Header=BB4_2681 Depth=2
	s_delay_alu instid0(VALU_DEP_1)
	v_bfe_u32 v17, v114, 23, 1
	s_branch .LBB4_2678
.LBB4_2935:                             ;   in Loop: Header=BB4_2681 Depth=2
	s_mov_b32 s10, -1
	s_mov_b32 s26, exec_lo
                                        ; implicit-def: $sgpr24
	v_cmpx_eq_u16_e32 0x80, v67
; %bb.2936:                             ;   in Loop: Header=BB4_2681 Depth=2
	s_mov_b32 s24, 0x7f800001
	s_xor_b32 s10, exec_lo, -1
; %bb.2937:                             ;   in Loop: Header=BB4_2681 Depth=2
	s_or_b32 exec_lo, exec_lo, s26
	s_delay_alu instid0(SALU_CYCLE_1)
	s_and_b32 s10, s10, exec_lo
                                        ; implicit-def: $vgpr67
	s_or_saveexec_b32 s25, s25
	v_mov_b32_e32 v66, s24
	s_xor_b32 exec_lo, exec_lo, s25
	s_cbranch_execz .LBB4_2683
.LBB4_2938:                             ;   in Loop: Header=BB4_2681 Depth=2
	v_cmp_ne_u16_e64 s7, 0, v67
	v_mov_b32_e32 v66, 0
	s_and_not1_b32 s10, s10, exec_lo
	s_delay_alu instid0(VALU_DEP_2) | instskip(NEXT) | instid1(SALU_CYCLE_1)
	s_and_b32 s7, s7, exec_lo
	s_or_b32 s10, s10, s7
	s_or_b32 exec_lo, exec_lo, s25
	s_and_saveexec_b32 s24, s10
	s_cbranch_execnz .LBB4_2684
	s_branch .LBB4_2685
.LBB4_2939:                             ;   in Loop: Header=BB4_2681 Depth=2
	s_mov_b32 s10, -1
	s_mov_b32 s26, exec_lo
                                        ; implicit-def: $sgpr24
	v_cmpx_eq_u16_e32 0x80, v68
; %bb.2940:                             ;   in Loop: Header=BB4_2681 Depth=2
	s_mov_b32 s24, 0x7f800001
	s_xor_b32 s10, exec_lo, -1
; %bb.2941:                             ;   in Loop: Header=BB4_2681 Depth=2
	s_or_b32 exec_lo, exec_lo, s26
	s_delay_alu instid0(SALU_CYCLE_1)
	s_and_b32 s10, s10, exec_lo
                                        ; implicit-def: $vgpr68
	s_or_saveexec_b32 s25, s25
	v_mov_b32_e32 v67, s24
	s_xor_b32 exec_lo, exec_lo, s25
	s_cbranch_execz .LBB4_2687
.LBB4_2942:                             ;   in Loop: Header=BB4_2681 Depth=2
	v_cmp_ne_u16_e64 s7, 0, v68
	v_mov_b32_e32 v67, 0
	s_and_not1_b32 s10, s10, exec_lo
	s_delay_alu instid0(VALU_DEP_2) | instskip(NEXT) | instid1(SALU_CYCLE_1)
	s_and_b32 s7, s7, exec_lo
	s_or_b32 s10, s10, s7
	s_or_b32 exec_lo, exec_lo, s25
	s_and_saveexec_b32 s24, s10
	s_cbranch_execnz .LBB4_2688
	s_branch .LBB4_2689
.LBB4_2943:                             ;   in Loop: Header=BB4_2681 Depth=2
	s_mov_b32 s10, -1
	s_mov_b32 s26, exec_lo
                                        ; implicit-def: $sgpr24
	v_cmpx_eq_u16_e32 0x80, v68
; %bb.2944:                             ;   in Loop: Header=BB4_2681 Depth=2
	s_mov_b32 s24, 0x7f800001
	s_xor_b32 s10, exec_lo, -1
; %bb.2945:                             ;   in Loop: Header=BB4_2681 Depth=2
	s_or_b32 exec_lo, exec_lo, s26
	s_delay_alu instid0(SALU_CYCLE_1)
	s_and_b32 s10, s10, exec_lo
	s_or_saveexec_b32 s25, s25
	v_mov_b32_e32 v67, s24
	s_xor_b32 exec_lo, exec_lo, s25
	s_cbranch_execz .LBB4_2699
.LBB4_2946:                             ;   in Loop: Header=BB4_2681 Depth=2
	v_cmp_ne_u16_e64 s7, 0, v68
	v_mov_b32_e32 v67, 0
	s_and_not1_b32 s10, s10, exec_lo
	s_delay_alu instid0(VALU_DEP_2) | instskip(NEXT) | instid1(SALU_CYCLE_1)
	s_and_b32 s7, s7, exec_lo
	s_or_b32 s10, s10, s7
	s_or_b32 exec_lo, exec_lo, s25
	s_and_saveexec_b32 s24, s10
	s_cbranch_execnz .LBB4_2700
	s_branch .LBB4_2701
.LBB4_2947:                             ;   in Loop: Header=BB4_2681 Depth=2
	s_mov_b32 s10, -1
	s_mov_b32 s26, exec_lo
                                        ; implicit-def: $sgpr24
	v_cmpx_eq_u16_e32 0x80, v68
; %bb.2948:                             ;   in Loop: Header=BB4_2681 Depth=2
	s_mov_b32 s24, 0x7f800001
	s_xor_b32 s10, exec_lo, -1
; %bb.2949:                             ;   in Loop: Header=BB4_2681 Depth=2
	s_or_b32 exec_lo, exec_lo, s26
	s_delay_alu instid0(SALU_CYCLE_1)
	s_and_b32 s10, s10, exec_lo
	s_or_saveexec_b32 s25, s25
	v_mov_b32_e32 v69, s24
	s_xor_b32 exec_lo, exec_lo, s25
	s_cbranch_execz .LBB4_2703
.LBB4_2950:                             ;   in Loop: Header=BB4_2681 Depth=2
	v_cmp_ne_u16_e64 s7, 0, v68
	v_mov_b32_e32 v69, 0
	s_and_not1_b32 s10, s10, exec_lo
	s_delay_alu instid0(VALU_DEP_2) | instskip(NEXT) | instid1(SALU_CYCLE_1)
	s_and_b32 s7, s7, exec_lo
	s_or_b32 s10, s10, s7
	s_or_b32 exec_lo, exec_lo, s25
	s_and_saveexec_b32 s24, s10
	s_cbranch_execnz .LBB4_2704
	s_branch .LBB4_2705
.LBB4_2951:                             ;   in Loop: Header=BB4_2681 Depth=2
	s_mov_b32 s10, -1
	s_mov_b32 s26, exec_lo
                                        ; implicit-def: $sgpr24
	v_cmpx_eq_u16_e32 0x80, v101
; %bb.2952:                             ;   in Loop: Header=BB4_2681 Depth=2
	s_mov_b32 s24, 0x7f800001
	s_xor_b32 s10, exec_lo, -1
; %bb.2953:                             ;   in Loop: Header=BB4_2681 Depth=2
	s_or_b32 exec_lo, exec_lo, s26
	s_delay_alu instid0(SALU_CYCLE_1)
	s_and_b32 s10, s10, exec_lo
                                        ; implicit-def: $vgpr101
	s_or_saveexec_b32 s25, s25
	v_mov_b32_e32 v68, s24
	s_xor_b32 exec_lo, exec_lo, s25
	s_cbranch_execz .LBB4_2715
.LBB4_2954:                             ;   in Loop: Header=BB4_2681 Depth=2
	v_cmp_ne_u16_e64 s7, 0, v101
	v_mov_b32_e32 v68, 0
	s_and_not1_b32 s10, s10, exec_lo
	s_delay_alu instid0(VALU_DEP_2) | instskip(NEXT) | instid1(SALU_CYCLE_1)
	s_and_b32 s7, s7, exec_lo
	s_or_b32 s10, s10, s7
	s_or_b32 exec_lo, exec_lo, s25
	s_and_saveexec_b32 s24, s10
	s_cbranch_execnz .LBB4_2716
	s_branch .LBB4_2717
.LBB4_2955:                             ;   in Loop: Header=BB4_2681 Depth=2
	s_mov_b32 s10, -1
	s_mov_b32 s26, exec_lo
                                        ; implicit-def: $sgpr24
	v_cmpx_eq_u16_e32 0x80, v102
; %bb.2956:                             ;   in Loop: Header=BB4_2681 Depth=2
	s_mov_b32 s24, 0x7f800001
	s_xor_b32 s10, exec_lo, -1
; %bb.2957:                             ;   in Loop: Header=BB4_2681 Depth=2
	s_or_b32 exec_lo, exec_lo, s26
	s_delay_alu instid0(SALU_CYCLE_1)
	s_and_b32 s10, s10, exec_lo
                                        ; implicit-def: $vgpr102
	s_or_saveexec_b32 s25, s25
	v_mov_b32_e32 v101, s24
	s_xor_b32 exec_lo, exec_lo, s25
	s_cbranch_execz .LBB4_2719
.LBB4_2958:                             ;   in Loop: Header=BB4_2681 Depth=2
	v_cmp_ne_u16_e64 s7, 0, v102
	v_mov_b32_e32 v101, 0
	s_and_not1_b32 s10, s10, exec_lo
	s_delay_alu instid0(VALU_DEP_2) | instskip(NEXT) | instid1(SALU_CYCLE_1)
	s_and_b32 s7, s7, exec_lo
	s_or_b32 s10, s10, s7
	s_or_b32 exec_lo, exec_lo, s25
	s_and_saveexec_b32 s24, s10
	s_cbranch_execnz .LBB4_2720
	s_branch .LBB4_2721
.LBB4_2959:                             ;   in Loop: Header=BB4_2681 Depth=2
	s_mov_b32 s10, -1
	s_mov_b32 s26, exec_lo
                                        ; implicit-def: $sgpr24
	v_cmpx_eq_u16_e32 0x80, v101
; %bb.2960:                             ;   in Loop: Header=BB4_2681 Depth=2
	s_mov_b32 s24, 0x7f800001
	s_xor_b32 s10, exec_lo, -1
; %bb.2961:                             ;   in Loop: Header=BB4_2681 Depth=2
	s_or_b32 exec_lo, exec_lo, s26
	s_delay_alu instid0(SALU_CYCLE_1)
	s_and_b32 s10, s10, exec_lo
	s_or_saveexec_b32 s25, s25
	v_mov_b32_e32 v69, s24
	s_xor_b32 exec_lo, exec_lo, s25
	s_cbranch_execz .LBB4_2731
.LBB4_2962:                             ;   in Loop: Header=BB4_2681 Depth=2
	v_cmp_ne_u16_e64 s7, 0, v101
	v_mov_b32_e32 v69, 0
	s_and_not1_b32 s10, s10, exec_lo
	s_delay_alu instid0(VALU_DEP_2) | instskip(NEXT) | instid1(SALU_CYCLE_1)
	s_and_b32 s7, s7, exec_lo
	s_or_b32 s10, s10, s7
	s_or_b32 exec_lo, exec_lo, s25
	s_and_saveexec_b32 s24, s10
	s_cbranch_execnz .LBB4_2732
	s_branch .LBB4_2733
.LBB4_2963:                             ;   in Loop: Header=BB4_2681 Depth=2
	s_mov_b32 s10, -1
	s_mov_b32 s26, exec_lo
                                        ; implicit-def: $sgpr24
	v_cmpx_eq_u16_e32 0x80, v14
; %bb.2964:                             ;   in Loop: Header=BB4_2681 Depth=2
	s_mov_b32 s24, 0x7f800001
	s_xor_b32 s10, exec_lo, -1
; %bb.2965:                             ;   in Loop: Header=BB4_2681 Depth=2
	s_or_b32 exec_lo, exec_lo, s26
	s_delay_alu instid0(SALU_CYCLE_1)
	s_and_b32 s10, s10, exec_lo
	s_or_saveexec_b32 s25, s25
	v_mov_b32_e32 v101, s24
	s_xor_b32 exec_lo, exec_lo, s25
	s_cbranch_execz .LBB4_2735
.LBB4_2966:                             ;   in Loop: Header=BB4_2681 Depth=2
	v_cmp_ne_u16_e64 s7, 0, v14
	v_mov_b32_e32 v101, 0
	s_and_not1_b32 s10, s10, exec_lo
	s_delay_alu instid0(VALU_DEP_2) | instskip(NEXT) | instid1(SALU_CYCLE_1)
	s_and_b32 s7, s7, exec_lo
	s_or_b32 s10, s10, s7
	s_or_b32 exec_lo, exec_lo, s25
	s_and_saveexec_b32 s24, s10
	s_cbranch_execnz .LBB4_2736
	s_branch .LBB4_2737
.LBB4_2967:                             ;   in Loop: Header=BB4_2681 Depth=2
	s_mov_b32 s10, -1
	s_mov_b32 s26, exec_lo
                                        ; implicit-def: $sgpr24
	v_cmpx_eq_u16_e32 0x80, v69
; %bb.2968:                             ;   in Loop: Header=BB4_2681 Depth=2
	s_mov_b32 s24, 0x7f800001
	s_xor_b32 s10, exec_lo, -1
; %bb.2969:                             ;   in Loop: Header=BB4_2681 Depth=2
	s_or_b32 exec_lo, exec_lo, s26
	s_delay_alu instid0(SALU_CYCLE_1)
	s_and_b32 s10, s10, exec_lo
                                        ; implicit-def: $vgpr69
	s_or_saveexec_b32 s25, s25
	v_mov_b32_e32 v14, s24
	s_xor_b32 exec_lo, exec_lo, s25
	s_cbranch_execz .LBB4_2747
.LBB4_2970:                             ;   in Loop: Header=BB4_2681 Depth=2
	v_cmp_ne_u16_e64 s7, 0, v69
	v_mov_b32_e32 v14, 0
	s_and_not1_b32 s10, s10, exec_lo
	s_delay_alu instid0(VALU_DEP_2) | instskip(NEXT) | instid1(SALU_CYCLE_1)
	s_and_b32 s7, s7, exec_lo
	s_or_b32 s10, s10, s7
	s_or_b32 exec_lo, exec_lo, s25
	s_and_saveexec_b32 s24, s10
	s_cbranch_execnz .LBB4_2748
	s_branch .LBB4_2749
.LBB4_2971:                             ;   in Loop: Header=BB4_2681 Depth=2
	s_mov_b32 s10, -1
	s_mov_b32 s26, exec_lo
                                        ; implicit-def: $sgpr24
	v_cmpx_eq_u16_e32 0x80, v101
; %bb.2972:                             ;   in Loop: Header=BB4_2681 Depth=2
	s_mov_b32 s24, 0x7f800001
	s_xor_b32 s10, exec_lo, -1
; %bb.2973:                             ;   in Loop: Header=BB4_2681 Depth=2
	s_or_b32 exec_lo, exec_lo, s26
	s_delay_alu instid0(SALU_CYCLE_1)
	s_and_b32 s10, s10, exec_lo
                                        ; implicit-def: $vgpr101
	s_or_saveexec_b32 s25, s25
	v_mov_b32_e32 v69, s24
	s_xor_b32 exec_lo, exec_lo, s25
	s_cbranch_execz .LBB4_2751
.LBB4_2974:                             ;   in Loop: Header=BB4_2681 Depth=2
	v_cmp_ne_u16_e64 s7, 0, v101
	v_mov_b32_e32 v69, 0
	s_and_not1_b32 s10, s10, exec_lo
	s_delay_alu instid0(VALU_DEP_2) | instskip(NEXT) | instid1(SALU_CYCLE_1)
	s_and_b32 s7, s7, exec_lo
	s_or_b32 s10, s10, s7
	s_or_b32 exec_lo, exec_lo, s25
	s_and_saveexec_b32 s24, s10
	s_cbranch_execnz .LBB4_2752
	s_branch .LBB4_2753
.LBB4_2975:                             ;   in Loop: Header=BB4_2681 Depth=2
	s_mov_b32 s10, -1
	s_mov_b32 s26, exec_lo
                                        ; implicit-def: $sgpr24
	v_cmpx_eq_u16_e32 0x80, v101
; %bb.2976:                             ;   in Loop: Header=BB4_2681 Depth=2
	s_mov_b32 s24, 0x7f800001
	s_xor_b32 s10, exec_lo, -1
; %bb.2977:                             ;   in Loop: Header=BB4_2681 Depth=2
	s_or_b32 exec_lo, exec_lo, s26
	s_delay_alu instid0(SALU_CYCLE_1)
	s_and_b32 s10, s10, exec_lo
	s_or_saveexec_b32 s25, s25
	v_mov_b32_e32 v69, s24
	s_xor_b32 exec_lo, exec_lo, s25
	s_cbranch_execz .LBB4_2763
.LBB4_2978:                             ;   in Loop: Header=BB4_2681 Depth=2
	v_cmp_ne_u16_e64 s7, 0, v101
	v_mov_b32_e32 v69, 0
	s_and_not1_b32 s10, s10, exec_lo
	s_delay_alu instid0(VALU_DEP_2) | instskip(NEXT) | instid1(SALU_CYCLE_1)
	s_and_b32 s7, s7, exec_lo
	s_or_b32 s10, s10, s7
	s_or_b32 exec_lo, exec_lo, s25
	s_and_saveexec_b32 s24, s10
	s_cbranch_execnz .LBB4_2764
	s_branch .LBB4_2765
.LBB4_2979:                             ;   in Loop: Header=BB4_2681 Depth=2
	s_mov_b32 s10, -1
	s_mov_b32 s26, exec_lo
                                        ; implicit-def: $sgpr24
	v_cmpx_eq_u16_e32 0x80, v101
; %bb.2980:                             ;   in Loop: Header=BB4_2681 Depth=2
	s_mov_b32 s24, 0x7f800001
	s_xor_b32 s10, exec_lo, -1
; %bb.2981:                             ;   in Loop: Header=BB4_2681 Depth=2
	s_or_b32 exec_lo, exec_lo, s26
	s_delay_alu instid0(SALU_CYCLE_1)
	s_and_b32 s10, s10, exec_lo
	s_or_saveexec_b32 s25, s25
	v_mov_b32_e32 v102, s24
	s_xor_b32 exec_lo, exec_lo, s25
	s_cbranch_execz .LBB4_2767
.LBB4_2982:                             ;   in Loop: Header=BB4_2681 Depth=2
	v_cmp_ne_u16_e64 s7, 0, v101
	v_mov_b32_e32 v102, 0
	s_and_not1_b32 s10, s10, exec_lo
	s_delay_alu instid0(VALU_DEP_2) | instskip(NEXT) | instid1(SALU_CYCLE_1)
	s_and_b32 s7, s7, exec_lo
	s_or_b32 s10, s10, s7
	s_or_b32 exec_lo, exec_lo, s25
	s_and_saveexec_b32 s24, s10
	s_cbranch_execnz .LBB4_2768
	s_branch .LBB4_2769
.LBB4_2983:                             ;   in Loop: Header=BB4_2681 Depth=2
	s_mov_b32 s10, -1
	s_mov_b32 s26, exec_lo
                                        ; implicit-def: $sgpr24
	v_cmpx_eq_u16_e32 0x80, v103
; %bb.2984:                             ;   in Loop: Header=BB4_2681 Depth=2
	s_mov_b32 s24, 0x7f800001
	s_xor_b32 s10, exec_lo, -1
; %bb.2985:                             ;   in Loop: Header=BB4_2681 Depth=2
	s_or_b32 exec_lo, exec_lo, s26
	s_delay_alu instid0(SALU_CYCLE_1)
	s_and_b32 s10, s10, exec_lo
                                        ; implicit-def: $vgpr103
	s_or_saveexec_b32 s25, s25
	v_mov_b32_e32 v101, s24
	s_xor_b32 exec_lo, exec_lo, s25
	s_cbranch_execz .LBB4_2779
.LBB4_2986:                             ;   in Loop: Header=BB4_2681 Depth=2
	v_cmp_ne_u16_e64 s7, 0, v103
	v_mov_b32_e32 v101, 0
	s_and_not1_b32 s10, s10, exec_lo
	s_delay_alu instid0(VALU_DEP_2) | instskip(NEXT) | instid1(SALU_CYCLE_1)
	s_and_b32 s7, s7, exec_lo
	s_or_b32 s10, s10, s7
	s_or_b32 exec_lo, exec_lo, s25
	s_and_saveexec_b32 s24, s10
	s_cbranch_execnz .LBB4_2780
	s_branch .LBB4_2781
.LBB4_2987:                             ;   in Loop: Header=BB4_2681 Depth=2
	s_mov_b32 s10, -1
	s_mov_b32 s26, exec_lo
                                        ; implicit-def: $sgpr24
	v_cmpx_eq_u16_e32 0x80, v112
; %bb.2988:                             ;   in Loop: Header=BB4_2681 Depth=2
	s_mov_b32 s24, 0x7f800001
	s_xor_b32 s10, exec_lo, -1
; %bb.2989:                             ;   in Loop: Header=BB4_2681 Depth=2
	s_or_b32 exec_lo, exec_lo, s26
	s_delay_alu instid0(SALU_CYCLE_1)
	s_and_b32 s10, s10, exec_lo
                                        ; implicit-def: $vgpr112
	s_or_saveexec_b32 s25, s25
	v_mov_b32_e32 v103, s24
	s_xor_b32 exec_lo, exec_lo, s25
	s_cbranch_execz .LBB4_2783
.LBB4_2990:                             ;   in Loop: Header=BB4_2681 Depth=2
	v_cmp_ne_u16_e64 s7, 0, v112
	v_mov_b32_e32 v103, 0
	s_and_not1_b32 s10, s10, exec_lo
	s_delay_alu instid0(VALU_DEP_2) | instskip(NEXT) | instid1(SALU_CYCLE_1)
	s_and_b32 s7, s7, exec_lo
	s_or_b32 s10, s10, s7
	s_or_b32 exec_lo, exec_lo, s25
	s_and_saveexec_b32 s24, s10
	s_cbranch_execnz .LBB4_2784
	s_branch .LBB4_2785
.LBB4_2991:                             ;   in Loop: Header=BB4_2681 Depth=2
	s_mov_b32 s10, -1
	s_mov_b32 s26, exec_lo
                                        ; implicit-def: $sgpr24
	v_cmpx_eq_u16_e32 0x80, v103
; %bb.2992:                             ;   in Loop: Header=BB4_2681 Depth=2
	s_mov_b32 s24, 0x7f800001
	s_xor_b32 s10, exec_lo, -1
; %bb.2993:                             ;   in Loop: Header=BB4_2681 Depth=2
	s_or_b32 exec_lo, exec_lo, s26
	s_delay_alu instid0(SALU_CYCLE_1)
	s_and_b32 s10, s10, exec_lo
	s_or_saveexec_b32 s25, s25
	v_mov_b32_e32 v102, s24
	s_xor_b32 exec_lo, exec_lo, s25
	s_cbranch_execz .LBB4_2795
.LBB4_2994:                             ;   in Loop: Header=BB4_2681 Depth=2
	v_cmp_ne_u16_e64 s7, 0, v103
	v_mov_b32_e32 v102, 0
	s_and_not1_b32 s10, s10, exec_lo
	s_delay_alu instid0(VALU_DEP_2) | instskip(NEXT) | instid1(SALU_CYCLE_1)
	s_and_b32 s7, s7, exec_lo
	s_or_b32 s10, s10, s7
	s_or_b32 exec_lo, exec_lo, s25
	s_and_saveexec_b32 s24, s10
	s_cbranch_execnz .LBB4_2796
	s_branch .LBB4_2797
.LBB4_2995:                             ;   in Loop: Header=BB4_2681 Depth=2
	s_mov_b32 s10, -1
	s_mov_b32 s26, exec_lo
                                        ; implicit-def: $sgpr24
	v_cmpx_eq_u16_e32 0x80, v15
; %bb.2996:                             ;   in Loop: Header=BB4_2681 Depth=2
	s_mov_b32 s24, 0x7f800001
	s_xor_b32 s10, exec_lo, -1
; %bb.2997:                             ;   in Loop: Header=BB4_2681 Depth=2
	s_or_b32 exec_lo, exec_lo, s26
	s_delay_alu instid0(SALU_CYCLE_1)
	s_and_b32 s10, s10, exec_lo
	s_or_saveexec_b32 s25, s25
	v_mov_b32_e32 v103, s24
	s_xor_b32 exec_lo, exec_lo, s25
	s_cbranch_execz .LBB4_2799
.LBB4_2998:                             ;   in Loop: Header=BB4_2681 Depth=2
	v_cmp_ne_u16_e64 s7, 0, v15
	v_mov_b32_e32 v103, 0
	s_and_not1_b32 s10, s10, exec_lo
	s_delay_alu instid0(VALU_DEP_2) | instskip(NEXT) | instid1(SALU_CYCLE_1)
	s_and_b32 s7, s7, exec_lo
	s_or_b32 s10, s10, s7
	s_or_b32 exec_lo, exec_lo, s25
	s_and_saveexec_b32 s24, s10
	s_cbranch_execnz .LBB4_2800
	s_branch .LBB4_2801
.LBB4_2999:                             ;   in Loop: Header=BB4_2681 Depth=2
	s_mov_b32 s10, -1
	s_mov_b32 s26, exec_lo
                                        ; implicit-def: $sgpr24
	v_cmpx_eq_u16_e32 0x80, v102
; %bb.3000:                             ;   in Loop: Header=BB4_2681 Depth=2
	s_mov_b32 s24, 0x7f800001
	s_xor_b32 s10, exec_lo, -1
; %bb.3001:                             ;   in Loop: Header=BB4_2681 Depth=2
	s_or_b32 exec_lo, exec_lo, s26
	s_delay_alu instid0(SALU_CYCLE_1)
	s_and_b32 s10, s10, exec_lo
                                        ; implicit-def: $vgpr102
	s_or_saveexec_b32 s25, s25
	v_mov_b32_e32 v15, s24
	s_xor_b32 exec_lo, exec_lo, s25
	s_cbranch_execz .LBB4_2811
.LBB4_3002:                             ;   in Loop: Header=BB4_2681 Depth=2
	v_cmp_ne_u16_e64 s7, 0, v102
	v_mov_b32_e32 v15, 0
	s_and_not1_b32 s10, s10, exec_lo
	s_delay_alu instid0(VALU_DEP_2) | instskip(NEXT) | instid1(SALU_CYCLE_1)
	s_and_b32 s7, s7, exec_lo
	s_or_b32 s10, s10, s7
	s_or_b32 exec_lo, exec_lo, s25
	s_and_saveexec_b32 s24, s10
	s_cbranch_execnz .LBB4_2812
	s_branch .LBB4_2813
.LBB4_3003:                             ;   in Loop: Header=BB4_2681 Depth=2
	s_mov_b32 s10, -1
	s_mov_b32 s26, exec_lo
                                        ; implicit-def: $sgpr24
	v_cmpx_eq_u16_e32 0x80, v103
; %bb.3004:                             ;   in Loop: Header=BB4_2681 Depth=2
	s_mov_b32 s24, 0x7f800001
	s_xor_b32 s10, exec_lo, -1
; %bb.3005:                             ;   in Loop: Header=BB4_2681 Depth=2
	s_or_b32 exec_lo, exec_lo, s26
	s_delay_alu instid0(SALU_CYCLE_1)
	s_and_b32 s10, s10, exec_lo
                                        ; implicit-def: $vgpr103
	s_or_saveexec_b32 s25, s25
	v_mov_b32_e32 v102, s24
	s_xor_b32 exec_lo, exec_lo, s25
	s_cbranch_execz .LBB4_2815
.LBB4_3006:                             ;   in Loop: Header=BB4_2681 Depth=2
	v_cmp_ne_u16_e64 s7, 0, v103
	v_mov_b32_e32 v102, 0
	s_and_not1_b32 s10, s10, exec_lo
	s_delay_alu instid0(VALU_DEP_2) | instskip(NEXT) | instid1(SALU_CYCLE_1)
	s_and_b32 s7, s7, exec_lo
	s_or_b32 s10, s10, s7
	s_or_b32 exec_lo, exec_lo, s25
	s_and_saveexec_b32 s24, s10
	s_cbranch_execnz .LBB4_2816
	s_branch .LBB4_2817
.LBB4_3007:                             ;   in Loop: Header=BB4_2681 Depth=2
	s_mov_b32 s10, -1
	s_mov_b32 s26, exec_lo
                                        ; implicit-def: $sgpr24
	v_cmpx_eq_u16_e32 0x80, v103
; %bb.3008:                             ;   in Loop: Header=BB4_2681 Depth=2
	s_mov_b32 s24, 0x7f800001
	s_xor_b32 s10, exec_lo, -1
; %bb.3009:                             ;   in Loop: Header=BB4_2681 Depth=2
	s_or_b32 exec_lo, exec_lo, s26
	s_delay_alu instid0(SALU_CYCLE_1)
	s_and_b32 s10, s10, exec_lo
	s_or_saveexec_b32 s25, s25
	v_mov_b32_e32 v102, s24
	s_xor_b32 exec_lo, exec_lo, s25
	s_cbranch_execz .LBB4_2827
.LBB4_3010:                             ;   in Loop: Header=BB4_2681 Depth=2
	v_cmp_ne_u16_e64 s7, 0, v103
	v_mov_b32_e32 v102, 0
	s_and_not1_b32 s10, s10, exec_lo
	s_delay_alu instid0(VALU_DEP_2) | instskip(NEXT) | instid1(SALU_CYCLE_1)
	s_and_b32 s7, s7, exec_lo
	s_or_b32 s10, s10, s7
	s_or_b32 exec_lo, exec_lo, s25
	s_and_saveexec_b32 s24, s10
	s_cbranch_execnz .LBB4_2828
	s_branch .LBB4_2829
.LBB4_3011:                             ;   in Loop: Header=BB4_2681 Depth=2
	s_mov_b32 s10, -1
	s_mov_b32 s26, exec_lo
                                        ; implicit-def: $sgpr24
	v_cmpx_eq_u16_e32 0x80, v103
; %bb.3012:                             ;   in Loop: Header=BB4_2681 Depth=2
	s_mov_b32 s24, 0x7f800001
	s_xor_b32 s10, exec_lo, -1
; %bb.3013:                             ;   in Loop: Header=BB4_2681 Depth=2
	s_or_b32 exec_lo, exec_lo, s26
	s_delay_alu instid0(SALU_CYCLE_1)
	s_and_b32 s10, s10, exec_lo
	s_or_saveexec_b32 s25, s25
	v_mov_b32_e32 v112, s24
	s_xor_b32 exec_lo, exec_lo, s25
	s_cbranch_execz .LBB4_2831
.LBB4_3014:                             ;   in Loop: Header=BB4_2681 Depth=2
	v_cmp_ne_u16_e64 s7, 0, v103
	v_mov_b32_e32 v112, 0
	s_and_not1_b32 s10, s10, exec_lo
	s_delay_alu instid0(VALU_DEP_2) | instskip(NEXT) | instid1(SALU_CYCLE_1)
	s_and_b32 s7, s7, exec_lo
	s_or_b32 s10, s10, s7
	s_or_b32 exec_lo, exec_lo, s25
	s_and_saveexec_b32 s24, s10
	s_cbranch_execnz .LBB4_2832
	s_branch .LBB4_2833
.LBB4_3015:                             ;   in Loop: Header=BB4_2681 Depth=2
	s_mov_b32 s10, -1
	s_mov_b32 s26, exec_lo
                                        ; implicit-def: $sgpr24
	v_cmpx_eq_u16_e32 0x80, v113
; %bb.3016:                             ;   in Loop: Header=BB4_2681 Depth=2
	s_mov_b32 s24, 0x7f800001
	s_xor_b32 s10, exec_lo, -1
; %bb.3017:                             ;   in Loop: Header=BB4_2681 Depth=2
	s_or_b32 exec_lo, exec_lo, s26
	s_delay_alu instid0(SALU_CYCLE_1)
	s_and_b32 s10, s10, exec_lo
                                        ; implicit-def: $vgpr113
	s_or_saveexec_b32 s25, s25
	v_mov_b32_e32 v103, s24
	s_xor_b32 exec_lo, exec_lo, s25
	s_cbranch_execz .LBB4_2843
.LBB4_3018:                             ;   in Loop: Header=BB4_2681 Depth=2
	v_cmp_ne_u16_e64 s7, 0, v113
	v_mov_b32_e32 v103, 0
	s_and_not1_b32 s10, s10, exec_lo
	s_delay_alu instid0(VALU_DEP_2) | instskip(NEXT) | instid1(SALU_CYCLE_1)
	s_and_b32 s7, s7, exec_lo
	s_or_b32 s10, s10, s7
	s_or_b32 exec_lo, exec_lo, s25
	s_and_saveexec_b32 s24, s10
	s_cbranch_execnz .LBB4_2844
	s_branch .LBB4_2845
.LBB4_3019:                             ;   in Loop: Header=BB4_2681 Depth=2
	s_mov_b32 s10, -1
	s_mov_b32 s26, exec_lo
                                        ; implicit-def: $sgpr24
	v_cmpx_eq_u16_e32 0x80, v114
; %bb.3020:                             ;   in Loop: Header=BB4_2681 Depth=2
	s_mov_b32 s24, 0x7f800001
	s_xor_b32 s10, exec_lo, -1
; %bb.3021:                             ;   in Loop: Header=BB4_2681 Depth=2
	s_or_b32 exec_lo, exec_lo, s26
	s_delay_alu instid0(SALU_CYCLE_1)
	s_and_b32 s10, s10, exec_lo
                                        ; implicit-def: $vgpr114
	s_or_saveexec_b32 s25, s25
	v_mov_b32_e32 v113, s24
	s_xor_b32 exec_lo, exec_lo, s25
	s_cbranch_execz .LBB4_2847
.LBB4_3022:                             ;   in Loop: Header=BB4_2681 Depth=2
	v_cmp_ne_u16_e64 s7, 0, v114
	v_mov_b32_e32 v113, 0
	s_and_not1_b32 s10, s10, exec_lo
	s_delay_alu instid0(VALU_DEP_2) | instskip(NEXT) | instid1(SALU_CYCLE_1)
	s_and_b32 s7, s7, exec_lo
	s_or_b32 s10, s10, s7
	s_or_b32 exec_lo, exec_lo, s25
	s_and_saveexec_b32 s24, s10
	s_cbranch_execnz .LBB4_2848
	s_branch .LBB4_2849
.LBB4_3023:                             ;   in Loop: Header=BB4_2681 Depth=2
	s_mov_b32 s10, -1
	s_mov_b32 s26, exec_lo
                                        ; implicit-def: $sgpr24
	v_cmpx_eq_u16_e32 0x80, v113
; %bb.3024:                             ;   in Loop: Header=BB4_2681 Depth=2
	s_mov_b32 s24, 0x7f800001
	s_xor_b32 s10, exec_lo, -1
; %bb.3025:                             ;   in Loop: Header=BB4_2681 Depth=2
	s_or_b32 exec_lo, exec_lo, s26
	s_delay_alu instid0(SALU_CYCLE_1)
	s_and_b32 s10, s10, exec_lo
	s_or_saveexec_b32 s25, s25
	v_mov_b32_e32 v112, s24
	s_xor_b32 exec_lo, exec_lo, s25
	s_cbranch_execz .LBB4_2859
.LBB4_3026:                             ;   in Loop: Header=BB4_2681 Depth=2
	v_cmp_ne_u16_e64 s7, 0, v113
	v_mov_b32_e32 v112, 0
	s_and_not1_b32 s10, s10, exec_lo
	s_delay_alu instid0(VALU_DEP_2) | instskip(NEXT) | instid1(SALU_CYCLE_1)
	s_and_b32 s7, s7, exec_lo
	s_or_b32 s10, s10, s7
	s_or_b32 exec_lo, exec_lo, s25
	s_and_saveexec_b32 s24, s10
	s_cbranch_execnz .LBB4_2860
	s_branch .LBB4_2861
.LBB4_3027:                             ;   in Loop: Header=BB4_2681 Depth=2
	s_mov_b32 s10, -1
	s_mov_b32 s26, exec_lo
                                        ; implicit-def: $sgpr24
	v_cmpx_eq_u16_e32 0x80, v16
; %bb.3028:                             ;   in Loop: Header=BB4_2681 Depth=2
	s_mov_b32 s24, 0x7f800001
	s_xor_b32 s10, exec_lo, -1
; %bb.3029:                             ;   in Loop: Header=BB4_2681 Depth=2
	s_or_b32 exec_lo, exec_lo, s26
	s_delay_alu instid0(SALU_CYCLE_1)
	s_and_b32 s10, s10, exec_lo
	s_or_saveexec_b32 s25, s25
	v_mov_b32_e32 v113, s24
	s_xor_b32 exec_lo, exec_lo, s25
	s_cbranch_execz .LBB4_2863
.LBB4_3030:                             ;   in Loop: Header=BB4_2681 Depth=2
	v_cmp_ne_u16_e64 s7, 0, v16
	v_mov_b32_e32 v113, 0
	s_and_not1_b32 s10, s10, exec_lo
	s_delay_alu instid0(VALU_DEP_2) | instskip(NEXT) | instid1(SALU_CYCLE_1)
	s_and_b32 s7, s7, exec_lo
	s_or_b32 s10, s10, s7
	s_or_b32 exec_lo, exec_lo, s25
	s_and_saveexec_b32 s24, s10
	s_cbranch_execnz .LBB4_2864
	s_branch .LBB4_2865
.LBB4_3031:                             ;   in Loop: Header=BB4_2681 Depth=2
	s_mov_b32 s10, -1
	s_mov_b32 s26, exec_lo
                                        ; implicit-def: $sgpr24
	v_cmpx_eq_u16_e32 0x80, v112
; %bb.3032:                             ;   in Loop: Header=BB4_2681 Depth=2
	s_mov_b32 s24, 0x7f800001
	s_xor_b32 s10, exec_lo, -1
; %bb.3033:                             ;   in Loop: Header=BB4_2681 Depth=2
	s_or_b32 exec_lo, exec_lo, s26
	s_delay_alu instid0(SALU_CYCLE_1)
	s_and_b32 s10, s10, exec_lo
                                        ; implicit-def: $vgpr112
	s_or_saveexec_b32 s25, s25
	v_mov_b32_e32 v16, s24
	s_xor_b32 exec_lo, exec_lo, s25
	s_cbranch_execz .LBB4_2875
.LBB4_3034:                             ;   in Loop: Header=BB4_2681 Depth=2
	v_cmp_ne_u16_e64 s7, 0, v112
	v_mov_b32_e32 v16, 0
	s_and_not1_b32 s10, s10, exec_lo
	s_delay_alu instid0(VALU_DEP_2) | instskip(NEXT) | instid1(SALU_CYCLE_1)
	s_and_b32 s7, s7, exec_lo
	s_or_b32 s10, s10, s7
	s_or_b32 exec_lo, exec_lo, s25
	s_and_saveexec_b32 s24, s10
	s_cbranch_execnz .LBB4_2876
	s_branch .LBB4_2877
.LBB4_3035:                             ;   in Loop: Header=BB4_2681 Depth=2
	s_mov_b32 s10, -1
	s_mov_b32 s26, exec_lo
                                        ; implicit-def: $sgpr24
	v_cmpx_eq_u16_e32 0x80, v113
; %bb.3036:                             ;   in Loop: Header=BB4_2681 Depth=2
	s_mov_b32 s24, 0x7f800001
	s_xor_b32 s10, exec_lo, -1
; %bb.3037:                             ;   in Loop: Header=BB4_2681 Depth=2
	s_or_b32 exec_lo, exec_lo, s26
	s_delay_alu instid0(SALU_CYCLE_1)
	s_and_b32 s10, s10, exec_lo
                                        ; implicit-def: $vgpr113
	s_or_saveexec_b32 s25, s25
	v_mov_b32_e32 v112, s24
	s_xor_b32 exec_lo, exec_lo, s25
	s_cbranch_execz .LBB4_2879
.LBB4_3038:                             ;   in Loop: Header=BB4_2681 Depth=2
	v_cmp_ne_u16_e64 s7, 0, v113
	v_mov_b32_e32 v112, 0
	s_and_not1_b32 s10, s10, exec_lo
	s_delay_alu instid0(VALU_DEP_2) | instskip(NEXT) | instid1(SALU_CYCLE_1)
	s_and_b32 s7, s7, exec_lo
	s_or_b32 s10, s10, s7
	s_or_b32 exec_lo, exec_lo, s25
	s_and_saveexec_b32 s24, s10
	s_cbranch_execnz .LBB4_2880
	s_branch .LBB4_2881
.LBB4_3039:                             ;   in Loop: Header=BB4_2681 Depth=2
	s_mov_b32 s10, -1
	s_mov_b32 s26, exec_lo
                                        ; implicit-def: $sgpr24
	v_cmpx_eq_u16_e32 0x80, v113
; %bb.3040:                             ;   in Loop: Header=BB4_2681 Depth=2
	s_mov_b32 s24, 0x7f800001
	s_xor_b32 s10, exec_lo, -1
; %bb.3041:                             ;   in Loop: Header=BB4_2681 Depth=2
	s_or_b32 exec_lo, exec_lo, s26
	s_delay_alu instid0(SALU_CYCLE_1)
	s_and_b32 s10, s10, exec_lo
	s_or_saveexec_b32 s25, s25
	v_mov_b32_e32 v112, s24
	s_xor_b32 exec_lo, exec_lo, s25
	s_cbranch_execz .LBB4_2891
.LBB4_3042:                             ;   in Loop: Header=BB4_2681 Depth=2
	v_cmp_ne_u16_e64 s7, 0, v113
	v_mov_b32_e32 v112, 0
	s_and_not1_b32 s10, s10, exec_lo
	s_delay_alu instid0(VALU_DEP_2) | instskip(NEXT) | instid1(SALU_CYCLE_1)
	s_and_b32 s7, s7, exec_lo
	s_or_b32 s10, s10, s7
	s_or_b32 exec_lo, exec_lo, s25
	s_and_saveexec_b32 s24, s10
	s_cbranch_execnz .LBB4_2892
	s_branch .LBB4_2893
.LBB4_3043:                             ;   in Loop: Header=BB4_2681 Depth=2
	s_mov_b32 s10, -1
	s_mov_b32 s26, exec_lo
                                        ; implicit-def: $sgpr24
	v_cmpx_eq_u16_e32 0x80, v113
; %bb.3044:                             ;   in Loop: Header=BB4_2681 Depth=2
	s_mov_b32 s24, 0x7f800001
	s_xor_b32 s10, exec_lo, -1
; %bb.3045:                             ;   in Loop: Header=BB4_2681 Depth=2
	s_or_b32 exec_lo, exec_lo, s26
	s_delay_alu instid0(SALU_CYCLE_1)
	s_and_b32 s10, s10, exec_lo
	s_or_saveexec_b32 s25, s25
	v_mov_b32_e32 v114, s24
	s_xor_b32 exec_lo, exec_lo, s25
	s_cbranch_execz .LBB4_2895
.LBB4_3046:                             ;   in Loop: Header=BB4_2681 Depth=2
	v_cmp_ne_u16_e64 s7, 0, v113
	v_mov_b32_e32 v114, 0
	s_and_not1_b32 s10, s10, exec_lo
	s_delay_alu instid0(VALU_DEP_2) | instskip(NEXT) | instid1(SALU_CYCLE_1)
	s_and_b32 s7, s7, exec_lo
	s_or_b32 s10, s10, s7
	s_or_b32 exec_lo, exec_lo, s25
	s_and_saveexec_b32 s24, s10
	s_cbranch_execnz .LBB4_2896
	s_branch .LBB4_2897
.LBB4_3047:                             ;   in Loop: Header=BB4_2681 Depth=2
	s_mov_b32 s10, -1
	s_mov_b32 s26, exec_lo
                                        ; implicit-def: $sgpr24
	v_cmpx_eq_u16_e32 0x80, v115
; %bb.3048:                             ;   in Loop: Header=BB4_2681 Depth=2
	s_mov_b32 s24, 0x7f800001
	s_xor_b32 s10, exec_lo, -1
; %bb.3049:                             ;   in Loop: Header=BB4_2681 Depth=2
	s_or_b32 exec_lo, exec_lo, s26
	s_delay_alu instid0(SALU_CYCLE_1)
	s_and_b32 s10, s10, exec_lo
                                        ; implicit-def: $vgpr115
	s_or_saveexec_b32 s25, s25
	v_mov_b32_e32 v113, s24
	s_xor_b32 exec_lo, exec_lo, s25
	s_cbranch_execz .LBB4_2907
.LBB4_3050:                             ;   in Loop: Header=BB4_2681 Depth=2
	v_cmp_ne_u16_e64 s7, 0, v115
	v_mov_b32_e32 v113, 0
	s_and_not1_b32 s10, s10, exec_lo
	s_delay_alu instid0(VALU_DEP_2) | instskip(NEXT) | instid1(SALU_CYCLE_1)
	s_and_b32 s7, s7, exec_lo
	s_or_b32 s10, s10, s7
	s_or_b32 exec_lo, exec_lo, s25
	s_and_saveexec_b32 s24, s10
	s_cbranch_execnz .LBB4_2908
	s_branch .LBB4_2909
.LBB4_3051:                             ;   in Loop: Header=BB4_2681 Depth=2
	s_mov_b32 s10, -1
	s_mov_b32 s26, exec_lo
                                        ; implicit-def: $sgpr24
	v_cmpx_eq_u16_e32 0x80, v116
; %bb.3052:                             ;   in Loop: Header=BB4_2681 Depth=2
	s_mov_b32 s24, 0x7f800001
	s_xor_b32 s10, exec_lo, -1
; %bb.3053:                             ;   in Loop: Header=BB4_2681 Depth=2
	s_or_b32 exec_lo, exec_lo, s26
	s_delay_alu instid0(SALU_CYCLE_1)
	s_and_b32 s10, s10, exec_lo
                                        ; implicit-def: $vgpr116
	s_or_saveexec_b32 s25, s25
	v_mov_b32_e32 v115, s24
	s_xor_b32 exec_lo, exec_lo, s25
	s_cbranch_execz .LBB4_2911
.LBB4_3054:                             ;   in Loop: Header=BB4_2681 Depth=2
	v_cmp_ne_u16_e64 s7, 0, v116
	v_mov_b32_e32 v115, 0
	s_and_not1_b32 s10, s10, exec_lo
	s_delay_alu instid0(VALU_DEP_2) | instskip(NEXT) | instid1(SALU_CYCLE_1)
	s_and_b32 s7, s7, exec_lo
	s_or_b32 s10, s10, s7
	s_or_b32 exec_lo, exec_lo, s25
	s_and_saveexec_b32 s24, s10
	s_cbranch_execnz .LBB4_2912
	s_branch .LBB4_2913
.LBB4_3055:                             ;   in Loop: Header=BB4_2681 Depth=2
	s_mov_b32 s10, -1
	s_mov_b32 s26, exec_lo
                                        ; implicit-def: $sgpr24
	v_cmpx_eq_u16_e32 0x80, v115
; %bb.3056:                             ;   in Loop: Header=BB4_2681 Depth=2
	s_mov_b32 s24, 0x7f800001
	s_xor_b32 s10, exec_lo, -1
; %bb.3057:                             ;   in Loop: Header=BB4_2681 Depth=2
	s_or_b32 exec_lo, exec_lo, s26
	s_delay_alu instid0(SALU_CYCLE_1)
	s_and_b32 s10, s10, exec_lo
	s_or_saveexec_b32 s25, s25
	v_mov_b32_e32 v114, s24
	s_xor_b32 exec_lo, exec_lo, s25
	s_cbranch_execz .LBB4_2923
.LBB4_3058:                             ;   in Loop: Header=BB4_2681 Depth=2
	v_cmp_ne_u16_e64 s7, 0, v115
	v_mov_b32_e32 v114, 0
	s_and_not1_b32 s10, s10, exec_lo
	s_delay_alu instid0(VALU_DEP_2) | instskip(NEXT) | instid1(SALU_CYCLE_1)
	s_and_b32 s7, s7, exec_lo
	s_or_b32 s10, s10, s7
	s_or_b32 exec_lo, exec_lo, s25
	s_and_saveexec_b32 s24, s10
	s_cbranch_execnz .LBB4_2924
	s_branch .LBB4_2925
.LBB4_3059:                             ;   in Loop: Header=BB4_2681 Depth=2
	s_mov_b32 s10, -1
	s_mov_b32 s26, exec_lo
                                        ; implicit-def: $sgpr24
	v_cmpx_eq_u16_e32 0x80, v17
; %bb.3060:                             ;   in Loop: Header=BB4_2681 Depth=2
	s_mov_b32 s24, 0x7f800001
	s_xor_b32 s10, exec_lo, -1
; %bb.3061:                             ;   in Loop: Header=BB4_2681 Depth=2
	s_or_b32 exec_lo, exec_lo, s26
	s_delay_alu instid0(SALU_CYCLE_1)
	s_and_b32 s10, s10, exec_lo
	s_or_saveexec_b32 s25, s25
	v_mov_b32_e32 v115, s24
	s_xor_b32 exec_lo, exec_lo, s25
	s_cbranch_execz .LBB4_2927
.LBB4_3062:                             ;   in Loop: Header=BB4_2681 Depth=2
	v_cmp_ne_u16_e64 s7, 0, v17
	v_mov_b32_e32 v115, 0
	s_and_not1_b32 s10, s10, exec_lo
	s_delay_alu instid0(VALU_DEP_2) | instskip(NEXT) | instid1(SALU_CYCLE_1)
	s_and_b32 s7, s7, exec_lo
	s_or_b32 s10, s10, s7
	s_or_b32 exec_lo, exec_lo, s25
	s_and_saveexec_b32 s24, s10
	s_cbranch_execnz .LBB4_2928
	s_branch .LBB4_2929
.LBB4_3063:                             ;   in Loop: Header=BB4_1821 Depth=1
	s_or_b32 exec_lo, exec_lo, s23
.LBB4_3064:                             ;   in Loop: Header=BB4_1821 Depth=1
	s_delay_alu instid0(SALU_CYCLE_1) | instskip(SKIP_3) | instid1(VALU_DEP_1)
	s_or_b32 exec_lo, exec_lo, s22
	v_dual_mov_b32 v16, 0 :: v_dual_and_b32 v11, 15, v50
	s_mov_b32 s10, 0
	s_mov_b32 s22, exec_lo
                                        ; implicit-def: $vgpr18
                                        ; implicit-def: $vgpr10
	v_cndmask_b32_e32 v17, v25, v11, vcc_lo
	s_delay_alu instid0(VALU_DEP_1)
	v_cmpx_ne_u32_e32 0, v17
	s_cbranch_execz .LBB4_3066
; %bb.3065:                             ;   in Loop: Header=BB4_1821 Depth=1
	v_cmp_lt_i32_e64 s7, 0, v64
	v_sub_nc_u32_e32 v11, v25, v11
	v_and_b32_e32 v12, 0x3ffffe00, v50
	s_mov_b32 s10, exec_lo
	s_delay_alu instid0(VALU_DEP_3) | instskip(NEXT) | instid1(VALU_DEP_3)
	v_cndmask_b32_e64 v10, 0, v70, s7
	v_cndmask_b32_e32 v11, 0, v11, vcc_lo
	s_delay_alu instid0(VALU_DEP_2) | instskip(NEXT) | instid1(VALU_DEP_2)
	v_sub_nc_u32_e32 v10, v10, v64
	v_add_nc_u32_e32 v16, v11, v12
	s_delay_alu instid0(VALU_DEP_2) | instskip(NEXT) | instid1(VALU_DEP_1)
	v_lshl_add_u32 v18, v10, 5, v24
	v_ashrrev_i32_e32 v10, 31, v18
	s_delay_alu instid0(VALU_DEP_1) | instskip(NEXT) | instid1(VALU_DEP_1)
	v_lshrrev_b32_e32 v10, 27, v10
	v_add_nc_u32_e32 v10, v18, v10
	s_delay_alu instid0(VALU_DEP_1)
	v_ashrrev_i32_e32 v10, 5, v10
.LBB4_3066:                             ;   in Loop: Header=BB4_1821 Depth=1
	s_or_b32 exec_lo, exec_lo, s22
	s_delay_alu instid0(SALU_CYCLE_1)
	s_and_b32 s7, s10, exec_lo
.LBB4_3067:                             ;   in Loop: Header=BB4_1821 Depth=1
	s_or_b32 exec_lo, exec_lo, s21
.LBB4_3068:                             ;   in Loop: Header=BB4_1821 Depth=1
	s_and_saveexec_b32 s10, s7
	s_cbranch_execz .LBB4_3487
; %bb.3069:                             ;   in Loop: Header=BB4_1821 Depth=1
	s_delay_alu instid0(VALU_DEP_1) | instskip(SKIP_1) | instid1(VALU_DEP_1)
	v_ashrrev_i32_e32 v11, 31, v17
	s_mov_b32 s21, exec_lo
	v_lshrrev_b32_e32 v11, 23, v11
	s_delay_alu instid0(VALU_DEP_1) | instskip(NEXT) | instid1(VALU_DEP_1)
	v_add_nc_u32_e32 v11, v17, v11
	v_ashrrev_i32_e32 v20, 9, v11
	s_delay_alu instid0(VALU_DEP_1) | instskip(NEXT) | instid1(VALU_DEP_1)
	v_sub_nc_u32_e32 v19, v20, v10
	v_cmpx_lt_i32_e32 0, v19
	s_cbranch_execz .LBB4_3458
; %bb.3070:                             ;   in Loop: Header=BB4_1821 Depth=1
	s_cbranch_execnz .LBB4_3963
; %bb.3071:                             ;   in Loop: Header=BB4_1821 Depth=1
	v_ashrrev_i32_e32 v11, 31, v18
	ds_load_b64 v[21:22], v0
	v_lshlrev_b32_e32 v10, 9, v10
	s_mov_b32 s22, 0
	v_lshrrev_b32_e32 v11, 27, v11
	s_delay_alu instid0(VALU_DEP_1) | instskip(NEXT) | instid1(VALU_DEP_1)
	v_add_nc_u32_e32 v11, v18, v11
	v_and_b32_e32 v15, 0xffffffe0, v11
	ds_load_b128 v[11:14], v0
	v_sub_nc_u32_e32 v15, v18, v15
	s_waitcnt lgkmcnt(1)
	v_add_co_u32 v21, vcc_lo, 0x1e0, v21
	v_add_co_ci_u32_e32 v22, vcc_lo, 0, v22, vcc_lo
	s_delay_alu instid0(VALU_DEP_3) | instskip(NEXT) | instid1(VALU_DEP_1)
	v_add3_u32 v15, v16, v15, v10
	v_ashrrev_i32_e32 v23, 31, v15
	s_waitcnt lgkmcnt(0)
	v_add_co_u32 v10, vcc_lo, v11, v15
	s_delay_alu instid0(VALU_DEP_2)
	v_add_co_ci_u32_e32 v11, vcc_lo, v12, v23, vcc_lo
	v_add_co_u32 v12, vcc_lo, v13, v15
	v_add_co_ci_u32_e32 v13, vcc_lo, v14, v23, vcc_lo
	v_add_co_u32 v14, vcc_lo, v21, v15
	v_add_co_ci_u32_e32 v15, vcc_lo, v22, v23, vcc_lo
	s_branch .LBB4_3075
.LBB4_3072:                             ;   in Loop: Header=BB4_3075 Depth=2
	s_or_b32 exec_lo, exec_lo, s7
	s_delay_alu instid0(VALU_DEP_1) | instskip(NEXT) | instid1(VALU_DEP_2)
	v_lshrrev_b32_e32 v25, 21, v25
	v_cmp_gt_i32_e32 vcc_lo, 32, v21
	v_lshrrev_b32_e32 v22, 24, v22
	v_min_i32_e32 v66, 31, v21
	s_delay_alu instid0(VALU_DEP_2) | instskip(NEXT) | instid1(VALU_DEP_2)
	v_dual_cndmask_b32 v25, 3, v25 :: v_dual_and_b32 v22, 0x80, v22
	v_lshlrev_b32_e32 v66, 2, v66
	s_delay_alu instid0(VALU_DEP_2) | instskip(SKIP_1) | instid1(VALU_DEP_2)
	v_and_b32_e32 v69, 3, v25
	v_or_b32_e32 v21, v21, v25
	v_or3_b32 v22, v66, v22, v69
	s_delay_alu instid0(VALU_DEP_2) | instskip(NEXT) | instid1(VALU_DEP_2)
	v_cmp_ne_u32_e32 vcc_lo, 0, v21
	v_cndmask_b32_e32 v21, 0, v22, vcc_lo
.LBB4_3073:                             ;   in Loop: Header=BB4_3075 Depth=2
	s_or_b32 exec_lo, exec_lo, s24
.LBB4_3074:                             ;   in Loop: Header=BB4_3075 Depth=2
	s_delay_alu instid0(SALU_CYCLE_1)
	s_or_b32 exec_lo, exec_lo, s23
	v_add_co_u32 v130, vcc_lo, 0xfffffe20, v14
	v_add_co_ci_u32_e32 v131, vcc_lo, -1, v15, vcc_lo
	v_add_co_u32 v132, vcc_lo, 0xfffffe40, v14
	v_add_co_ci_u32_e32 v133, vcc_lo, -1, v15, vcc_lo
	;; [unrolled: 2-line block ×5, first 2 shown]
	v_add_co_u32 v22, vcc_lo, 0xfffffec0, v14
	flat_store_b8 v[130:131], v23 glc slc dlc
	flat_store_b8 v[132:133], v64 glc slc dlc
	;; [unrolled: 1-line block ×5, first 2 shown]
	v_add_co_ci_u32_e32 v23, vcc_lo, -1, v15, vcc_lo
	v_add_co_u32 v66, vcc_lo, 0xfffffee0, v14
	v_add_co_ci_u32_e32 v67, vcc_lo, -1, v15, vcc_lo
	v_add_co_u32 v130, vcc_lo, 0xffffff00, v14
	;; [unrolled: 2-line block ×4, first 2 shown]
	v_add_co_ci_u32_e32 v135, vcc_lo, -1, v15, vcc_lo
	flat_store_b8 v[22:23], v115 glc slc dlc
	flat_store_b8 v[66:67], v118 glc slc dlc
	;; [unrolled: 1-line block ×5, first 2 shown]
	v_add_co_u32 v22, vcc_lo, 0xffffff60, v14
	v_add_co_ci_u32_e32 v23, vcc_lo, -1, v15, vcc_lo
	v_add_co_u32 v66, vcc_lo, 0xffffff80, v14
	v_add_co_ci_u32_e32 v67, vcc_lo, -1, v15, vcc_lo
	;; [unrolled: 2-line block ×5, first 2 shown]
	v_add_co_u32 v10, vcc_lo, v10, v97
	v_sub_nc_u32_e32 v19, v19, v70
	v_add_co_ci_u32_e32 v11, vcc_lo, v11, v98, vcc_lo
	v_add_co_u32 v12, vcc_lo, v12, v97
	v_add_co_ci_u32_e32 v13, vcc_lo, v13, v98, vcc_lo
	flat_store_b8 v[22:23], v113 glc slc dlc
	flat_store_b8 v[66:67], v102 glc slc dlc
	;; [unrolled: 1-line block ×6, first 2 shown]
	v_cmp_gt_i32_e32 vcc_lo, 1, v19
	v_add_co_u32 v14, s7, v14, v97
	s_delay_alu instid0(VALU_DEP_1) | instskip(SKIP_1) | instid1(SALU_CYCLE_1)
	v_add_co_ci_u32_e64 v15, s7, v15, v98, s7
	s_or_b32 s22, vcc_lo, s22
	s_and_not1_b32 exec_lo, exec_lo, s22
	s_cbranch_execz .LBB4_3457
.LBB4_3075:                             ;   Parent Loop BB4_1821 Depth=1
                                        ; =>  This Inner Loop Header: Depth=2
	s_clause 0xf
	flat_load_u8 v146, v[10:11] slc dlc
	flat_load_u8 v144, v[10:11] offset:32 slc dlc
	flat_load_u8 v135, v[10:11] offset:64 slc dlc
	;; [unrolled: 1-line block ×15, first 2 shown]
	s_clause 0xf
	flat_load_u8 v23, v[12:13] slc dlc
	flat_load_u8 v64, v[12:13] offset:32 slc dlc
	flat_load_u8 v67, v[12:13] offset:64 slc dlc
	;; [unrolled: 1-line block ×15, first 2 shown]
	s_mov_b32 s7, 0
	s_mov_b32 s24, exec_lo
                                        ; implicit-def: $sgpr23
	s_waitcnt vmcnt(31) lgkmcnt(31)
	v_cmpx_lt_i16_e64 0x7f, v146
	s_xor_b32 s24, exec_lo, s24
	s_cbranch_execnz .LBB4_3329
; %bb.3076:                             ;   in Loop: Header=BB4_3075 Depth=2
	s_or_saveexec_b32 s24, s24
	v_mov_b32_e32 v145, s23
	s_xor_b32 exec_lo, exec_lo, s24
	s_cbranch_execnz .LBB4_3332
.LBB4_3077:                             ;   in Loop: Header=BB4_3075 Depth=2
	s_or_b32 exec_lo, exec_lo, s24
	s_and_saveexec_b32 s23, s7
	s_cbranch_execz .LBB4_3079
.LBB4_3078:                             ;   in Loop: Header=BB4_3075 Depth=2
	v_and_b32_e32 v145, 0xffff, v146
	s_delay_alu instid0(VALU_DEP_1) | instskip(NEXT) | instid1(VALU_DEP_1)
	v_and_b32_e32 v147, 3, v145
	v_clz_i32_u32_e32 v148, v147
	s_delay_alu instid0(VALU_DEP_1) | instskip(NEXT) | instid1(VALU_DEP_1)
	v_min_u32_e32 v148, 32, v148
	v_subrev_nc_u32_e32 v149, 29, v148
	v_sub_nc_u32_e32 v148, 30, v148
	s_delay_alu instid0(VALU_DEP_2) | instskip(SKIP_1) | instid1(VALU_DEP_2)
	v_lshlrev_b32_e32 v149, v149, v145
	v_bfe_u32 v145, v145, 2, 5
	v_and_b32_e32 v149, 3, v149
	s_delay_alu instid0(VALU_DEP_2) | instskip(SKIP_1) | instid1(VALU_DEP_1)
	v_cmp_eq_u32_e32 vcc_lo, 0, v145
	v_dual_cndmask_b32 v145, v145, v148 :: v_dual_lshlrev_b32 v146, 24, v146
	v_dual_cndmask_b32 v147, v147, v149 :: v_dual_and_b32 v146, 0x80000000, v146
	s_delay_alu instid0(VALU_DEP_2) | instskip(NEXT) | instid1(VALU_DEP_2)
	v_lshl_add_u32 v145, v145, 23, 0x37800000
	v_lshlrev_b32_e32 v147, 21, v147
	s_delay_alu instid0(VALU_DEP_1)
	v_or3_b32 v145, v146, v145, v147
.LBB4_3079:                             ;   in Loop: Header=BB4_3075 Depth=2
	s_or_b32 exec_lo, exec_lo, s23
	s_waitcnt vmcnt(15) lgkmcnt(15)
	v_and_b32_e32 v147, 0xff, v23
	s_mov_b32 s7, 0
	s_mov_b32 s24, exec_lo
                                        ; implicit-def: $sgpr23
	s_delay_alu instid0(VALU_DEP_1)
	v_cmpx_lt_i16_e64 0x7f, v147
	s_xor_b32 s24, exec_lo, s24
	s_cbranch_execnz .LBB4_3333
; %bb.3080:                             ;   in Loop: Header=BB4_3075 Depth=2
	s_or_saveexec_b32 s24, s24
	v_mov_b32_e32 v146, s23
	s_xor_b32 exec_lo, exec_lo, s24
	s_cbranch_execnz .LBB4_3336
.LBB4_3081:                             ;   in Loop: Header=BB4_3075 Depth=2
	s_or_b32 exec_lo, exec_lo, s24
	s_and_saveexec_b32 s23, s7
	s_cbranch_execz .LBB4_3083
.LBB4_3082:                             ;   in Loop: Header=BB4_3075 Depth=2
	v_and_b32_e32 v146, 3, v23
	v_lshrrev_b16 v149, 2, v23
	s_delay_alu instid0(VALU_DEP_2) | instskip(NEXT) | instid1(VALU_DEP_1)
	v_clz_i32_u32_e32 v147, v146
	v_min_u32_e32 v147, 32, v147
	s_delay_alu instid0(VALU_DEP_1) | instskip(SKIP_1) | instid1(VALU_DEP_2)
	v_subrev_nc_u32_e32 v148, 29, v147
	v_sub_nc_u32_e32 v147, 30, v147
	v_lshlrev_b32_e32 v148, v148, v23
	v_lshlrev_b32_e32 v23, 24, v23
	s_delay_alu instid0(VALU_DEP_2) | instskip(SKIP_1) | instid1(VALU_DEP_3)
	v_and_b32_e32 v148, 3, v148
	v_and_b32_e32 v149, 31, v149
	;; [unrolled: 1-line block ×3, first 2 shown]
	s_delay_alu instid0(VALU_DEP_2) | instskip(NEXT) | instid1(VALU_DEP_4)
	v_cmp_eq_u32_e32 vcc_lo, 0, v149
	v_dual_cndmask_b32 v146, v146, v148 :: v_dual_cndmask_b32 v147, v149, v147
	s_delay_alu instid0(VALU_DEP_1) | instskip(NEXT) | instid1(VALU_DEP_2)
	v_lshlrev_b32_e32 v146, 21, v146
	v_lshl_add_u32 v147, v147, 23, 0x37800000
	s_delay_alu instid0(VALU_DEP_1)
	v_or3_b32 v146, v23, v147, v146
.LBB4_3083:                             ;   in Loop: Header=BB4_3075 Depth=2
	s_or_b32 exec_lo, exec_lo, s23
	s_delay_alu instid0(VALU_DEP_1) | instskip(NEXT) | instid1(VALU_DEP_1)
	v_mul_f32_e32 v145, v145, v146
	v_and_b32_e32 v23, 0x7f800000, v145
	s_delay_alu instid0(VALU_DEP_1)
	v_cmp_ne_u32_e32 vcc_lo, 0x7f800000, v23
	v_mov_b32_e32 v23, 0x80
	s_and_saveexec_b32 s23, vcc_lo
	s_cbranch_execz .LBB4_3091
; %bb.3084:                             ;   in Loop: Header=BB4_3075 Depth=2
	v_mov_b32_e32 v23, 0
	s_mov_b32 s24, exec_lo
	v_cmpx_ne_u32_e32 0, v145
	s_cbranch_execz .LBB4_3090
; %bb.3085:                             ;   in Loop: Header=BB4_3075 Depth=2
	v_bfe_u32 v23, v145, 23, 8
	s_delay_alu instid0(VALU_DEP_1) | instskip(SKIP_1) | instid1(VALU_DEP_2)
	v_sub_nc_u32_e32 v147, 0x70, v23
	v_cmp_gt_u32_e32 vcc_lo, 0x71, v23
	v_dual_cndmask_b32 v147, 0, v147 :: v_dual_and_b32 v146, 0x7fffff, v145
	s_delay_alu instid0(VALU_DEP_1) | instskip(SKIP_2) | instid1(VALU_DEP_4)
	v_or_b32_e32 v148, 0x800000, v146
	v_cmp_eq_u32_e32 vcc_lo, 0, v23
	v_add_nc_u32_e32 v23, 0xffffff91, v23
	v_cndmask_b32_e64 v147, v147, 0x6f, vcc_lo
	s_delay_alu instid0(VALU_DEP_4) | instskip(NEXT) | instid1(VALU_DEP_3)
	v_cndmask_b32_e32 v146, v148, v146, vcc_lo
	v_cndmask_b32_e64 v23, v23, 0xffffff92, vcc_lo
	s_delay_alu instid0(VALU_DEP_3) | instskip(NEXT) | instid1(VALU_DEP_3)
	v_lshl_add_u32 v148, 0x200000, v147, -1
	v_lshrrev_b32_e32 v149, v147, v146
	v_lshlrev_b32_e64 v151, v147, 0x100000
	s_delay_alu instid0(VALU_DEP_4) | instskip(NEXT) | instid1(VALU_DEP_4)
	v_add_nc_u32_e32 v147, v147, v23
	v_and_b32_e32 v146, v148, v146
	s_delay_alu instid0(VALU_DEP_4) | instskip(NEXT) | instid1(VALU_DEP_2)
	v_bfe_u32 v150, v149, 21, 1
	v_cmp_eq_u32_e64 s7, v146, v151
	s_delay_alu instid0(VALU_DEP_2) | instskip(NEXT) | instid1(VALU_DEP_1)
	v_add_nc_u32_e32 v148, -1, v150
	v_cndmask_b32_e64 v146, 0, v148, s7
	v_lshrrev_b32_e32 v148, 23, v149
	s_mov_b32 s7, exec_lo
	s_delay_alu instid0(VALU_DEP_2) | instskip(NEXT) | instid1(VALU_DEP_2)
	v_add_nc_u32_e32 v146, v146, v149
	v_xor_b32_e32 v148, 1, v148
	s_delay_alu instid0(VALU_DEP_2) | instskip(NEXT) | instid1(VALU_DEP_1)
	v_and_b32_e32 v23, 0x1fffff, v146
	v_add_nc_u32_e32 v146, v23, v149
                                        ; implicit-def: $vgpr23
	s_delay_alu instid0(VALU_DEP_3)
	v_cmpx_ne_u32_e64 v147, v148
	s_xor_b32 s7, exec_lo, s7
; %bb.3086:                             ;   in Loop: Header=BB4_3075 Depth=2
	s_delay_alu instid0(VALU_DEP_2) | instskip(SKIP_2) | instid1(VALU_DEP_2)
	v_cmp_lt_u32_e32 vcc_lo, 0xffffff, v146
	v_sub_nc_u32_e32 v23, v147, v148
	v_cndmask_b32_e64 v147, 0, 1, vcc_lo
	v_add_co_ci_u32_e32 v23, vcc_lo, 0, v23, vcc_lo
	s_delay_alu instid0(VALU_DEP_2)
	v_lshrrev_b32_e32 v146, v147, v146
; %bb.3087:                             ;   in Loop: Header=BB4_3075 Depth=2
	s_and_not1_saveexec_b32 s7, s7
; %bb.3088:                             ;   in Loop: Header=BB4_3075 Depth=2
	s_delay_alu instid0(VALU_DEP_1)
	v_bfe_u32 v23, v146, 23, 1
; %bb.3089:                             ;   in Loop: Header=BB4_3075 Depth=2
	s_or_b32 exec_lo, exec_lo, s7
	v_lshrrev_b32_e32 v146, 21, v146
	s_delay_alu instid0(VALU_DEP_2) | instskip(SKIP_2) | instid1(VALU_DEP_2)
	v_cmp_gt_i32_e32 vcc_lo, 32, v23
	v_lshrrev_b32_e32 v145, 24, v145
	v_min_i32_e32 v147, 31, v23
	v_dual_cndmask_b32 v146, 3, v146 :: v_dual_and_b32 v145, 0x80, v145
	s_delay_alu instid0(VALU_DEP_2) | instskip(NEXT) | instid1(VALU_DEP_2)
	v_lshlrev_b32_e32 v147, 2, v147
	v_or_b32_e32 v23, v23, v146
	s_delay_alu instid0(VALU_DEP_1) | instskip(SKIP_1) | instid1(VALU_DEP_1)
	v_cmp_ne_u32_e32 vcc_lo, 0, v23
	v_and_b32_e32 v148, 3, v146
	v_or3_b32 v145, v147, v145, v148
	s_delay_alu instid0(VALU_DEP_1)
	v_cndmask_b32_e32 v23, 0, v145, vcc_lo
.LBB4_3090:                             ;   in Loop: Header=BB4_3075 Depth=2
	s_or_b32 exec_lo, exec_lo, s24
.LBB4_3091:                             ;   in Loop: Header=BB4_3075 Depth=2
	s_delay_alu instid0(SALU_CYCLE_1) | instskip(SKIP_3) | instid1(VALU_DEP_1)
	s_or_b32 exec_lo, exec_lo, s23
	v_and_b32_e32 v146, 0xff, v144
	s_mov_b32 s7, 0
	s_mov_b32 s24, exec_lo
                                        ; implicit-def: $sgpr23
	v_cmpx_lt_i16_e64 0x7f, v146
	s_xor_b32 s24, exec_lo, s24
	s_cbranch_execnz .LBB4_3337
; %bb.3092:                             ;   in Loop: Header=BB4_3075 Depth=2
	s_or_saveexec_b32 s24, s24
	v_mov_b32_e32 v145, s23
	s_xor_b32 exec_lo, exec_lo, s24
	s_cbranch_execnz .LBB4_3340
.LBB4_3093:                             ;   in Loop: Header=BB4_3075 Depth=2
	s_or_b32 exec_lo, exec_lo, s24
	s_and_saveexec_b32 s23, s7
	s_cbranch_execz .LBB4_3095
.LBB4_3094:                             ;   in Loop: Header=BB4_3075 Depth=2
	v_lshrrev_b16 v148, 2, v144
	s_delay_alu instid0(VALU_DEP_1) | instskip(NEXT) | instid1(VALU_DEP_1)
	v_and_b32_e32 v148, 31, v148
	v_cmp_eq_u32_e32 vcc_lo, 0, v148
	v_and_b32_e32 v145, 3, v144
	s_delay_alu instid0(VALU_DEP_1) | instskip(NEXT) | instid1(VALU_DEP_1)
	v_clz_i32_u32_e32 v146, v145
	v_min_u32_e32 v146, 32, v146
	s_delay_alu instid0(VALU_DEP_1) | instskip(SKIP_1) | instid1(VALU_DEP_1)
	v_subrev_nc_u32_e32 v147, 29, v146
	v_sub_nc_u32_e32 v146, 30, v146
	v_dual_cndmask_b32 v146, v148, v146 :: v_dual_lshlrev_b32 v147, v147, v144
	v_lshlrev_b32_e32 v144, 24, v144
	s_delay_alu instid0(VALU_DEP_2) | instskip(NEXT) | instid1(VALU_DEP_3)
	v_and_b32_e32 v147, 3, v147
	v_lshl_add_u32 v146, v146, 23, 0x37800000
	s_delay_alu instid0(VALU_DEP_2) | instskip(NEXT) | instid1(VALU_DEP_1)
	v_dual_cndmask_b32 v145, v145, v147 :: v_dual_and_b32 v144, 0x80000000, v144
	v_lshlrev_b32_e32 v145, 21, v145
	s_delay_alu instid0(VALU_DEP_1)
	v_or3_b32 v145, v144, v146, v145
.LBB4_3095:                             ;   in Loop: Header=BB4_3075 Depth=2
	s_or_b32 exec_lo, exec_lo, s23
	s_waitcnt vmcnt(14) lgkmcnt(14)
	v_and_b32_e32 v146, 0xff, v64
	s_mov_b32 s7, 0
	s_mov_b32 s24, exec_lo
                                        ; implicit-def: $sgpr23
	s_delay_alu instid0(VALU_DEP_1)
	v_cmpx_lt_i16_e64 0x7f, v146
	s_xor_b32 s24, exec_lo, s24
	s_cbranch_execnz .LBB4_3341
; %bb.3096:                             ;   in Loop: Header=BB4_3075 Depth=2
	s_or_saveexec_b32 s24, s24
	v_mov_b32_e32 v144, s23
	s_xor_b32 exec_lo, exec_lo, s24
	s_cbranch_execnz .LBB4_3344
.LBB4_3097:                             ;   in Loop: Header=BB4_3075 Depth=2
	s_or_b32 exec_lo, exec_lo, s24
	s_and_saveexec_b32 s23, s7
	s_cbranch_execz .LBB4_3099
.LBB4_3098:                             ;   in Loop: Header=BB4_3075 Depth=2
	v_and_b32_e32 v144, 3, v64
	v_lshrrev_b16 v148, 2, v64
	s_delay_alu instid0(VALU_DEP_2) | instskip(NEXT) | instid1(VALU_DEP_2)
	v_clz_i32_u32_e32 v146, v144
	v_and_b32_e32 v148, 31, v148
	s_delay_alu instid0(VALU_DEP_2) | instskip(NEXT) | instid1(VALU_DEP_2)
	v_min_u32_e32 v146, 32, v146
	v_cmp_eq_u32_e32 vcc_lo, 0, v148
	s_delay_alu instid0(VALU_DEP_2) | instskip(SKIP_1) | instid1(VALU_DEP_1)
	v_subrev_nc_u32_e32 v147, 29, v146
	v_sub_nc_u32_e32 v146, 30, v146
	v_dual_cndmask_b32 v146, v148, v146 :: v_dual_lshlrev_b32 v147, v147, v64
	v_lshlrev_b32_e32 v64, 24, v64
	s_delay_alu instid0(VALU_DEP_2) | instskip(NEXT) | instid1(VALU_DEP_3)
	v_and_b32_e32 v147, 3, v147
	v_lshl_add_u32 v146, v146, 23, 0x37800000
	s_delay_alu instid0(VALU_DEP_3) | instskip(NEXT) | instid1(VALU_DEP_3)
	v_and_b32_e32 v64, 0x80000000, v64
	v_cndmask_b32_e32 v144, v144, v147, vcc_lo
	s_delay_alu instid0(VALU_DEP_1) | instskip(NEXT) | instid1(VALU_DEP_1)
	v_lshlrev_b32_e32 v144, 21, v144
	v_or3_b32 v144, v64, v146, v144
.LBB4_3099:                             ;   in Loop: Header=BB4_3075 Depth=2
	s_or_b32 exec_lo, exec_lo, s23
	s_delay_alu instid0(VALU_DEP_1) | instskip(NEXT) | instid1(VALU_DEP_1)
	v_mul_f32_e32 v144, v145, v144
	v_and_b32_e32 v64, 0x7f800000, v144
	s_delay_alu instid0(VALU_DEP_1)
	v_cmp_ne_u32_e32 vcc_lo, 0x7f800000, v64
	v_mov_b32_e32 v64, 0x80
	s_and_saveexec_b32 s23, vcc_lo
	s_cbranch_execz .LBB4_3107
; %bb.3100:                             ;   in Loop: Header=BB4_3075 Depth=2
	v_mov_b32_e32 v64, 0
	s_mov_b32 s24, exec_lo
	v_cmpx_ne_u32_e32 0, v144
	s_cbranch_execz .LBB4_3106
; %bb.3101:                             ;   in Loop: Header=BB4_3075 Depth=2
	v_bfe_u32 v64, v144, 23, 8
	s_delay_alu instid0(VALU_DEP_1) | instskip(SKIP_1) | instid1(VALU_DEP_2)
	v_sub_nc_u32_e32 v146, 0x70, v64
	v_cmp_gt_u32_e32 vcc_lo, 0x71, v64
	v_dual_cndmask_b32 v146, 0, v146 :: v_dual_and_b32 v145, 0x7fffff, v144
	s_delay_alu instid0(VALU_DEP_1) | instskip(SKIP_2) | instid1(VALU_DEP_4)
	v_or_b32_e32 v147, 0x800000, v145
	v_cmp_eq_u32_e32 vcc_lo, 0, v64
	v_add_nc_u32_e32 v64, 0xffffff91, v64
	v_cndmask_b32_e64 v146, v146, 0x6f, vcc_lo
	s_delay_alu instid0(VALU_DEP_4) | instskip(NEXT) | instid1(VALU_DEP_3)
	v_cndmask_b32_e32 v145, v147, v145, vcc_lo
	v_cndmask_b32_e64 v64, v64, 0xffffff92, vcc_lo
	s_delay_alu instid0(VALU_DEP_3) | instskip(NEXT) | instid1(VALU_DEP_3)
	v_lshl_add_u32 v147, 0x200000, v146, -1
	v_lshrrev_b32_e32 v148, v146, v145
	v_lshlrev_b32_e64 v150, v146, 0x100000
	s_delay_alu instid0(VALU_DEP_4) | instskip(NEXT) | instid1(VALU_DEP_4)
	v_add_nc_u32_e32 v146, v146, v64
	v_and_b32_e32 v145, v147, v145
	s_delay_alu instid0(VALU_DEP_4) | instskip(NEXT) | instid1(VALU_DEP_2)
	v_bfe_u32 v149, v148, 21, 1
	v_cmp_eq_u32_e64 s7, v145, v150
	s_delay_alu instid0(VALU_DEP_2) | instskip(NEXT) | instid1(VALU_DEP_1)
	v_add_nc_u32_e32 v147, -1, v149
	v_cndmask_b32_e64 v145, 0, v147, s7
	v_lshrrev_b32_e32 v147, 23, v148
	s_mov_b32 s7, exec_lo
	s_delay_alu instid0(VALU_DEP_2) | instskip(NEXT) | instid1(VALU_DEP_2)
	v_add_nc_u32_e32 v145, v145, v148
	v_xor_b32_e32 v147, 1, v147
	s_delay_alu instid0(VALU_DEP_2) | instskip(NEXT) | instid1(VALU_DEP_1)
	v_and_b32_e32 v64, 0x1fffff, v145
	v_add_nc_u32_e32 v145, v64, v148
                                        ; implicit-def: $vgpr64
	s_delay_alu instid0(VALU_DEP_3)
	v_cmpx_ne_u32_e64 v146, v147
	s_xor_b32 s7, exec_lo, s7
; %bb.3102:                             ;   in Loop: Header=BB4_3075 Depth=2
	s_delay_alu instid0(VALU_DEP_2) | instskip(SKIP_2) | instid1(VALU_DEP_2)
	v_cmp_lt_u32_e32 vcc_lo, 0xffffff, v145
	v_sub_nc_u32_e32 v64, v146, v147
	v_cndmask_b32_e64 v146, 0, 1, vcc_lo
	v_add_co_ci_u32_e32 v64, vcc_lo, 0, v64, vcc_lo
	s_delay_alu instid0(VALU_DEP_2)
	v_lshrrev_b32_e32 v145, v146, v145
; %bb.3103:                             ;   in Loop: Header=BB4_3075 Depth=2
	s_and_not1_saveexec_b32 s7, s7
; %bb.3104:                             ;   in Loop: Header=BB4_3075 Depth=2
	s_delay_alu instid0(VALU_DEP_1)
	v_bfe_u32 v64, v145, 23, 1
; %bb.3105:                             ;   in Loop: Header=BB4_3075 Depth=2
	s_or_b32 exec_lo, exec_lo, s7
	v_lshrrev_b32_e32 v145, 21, v145
	s_delay_alu instid0(VALU_DEP_2) | instskip(SKIP_2) | instid1(VALU_DEP_2)
	v_cmp_gt_i32_e32 vcc_lo, 32, v64
	v_lshrrev_b32_e32 v144, 24, v144
	v_min_i32_e32 v146, 31, v64
	v_dual_cndmask_b32 v145, 3, v145 :: v_dual_and_b32 v144, 0x80, v144
	s_delay_alu instid0(VALU_DEP_2) | instskip(NEXT) | instid1(VALU_DEP_2)
	v_lshlrev_b32_e32 v146, 2, v146
	v_or_b32_e32 v64, v64, v145
	s_delay_alu instid0(VALU_DEP_1) | instskip(SKIP_1) | instid1(VALU_DEP_1)
	v_cmp_ne_u32_e32 vcc_lo, 0, v64
	v_and_b32_e32 v147, 3, v145
	v_or3_b32 v144, v146, v144, v147
	s_delay_alu instid0(VALU_DEP_1)
	v_cndmask_b32_e32 v64, 0, v144, vcc_lo
.LBB4_3106:                             ;   in Loop: Header=BB4_3075 Depth=2
	s_or_b32 exec_lo, exec_lo, s24
.LBB4_3107:                             ;   in Loop: Header=BB4_3075 Depth=2
	s_delay_alu instid0(SALU_CYCLE_1) | instskip(SKIP_3) | instid1(VALU_DEP_1)
	s_or_b32 exec_lo, exec_lo, s23
	v_and_b32_e32 v145, 0xff, v135
	s_mov_b32 s7, 0
	s_mov_b32 s24, exec_lo
                                        ; implicit-def: $sgpr23
	v_cmpx_lt_i16_e64 0x7f, v145
	s_xor_b32 s24, exec_lo, s24
	s_cbranch_execnz .LBB4_3345
; %bb.3108:                             ;   in Loop: Header=BB4_3075 Depth=2
	s_or_saveexec_b32 s24, s24
	v_mov_b32_e32 v144, s23
	s_xor_b32 exec_lo, exec_lo, s24
	s_cbranch_execnz .LBB4_3348
.LBB4_3109:                             ;   in Loop: Header=BB4_3075 Depth=2
	s_or_b32 exec_lo, exec_lo, s24
	s_and_saveexec_b32 s23, s7
	s_cbranch_execz .LBB4_3111
.LBB4_3110:                             ;   in Loop: Header=BB4_3075 Depth=2
	v_lshrrev_b16 v147, 2, v135
	s_delay_alu instid0(VALU_DEP_1) | instskip(NEXT) | instid1(VALU_DEP_1)
	v_and_b32_e32 v147, 31, v147
	v_cmp_eq_u32_e32 vcc_lo, 0, v147
	v_and_b32_e32 v144, 3, v135
	s_delay_alu instid0(VALU_DEP_1) | instskip(NEXT) | instid1(VALU_DEP_1)
	v_clz_i32_u32_e32 v145, v144
	v_min_u32_e32 v145, 32, v145
	s_delay_alu instid0(VALU_DEP_1) | instskip(SKIP_1) | instid1(VALU_DEP_1)
	v_subrev_nc_u32_e32 v146, 29, v145
	v_sub_nc_u32_e32 v145, 30, v145
	v_dual_cndmask_b32 v145, v147, v145 :: v_dual_lshlrev_b32 v146, v146, v135
	v_lshlrev_b32_e32 v135, 24, v135
	s_delay_alu instid0(VALU_DEP_2) | instskip(NEXT) | instid1(VALU_DEP_3)
	v_and_b32_e32 v146, 3, v146
	v_lshl_add_u32 v145, v145, 23, 0x37800000
	s_delay_alu instid0(VALU_DEP_2) | instskip(NEXT) | instid1(VALU_DEP_1)
	v_dual_cndmask_b32 v144, v144, v146 :: v_dual_and_b32 v135, 0x80000000, v135
	v_lshlrev_b32_e32 v144, 21, v144
	s_delay_alu instid0(VALU_DEP_1)
	v_or3_b32 v144, v135, v145, v144
.LBB4_3111:                             ;   in Loop: Header=BB4_3075 Depth=2
	s_or_b32 exec_lo, exec_lo, s23
	s_waitcnt vmcnt(13) lgkmcnt(13)
	v_and_b32_e32 v145, 0xff, v67
	s_mov_b32 s7, 0
	s_mov_b32 s24, exec_lo
                                        ; implicit-def: $sgpr23
	s_delay_alu instid0(VALU_DEP_1)
	v_cmpx_lt_i16_e64 0x7f, v145
	s_xor_b32 s24, exec_lo, s24
	s_cbranch_execnz .LBB4_3349
; %bb.3112:                             ;   in Loop: Header=BB4_3075 Depth=2
	s_or_saveexec_b32 s24, s24
	v_mov_b32_e32 v135, s23
	s_xor_b32 exec_lo, exec_lo, s24
	s_cbranch_execnz .LBB4_3352
.LBB4_3113:                             ;   in Loop: Header=BB4_3075 Depth=2
	s_or_b32 exec_lo, exec_lo, s24
	s_and_saveexec_b32 s23, s7
	s_cbranch_execz .LBB4_3115
.LBB4_3114:                             ;   in Loop: Header=BB4_3075 Depth=2
	v_and_b32_e32 v135, 3, v67
	v_lshrrev_b16 v147, 2, v67
	s_delay_alu instid0(VALU_DEP_2) | instskip(NEXT) | instid1(VALU_DEP_2)
	v_clz_i32_u32_e32 v145, v135
	v_and_b32_e32 v147, 31, v147
	s_delay_alu instid0(VALU_DEP_2) | instskip(NEXT) | instid1(VALU_DEP_2)
	v_min_u32_e32 v145, 32, v145
	v_cmp_eq_u32_e32 vcc_lo, 0, v147
	s_delay_alu instid0(VALU_DEP_2) | instskip(SKIP_1) | instid1(VALU_DEP_1)
	v_subrev_nc_u32_e32 v146, 29, v145
	v_sub_nc_u32_e32 v145, 30, v145
	v_dual_cndmask_b32 v145, v147, v145 :: v_dual_lshlrev_b32 v146, v146, v67
	v_lshlrev_b32_e32 v67, 24, v67
	s_delay_alu instid0(VALU_DEP_2) | instskip(NEXT) | instid1(VALU_DEP_3)
	v_and_b32_e32 v146, 3, v146
	v_lshl_add_u32 v145, v145, 23, 0x37800000
	s_delay_alu instid0(VALU_DEP_3) | instskip(NEXT) | instid1(VALU_DEP_3)
	v_and_b32_e32 v67, 0x80000000, v67
	v_cndmask_b32_e32 v135, v135, v146, vcc_lo
	s_delay_alu instid0(VALU_DEP_1) | instskip(NEXT) | instid1(VALU_DEP_1)
	v_lshlrev_b32_e32 v135, 21, v135
	v_or3_b32 v135, v67, v145, v135
.LBB4_3115:                             ;   in Loop: Header=BB4_3075 Depth=2
	s_or_b32 exec_lo, exec_lo, s23
	s_delay_alu instid0(VALU_DEP_1) | instskip(NEXT) | instid1(VALU_DEP_1)
	v_mul_f32_e32 v135, v144, v135
	v_and_b32_e32 v67, 0x7f800000, v135
	s_delay_alu instid0(VALU_DEP_1)
	v_cmp_ne_u32_e32 vcc_lo, 0x7f800000, v67
	v_mov_b32_e32 v67, 0x80
	s_and_saveexec_b32 s23, vcc_lo
	s_cbranch_execz .LBB4_3123
; %bb.3116:                             ;   in Loop: Header=BB4_3075 Depth=2
	v_mov_b32_e32 v67, 0
	s_mov_b32 s24, exec_lo
	v_cmpx_ne_u32_e32 0, v135
	s_cbranch_execz .LBB4_3122
; %bb.3117:                             ;   in Loop: Header=BB4_3075 Depth=2
	v_bfe_u32 v67, v135, 23, 8
	s_delay_alu instid0(VALU_DEP_1) | instskip(SKIP_1) | instid1(VALU_DEP_2)
	v_sub_nc_u32_e32 v145, 0x70, v67
	v_cmp_gt_u32_e32 vcc_lo, 0x71, v67
	v_dual_cndmask_b32 v145, 0, v145 :: v_dual_and_b32 v144, 0x7fffff, v135
	s_delay_alu instid0(VALU_DEP_1) | instskip(SKIP_2) | instid1(VALU_DEP_4)
	v_or_b32_e32 v146, 0x800000, v144
	v_cmp_eq_u32_e32 vcc_lo, 0, v67
	v_add_nc_u32_e32 v67, 0xffffff91, v67
	v_cndmask_b32_e64 v145, v145, 0x6f, vcc_lo
	s_delay_alu instid0(VALU_DEP_4) | instskip(NEXT) | instid1(VALU_DEP_3)
	v_cndmask_b32_e32 v144, v146, v144, vcc_lo
	v_cndmask_b32_e64 v67, v67, 0xffffff92, vcc_lo
	s_delay_alu instid0(VALU_DEP_3) | instskip(NEXT) | instid1(VALU_DEP_3)
	v_lshl_add_u32 v146, 0x200000, v145, -1
	v_lshrrev_b32_e32 v147, v145, v144
	v_lshlrev_b32_e64 v149, v145, 0x100000
	s_delay_alu instid0(VALU_DEP_4) | instskip(NEXT) | instid1(VALU_DEP_4)
	v_add_nc_u32_e32 v145, v145, v67
	v_and_b32_e32 v144, v146, v144
	s_delay_alu instid0(VALU_DEP_4) | instskip(NEXT) | instid1(VALU_DEP_2)
	v_bfe_u32 v148, v147, 21, 1
	v_cmp_eq_u32_e64 s7, v144, v149
	s_delay_alu instid0(VALU_DEP_2) | instskip(NEXT) | instid1(VALU_DEP_1)
	v_add_nc_u32_e32 v146, -1, v148
	v_cndmask_b32_e64 v144, 0, v146, s7
	v_lshrrev_b32_e32 v146, 23, v147
	s_mov_b32 s7, exec_lo
	s_delay_alu instid0(VALU_DEP_2) | instskip(NEXT) | instid1(VALU_DEP_2)
	v_add_nc_u32_e32 v144, v144, v147
	v_xor_b32_e32 v146, 1, v146
	s_delay_alu instid0(VALU_DEP_2) | instskip(NEXT) | instid1(VALU_DEP_1)
	v_and_b32_e32 v67, 0x1fffff, v144
	v_add_nc_u32_e32 v144, v67, v147
                                        ; implicit-def: $vgpr67
	s_delay_alu instid0(VALU_DEP_3)
	v_cmpx_ne_u32_e64 v145, v146
	s_xor_b32 s7, exec_lo, s7
; %bb.3118:                             ;   in Loop: Header=BB4_3075 Depth=2
	s_delay_alu instid0(VALU_DEP_2) | instskip(SKIP_2) | instid1(VALU_DEP_2)
	v_cmp_lt_u32_e32 vcc_lo, 0xffffff, v144
	v_sub_nc_u32_e32 v67, v145, v146
	v_cndmask_b32_e64 v145, 0, 1, vcc_lo
	v_add_co_ci_u32_e32 v67, vcc_lo, 0, v67, vcc_lo
	s_delay_alu instid0(VALU_DEP_2)
	v_lshrrev_b32_e32 v144, v145, v144
; %bb.3119:                             ;   in Loop: Header=BB4_3075 Depth=2
	s_and_not1_saveexec_b32 s7, s7
; %bb.3120:                             ;   in Loop: Header=BB4_3075 Depth=2
	s_delay_alu instid0(VALU_DEP_1)
	v_bfe_u32 v67, v144, 23, 1
; %bb.3121:                             ;   in Loop: Header=BB4_3075 Depth=2
	s_or_b32 exec_lo, exec_lo, s7
	v_lshrrev_b32_e32 v144, 21, v144
	s_delay_alu instid0(VALU_DEP_2) | instskip(SKIP_2) | instid1(VALU_DEP_2)
	v_cmp_gt_i32_e32 vcc_lo, 32, v67
	v_lshrrev_b32_e32 v135, 24, v135
	v_min_i32_e32 v145, 31, v67
	v_dual_cndmask_b32 v144, 3, v144 :: v_dual_and_b32 v135, 0x80, v135
	s_delay_alu instid0(VALU_DEP_2) | instskip(NEXT) | instid1(VALU_DEP_2)
	v_lshlrev_b32_e32 v145, 2, v145
	v_or_b32_e32 v67, v67, v144
	s_delay_alu instid0(VALU_DEP_1) | instskip(SKIP_1) | instid1(VALU_DEP_1)
	v_cmp_ne_u32_e32 vcc_lo, 0, v67
	v_and_b32_e32 v146, 3, v144
	v_or3_b32 v135, v145, v135, v146
	s_delay_alu instid0(VALU_DEP_1)
	v_cndmask_b32_e32 v67, 0, v135, vcc_lo
.LBB4_3122:                             ;   in Loop: Header=BB4_3075 Depth=2
	s_or_b32 exec_lo, exec_lo, s24
.LBB4_3123:                             ;   in Loop: Header=BB4_3075 Depth=2
	s_delay_alu instid0(SALU_CYCLE_1) | instskip(SKIP_3) | instid1(VALU_DEP_1)
	s_or_b32 exec_lo, exec_lo, s23
	v_and_b32_e32 v144, 0xff, v134
	s_mov_b32 s7, 0
	s_mov_b32 s24, exec_lo
                                        ; implicit-def: $sgpr23
	v_cmpx_lt_i16_e64 0x7f, v144
	s_xor_b32 s24, exec_lo, s24
	s_cbranch_execnz .LBB4_3353
; %bb.3124:                             ;   in Loop: Header=BB4_3075 Depth=2
	s_or_saveexec_b32 s24, s24
	v_mov_b32_e32 v135, s23
	s_xor_b32 exec_lo, exec_lo, s24
	s_cbranch_execnz .LBB4_3356
.LBB4_3125:                             ;   in Loop: Header=BB4_3075 Depth=2
	s_or_b32 exec_lo, exec_lo, s24
	s_and_saveexec_b32 s23, s7
	s_cbranch_execz .LBB4_3127
.LBB4_3126:                             ;   in Loop: Header=BB4_3075 Depth=2
	v_lshrrev_b16 v146, 2, v134
	s_delay_alu instid0(VALU_DEP_1) | instskip(NEXT) | instid1(VALU_DEP_1)
	v_and_b32_e32 v146, 31, v146
	v_cmp_eq_u32_e32 vcc_lo, 0, v146
	v_and_b32_e32 v135, 3, v134
	s_delay_alu instid0(VALU_DEP_1) | instskip(NEXT) | instid1(VALU_DEP_1)
	v_clz_i32_u32_e32 v144, v135
	v_min_u32_e32 v144, 32, v144
	s_delay_alu instid0(VALU_DEP_1) | instskip(SKIP_1) | instid1(VALU_DEP_1)
	v_subrev_nc_u32_e32 v145, 29, v144
	v_sub_nc_u32_e32 v144, 30, v144
	v_dual_cndmask_b32 v144, v146, v144 :: v_dual_lshlrev_b32 v145, v145, v134
	v_lshlrev_b32_e32 v134, 24, v134
	s_delay_alu instid0(VALU_DEP_2) | instskip(NEXT) | instid1(VALU_DEP_3)
	v_and_b32_e32 v145, 3, v145
	v_lshl_add_u32 v144, v144, 23, 0x37800000
	s_delay_alu instid0(VALU_DEP_2) | instskip(NEXT) | instid1(VALU_DEP_1)
	v_dual_cndmask_b32 v135, v135, v145 :: v_dual_and_b32 v134, 0x80000000, v134
	v_lshlrev_b32_e32 v135, 21, v135
	s_delay_alu instid0(VALU_DEP_1)
	v_or3_b32 v135, v134, v144, v135
.LBB4_3127:                             ;   in Loop: Header=BB4_3075 Depth=2
	s_or_b32 exec_lo, exec_lo, s23
	s_waitcnt vmcnt(12) lgkmcnt(12)
	v_and_b32_e32 v144, 0xff, v101
	s_mov_b32 s7, 0
	s_mov_b32 s24, exec_lo
                                        ; implicit-def: $sgpr23
	s_delay_alu instid0(VALU_DEP_1)
	v_cmpx_lt_i16_e64 0x7f, v144
	s_xor_b32 s24, exec_lo, s24
	s_cbranch_execnz .LBB4_3357
; %bb.3128:                             ;   in Loop: Header=BB4_3075 Depth=2
	s_or_saveexec_b32 s24, s24
	v_mov_b32_e32 v134, s23
	s_xor_b32 exec_lo, exec_lo, s24
	s_cbranch_execnz .LBB4_3360
.LBB4_3129:                             ;   in Loop: Header=BB4_3075 Depth=2
	s_or_b32 exec_lo, exec_lo, s24
	s_and_saveexec_b32 s23, s7
	s_cbranch_execz .LBB4_3131
.LBB4_3130:                             ;   in Loop: Header=BB4_3075 Depth=2
	v_and_b32_e32 v134, 3, v101
	v_lshrrev_b16 v146, 2, v101
	s_delay_alu instid0(VALU_DEP_2) | instskip(NEXT) | instid1(VALU_DEP_2)
	v_clz_i32_u32_e32 v144, v134
	v_and_b32_e32 v146, 31, v146
	s_delay_alu instid0(VALU_DEP_2) | instskip(NEXT) | instid1(VALU_DEP_2)
	v_min_u32_e32 v144, 32, v144
	v_cmp_eq_u32_e32 vcc_lo, 0, v146
	s_delay_alu instid0(VALU_DEP_2) | instskip(SKIP_1) | instid1(VALU_DEP_1)
	v_subrev_nc_u32_e32 v145, 29, v144
	v_sub_nc_u32_e32 v144, 30, v144
	v_dual_cndmask_b32 v144, v146, v144 :: v_dual_lshlrev_b32 v145, v145, v101
	v_lshlrev_b32_e32 v101, 24, v101
	s_delay_alu instid0(VALU_DEP_2) | instskip(NEXT) | instid1(VALU_DEP_3)
	v_and_b32_e32 v145, 3, v145
	v_lshl_add_u32 v144, v144, 23, 0x37800000
	s_delay_alu instid0(VALU_DEP_3) | instskip(NEXT) | instid1(VALU_DEP_3)
	v_and_b32_e32 v101, 0x80000000, v101
	v_cndmask_b32_e32 v134, v134, v145, vcc_lo
	s_delay_alu instid0(VALU_DEP_1) | instskip(NEXT) | instid1(VALU_DEP_1)
	v_lshlrev_b32_e32 v134, 21, v134
	v_or3_b32 v134, v101, v144, v134
.LBB4_3131:                             ;   in Loop: Header=BB4_3075 Depth=2
	s_or_b32 exec_lo, exec_lo, s23
	s_delay_alu instid0(VALU_DEP_1) | instskip(NEXT) | instid1(VALU_DEP_1)
	v_mul_f32_e32 v134, v135, v134
	v_and_b32_e32 v101, 0x7f800000, v134
	s_delay_alu instid0(VALU_DEP_1)
	v_cmp_ne_u32_e32 vcc_lo, 0x7f800000, v101
	v_mov_b32_e32 v101, 0x80
	s_and_saveexec_b32 s23, vcc_lo
	s_cbranch_execz .LBB4_3139
; %bb.3132:                             ;   in Loop: Header=BB4_3075 Depth=2
	v_mov_b32_e32 v101, 0
	s_mov_b32 s24, exec_lo
	v_cmpx_ne_u32_e32 0, v134
	s_cbranch_execz .LBB4_3138
; %bb.3133:                             ;   in Loop: Header=BB4_3075 Depth=2
	v_bfe_u32 v101, v134, 23, 8
	s_delay_alu instid0(VALU_DEP_1) | instskip(SKIP_1) | instid1(VALU_DEP_2)
	v_sub_nc_u32_e32 v144, 0x70, v101
	v_cmp_gt_u32_e32 vcc_lo, 0x71, v101
	v_dual_cndmask_b32 v144, 0, v144 :: v_dual_and_b32 v135, 0x7fffff, v134
	s_delay_alu instid0(VALU_DEP_1) | instskip(SKIP_2) | instid1(VALU_DEP_4)
	v_or_b32_e32 v145, 0x800000, v135
	v_cmp_eq_u32_e32 vcc_lo, 0, v101
	v_add_nc_u32_e32 v101, 0xffffff91, v101
	v_cndmask_b32_e64 v144, v144, 0x6f, vcc_lo
	s_delay_alu instid0(VALU_DEP_2) | instskip(SKIP_1) | instid1(VALU_DEP_3)
	v_cndmask_b32_e64 v101, v101, 0xffffff92, vcc_lo
	v_cndmask_b32_e32 v135, v145, v135, vcc_lo
	v_lshl_add_u32 v145, 0x200000, v144, -1
	v_lshlrev_b32_e64 v148, v144, 0x100000
	s_delay_alu instid0(VALU_DEP_3) | instskip(SKIP_1) | instid1(VALU_DEP_4)
	v_lshrrev_b32_e32 v146, v144, v135
	v_add_nc_u32_e32 v144, v144, v101
	v_and_b32_e32 v135, v145, v135
	s_delay_alu instid0(VALU_DEP_3) | instskip(NEXT) | instid1(VALU_DEP_2)
	v_bfe_u32 v147, v146, 21, 1
	v_cmp_eq_u32_e64 s7, v135, v148
	s_delay_alu instid0(VALU_DEP_2) | instskip(NEXT) | instid1(VALU_DEP_1)
	v_add_nc_u32_e32 v145, -1, v147
	v_cndmask_b32_e64 v135, 0, v145, s7
	v_lshrrev_b32_e32 v145, 23, v146
	s_mov_b32 s7, exec_lo
	s_delay_alu instid0(VALU_DEP_2) | instskip(NEXT) | instid1(VALU_DEP_2)
	v_add_nc_u32_e32 v135, v135, v146
	v_xor_b32_e32 v145, 1, v145
	s_delay_alu instid0(VALU_DEP_2) | instskip(NEXT) | instid1(VALU_DEP_1)
	v_and_b32_e32 v101, 0x1fffff, v135
	v_add_nc_u32_e32 v135, v101, v146
                                        ; implicit-def: $vgpr101
	s_delay_alu instid0(VALU_DEP_3)
	v_cmpx_ne_u32_e64 v144, v145
	s_xor_b32 s7, exec_lo, s7
; %bb.3134:                             ;   in Loop: Header=BB4_3075 Depth=2
	s_delay_alu instid0(VALU_DEP_2) | instskip(SKIP_2) | instid1(VALU_DEP_2)
	v_cmp_lt_u32_e32 vcc_lo, 0xffffff, v135
	v_sub_nc_u32_e32 v101, v144, v145
	v_cndmask_b32_e64 v144, 0, 1, vcc_lo
	v_add_co_ci_u32_e32 v101, vcc_lo, 0, v101, vcc_lo
	s_delay_alu instid0(VALU_DEP_2)
	v_lshrrev_b32_e32 v135, v144, v135
; %bb.3135:                             ;   in Loop: Header=BB4_3075 Depth=2
	s_and_not1_saveexec_b32 s7, s7
; %bb.3136:                             ;   in Loop: Header=BB4_3075 Depth=2
	s_delay_alu instid0(VALU_DEP_1)
	v_bfe_u32 v101, v135, 23, 1
; %bb.3137:                             ;   in Loop: Header=BB4_3075 Depth=2
	s_or_b32 exec_lo, exec_lo, s7
	v_lshrrev_b32_e32 v135, 21, v135
	s_delay_alu instid0(VALU_DEP_2) | instskip(SKIP_2) | instid1(VALU_DEP_2)
	v_cmp_gt_i32_e32 vcc_lo, 32, v101
	v_lshrrev_b32_e32 v134, 24, v134
	v_min_i32_e32 v144, 31, v101
	v_dual_cndmask_b32 v135, 3, v135 :: v_dual_and_b32 v134, 0x80, v134
	s_delay_alu instid0(VALU_DEP_1) | instskip(SKIP_1) | instid1(VALU_DEP_2)
	v_or_b32_e32 v101, v101, v135
	v_and_b32_e32 v145, 3, v135
	v_cmp_ne_u32_e32 vcc_lo, 0, v101
	v_lshlrev_b32_e32 v144, 2, v144
	s_delay_alu instid0(VALU_DEP_1) | instskip(NEXT) | instid1(VALU_DEP_1)
	v_or3_b32 v134, v144, v134, v145
	v_cndmask_b32_e32 v101, 0, v134, vcc_lo
.LBB4_3138:                             ;   in Loop: Header=BB4_3075 Depth=2
	s_or_b32 exec_lo, exec_lo, s24
.LBB4_3139:                             ;   in Loop: Header=BB4_3075 Depth=2
	s_delay_alu instid0(SALU_CYCLE_1) | instskip(SKIP_3) | instid1(VALU_DEP_1)
	s_or_b32 exec_lo, exec_lo, s23
	v_and_b32_e32 v135, 0xff, v133
	s_mov_b32 s7, 0
	s_mov_b32 s24, exec_lo
                                        ; implicit-def: $sgpr23
	v_cmpx_lt_i16_e64 0x7f, v135
	s_xor_b32 s24, exec_lo, s24
	s_cbranch_execnz .LBB4_3361
; %bb.3140:                             ;   in Loop: Header=BB4_3075 Depth=2
	s_or_saveexec_b32 s24, s24
	v_mov_b32_e32 v134, s23
	s_xor_b32 exec_lo, exec_lo, s24
	s_cbranch_execnz .LBB4_3364
.LBB4_3141:                             ;   in Loop: Header=BB4_3075 Depth=2
	s_or_b32 exec_lo, exec_lo, s24
	s_and_saveexec_b32 s23, s7
	s_cbranch_execz .LBB4_3143
.LBB4_3142:                             ;   in Loop: Header=BB4_3075 Depth=2
	v_lshrrev_b16 v145, 2, v133
	s_delay_alu instid0(VALU_DEP_1) | instskip(NEXT) | instid1(VALU_DEP_1)
	v_and_b32_e32 v145, 31, v145
	v_cmp_eq_u32_e32 vcc_lo, 0, v145
	v_and_b32_e32 v134, 3, v133
	s_delay_alu instid0(VALU_DEP_1) | instskip(NEXT) | instid1(VALU_DEP_1)
	v_clz_i32_u32_e32 v135, v134
	v_min_u32_e32 v135, 32, v135
	s_delay_alu instid0(VALU_DEP_1) | instskip(SKIP_1) | instid1(VALU_DEP_1)
	v_subrev_nc_u32_e32 v144, 29, v135
	v_sub_nc_u32_e32 v135, 30, v135
	v_dual_cndmask_b32 v135, v145, v135 :: v_dual_lshlrev_b32 v144, v144, v133
	v_lshlrev_b32_e32 v133, 24, v133
	s_delay_alu instid0(VALU_DEP_2) | instskip(NEXT) | instid1(VALU_DEP_3)
	v_and_b32_e32 v144, 3, v144
	v_lshl_add_u32 v135, v135, 23, 0x37800000
	s_delay_alu instid0(VALU_DEP_2) | instskip(NEXT) | instid1(VALU_DEP_1)
	v_dual_cndmask_b32 v134, v134, v144 :: v_dual_and_b32 v133, 0x80000000, v133
	v_lshlrev_b32_e32 v134, 21, v134
	s_delay_alu instid0(VALU_DEP_1)
	v_or3_b32 v134, v133, v135, v134
.LBB4_3143:                             ;   in Loop: Header=BB4_3075 Depth=2
	s_or_b32 exec_lo, exec_lo, s23
	s_waitcnt vmcnt(11) lgkmcnt(11)
	v_and_b32_e32 v135, 0xff, v112
	s_mov_b32 s7, 0
	s_mov_b32 s24, exec_lo
                                        ; implicit-def: $sgpr23
	s_delay_alu instid0(VALU_DEP_1)
	v_cmpx_lt_i16_e64 0x7f, v135
	s_xor_b32 s24, exec_lo, s24
	s_cbranch_execnz .LBB4_3365
; %bb.3144:                             ;   in Loop: Header=BB4_3075 Depth=2
	s_or_saveexec_b32 s24, s24
	v_mov_b32_e32 v133, s23
	s_xor_b32 exec_lo, exec_lo, s24
	s_cbranch_execnz .LBB4_3368
.LBB4_3145:                             ;   in Loop: Header=BB4_3075 Depth=2
	s_or_b32 exec_lo, exec_lo, s24
	s_and_saveexec_b32 s23, s7
	s_cbranch_execz .LBB4_3147
.LBB4_3146:                             ;   in Loop: Header=BB4_3075 Depth=2
	v_and_b32_e32 v133, 3, v112
	v_lshrrev_b16 v145, 2, v112
	s_delay_alu instid0(VALU_DEP_2) | instskip(NEXT) | instid1(VALU_DEP_2)
	v_clz_i32_u32_e32 v135, v133
	v_and_b32_e32 v145, 31, v145
	s_delay_alu instid0(VALU_DEP_2) | instskip(NEXT) | instid1(VALU_DEP_2)
	v_min_u32_e32 v135, 32, v135
	v_cmp_eq_u32_e32 vcc_lo, 0, v145
	s_delay_alu instid0(VALU_DEP_2) | instskip(SKIP_1) | instid1(VALU_DEP_1)
	v_subrev_nc_u32_e32 v144, 29, v135
	v_sub_nc_u32_e32 v135, 30, v135
	v_dual_cndmask_b32 v135, v145, v135 :: v_dual_lshlrev_b32 v144, v144, v112
	v_lshlrev_b32_e32 v112, 24, v112
	s_delay_alu instid0(VALU_DEP_2) | instskip(NEXT) | instid1(VALU_DEP_3)
	v_and_b32_e32 v144, 3, v144
	v_lshl_add_u32 v135, v135, 23, 0x37800000
	s_delay_alu instid0(VALU_DEP_3) | instskip(NEXT) | instid1(VALU_DEP_3)
	v_and_b32_e32 v112, 0x80000000, v112
	v_cndmask_b32_e32 v133, v133, v144, vcc_lo
	s_delay_alu instid0(VALU_DEP_1) | instskip(NEXT) | instid1(VALU_DEP_1)
	v_lshlrev_b32_e32 v133, 21, v133
	v_or3_b32 v133, v112, v135, v133
.LBB4_3147:                             ;   in Loop: Header=BB4_3075 Depth=2
	s_or_b32 exec_lo, exec_lo, s23
	s_delay_alu instid0(VALU_DEP_1) | instskip(NEXT) | instid1(VALU_DEP_1)
	v_mul_f32_e32 v133, v134, v133
	v_and_b32_e32 v112, 0x7f800000, v133
	s_delay_alu instid0(VALU_DEP_1)
	v_cmp_ne_u32_e32 vcc_lo, 0x7f800000, v112
	v_mov_b32_e32 v112, 0x80
	s_and_saveexec_b32 s23, vcc_lo
	s_cbranch_execz .LBB4_3155
; %bb.3148:                             ;   in Loop: Header=BB4_3075 Depth=2
	v_mov_b32_e32 v112, 0
	s_mov_b32 s24, exec_lo
	v_cmpx_ne_u32_e32 0, v133
	s_cbranch_execz .LBB4_3154
; %bb.3149:                             ;   in Loop: Header=BB4_3075 Depth=2
	v_bfe_u32 v112, v133, 23, 8
	s_delay_alu instid0(VALU_DEP_1) | instskip(SKIP_1) | instid1(VALU_DEP_2)
	v_sub_nc_u32_e32 v135, 0x70, v112
	v_cmp_gt_u32_e32 vcc_lo, 0x71, v112
	v_dual_cndmask_b32 v135, 0, v135 :: v_dual_and_b32 v134, 0x7fffff, v133
	s_delay_alu instid0(VALU_DEP_1) | instskip(SKIP_2) | instid1(VALU_DEP_4)
	v_or_b32_e32 v144, 0x800000, v134
	v_cmp_eq_u32_e32 vcc_lo, 0, v112
	v_add_nc_u32_e32 v112, 0xffffff91, v112
	v_cndmask_b32_e64 v135, v135, 0x6f, vcc_lo
	s_delay_alu instid0(VALU_DEP_2) | instskip(SKIP_1) | instid1(VALU_DEP_3)
	v_cndmask_b32_e64 v112, v112, 0xffffff92, vcc_lo
	v_cndmask_b32_e32 v134, v144, v134, vcc_lo
	v_lshl_add_u32 v144, 0x200000, v135, -1
	v_lshlrev_b32_e64 v147, v135, 0x100000
	s_delay_alu instid0(VALU_DEP_3) | instskip(SKIP_1) | instid1(VALU_DEP_4)
	v_lshrrev_b32_e32 v145, v135, v134
	v_add_nc_u32_e32 v135, v135, v112
	v_and_b32_e32 v134, v144, v134
	s_delay_alu instid0(VALU_DEP_3) | instskip(NEXT) | instid1(VALU_DEP_2)
	v_bfe_u32 v146, v145, 21, 1
	v_cmp_eq_u32_e64 s7, v134, v147
	s_delay_alu instid0(VALU_DEP_2) | instskip(NEXT) | instid1(VALU_DEP_1)
	v_add_nc_u32_e32 v144, -1, v146
	v_cndmask_b32_e64 v134, 0, v144, s7
	v_lshrrev_b32_e32 v144, 23, v145
	s_mov_b32 s7, exec_lo
	s_delay_alu instid0(VALU_DEP_2) | instskip(NEXT) | instid1(VALU_DEP_2)
	v_add_nc_u32_e32 v134, v134, v145
	v_xor_b32_e32 v144, 1, v144
	s_delay_alu instid0(VALU_DEP_2) | instskip(NEXT) | instid1(VALU_DEP_1)
	v_and_b32_e32 v112, 0x1fffff, v134
	v_add_nc_u32_e32 v134, v112, v145
                                        ; implicit-def: $vgpr112
	s_delay_alu instid0(VALU_DEP_3)
	v_cmpx_ne_u32_e64 v135, v144
	s_xor_b32 s7, exec_lo, s7
; %bb.3150:                             ;   in Loop: Header=BB4_3075 Depth=2
	s_delay_alu instid0(VALU_DEP_2) | instskip(SKIP_2) | instid1(VALU_DEP_2)
	v_cmp_lt_u32_e32 vcc_lo, 0xffffff, v134
	v_sub_nc_u32_e32 v112, v135, v144
	v_cndmask_b32_e64 v135, 0, 1, vcc_lo
	v_add_co_ci_u32_e32 v112, vcc_lo, 0, v112, vcc_lo
	s_delay_alu instid0(VALU_DEP_2)
	v_lshrrev_b32_e32 v134, v135, v134
; %bb.3151:                             ;   in Loop: Header=BB4_3075 Depth=2
	s_and_not1_saveexec_b32 s7, s7
; %bb.3152:                             ;   in Loop: Header=BB4_3075 Depth=2
	s_delay_alu instid0(VALU_DEP_1)
	v_bfe_u32 v112, v134, 23, 1
; %bb.3153:                             ;   in Loop: Header=BB4_3075 Depth=2
	s_or_b32 exec_lo, exec_lo, s7
	v_lshrrev_b32_e32 v134, 21, v134
	s_delay_alu instid0(VALU_DEP_2) | instskip(SKIP_2) | instid1(VALU_DEP_2)
	v_cmp_gt_i32_e32 vcc_lo, 32, v112
	v_lshrrev_b32_e32 v133, 24, v133
	v_min_i32_e32 v135, 31, v112
	v_dual_cndmask_b32 v134, 3, v134 :: v_dual_and_b32 v133, 0x80, v133
	s_delay_alu instid0(VALU_DEP_1) | instskip(SKIP_1) | instid1(VALU_DEP_2)
	v_or_b32_e32 v112, v112, v134
	v_and_b32_e32 v144, 3, v134
	v_cmp_ne_u32_e32 vcc_lo, 0, v112
	v_lshlrev_b32_e32 v135, 2, v135
	s_delay_alu instid0(VALU_DEP_1) | instskip(NEXT) | instid1(VALU_DEP_1)
	v_or3_b32 v133, v135, v133, v144
	v_cndmask_b32_e32 v112, 0, v133, vcc_lo
.LBB4_3154:                             ;   in Loop: Header=BB4_3075 Depth=2
	s_or_b32 exec_lo, exec_lo, s24
.LBB4_3155:                             ;   in Loop: Header=BB4_3075 Depth=2
	s_delay_alu instid0(SALU_CYCLE_1) | instskip(SKIP_3) | instid1(VALU_DEP_1)
	s_or_b32 exec_lo, exec_lo, s23
	v_and_b32_e32 v134, 0xff, v132
	s_mov_b32 s7, 0
	s_mov_b32 s24, exec_lo
                                        ; implicit-def: $sgpr23
	v_cmpx_lt_i16_e64 0x7f, v134
	s_xor_b32 s24, exec_lo, s24
	s_cbranch_execnz .LBB4_3369
; %bb.3156:                             ;   in Loop: Header=BB4_3075 Depth=2
	s_or_saveexec_b32 s24, s24
	v_mov_b32_e32 v133, s23
	s_xor_b32 exec_lo, exec_lo, s24
	s_cbranch_execnz .LBB4_3372
.LBB4_3157:                             ;   in Loop: Header=BB4_3075 Depth=2
	s_or_b32 exec_lo, exec_lo, s24
	s_and_saveexec_b32 s23, s7
	s_cbranch_execz .LBB4_3159
.LBB4_3158:                             ;   in Loop: Header=BB4_3075 Depth=2
	v_lshrrev_b16 v144, 2, v132
	s_delay_alu instid0(VALU_DEP_1) | instskip(NEXT) | instid1(VALU_DEP_1)
	v_and_b32_e32 v144, 31, v144
	v_cmp_eq_u32_e32 vcc_lo, 0, v144
	v_and_b32_e32 v133, 3, v132
	s_delay_alu instid0(VALU_DEP_1) | instskip(NEXT) | instid1(VALU_DEP_1)
	v_clz_i32_u32_e32 v134, v133
	v_min_u32_e32 v134, 32, v134
	s_delay_alu instid0(VALU_DEP_1) | instskip(SKIP_1) | instid1(VALU_DEP_1)
	v_subrev_nc_u32_e32 v135, 29, v134
	v_sub_nc_u32_e32 v134, 30, v134
	v_dual_cndmask_b32 v134, v144, v134 :: v_dual_lshlrev_b32 v135, v135, v132
	v_lshlrev_b32_e32 v132, 24, v132
	s_delay_alu instid0(VALU_DEP_2) | instskip(NEXT) | instid1(VALU_DEP_3)
	v_and_b32_e32 v135, 3, v135
	v_lshl_add_u32 v134, v134, 23, 0x37800000
	s_delay_alu instid0(VALU_DEP_2) | instskip(NEXT) | instid1(VALU_DEP_1)
	v_dual_cndmask_b32 v133, v133, v135 :: v_dual_and_b32 v132, 0x80000000, v132
	v_lshlrev_b32_e32 v133, 21, v133
	s_delay_alu instid0(VALU_DEP_1)
	v_or3_b32 v133, v132, v134, v133
.LBB4_3159:                             ;   in Loop: Header=BB4_3075 Depth=2
	s_or_b32 exec_lo, exec_lo, s23
	s_waitcnt vmcnt(10) lgkmcnt(10)
	v_and_b32_e32 v134, 0xff, v115
	s_mov_b32 s7, 0
	s_mov_b32 s24, exec_lo
                                        ; implicit-def: $sgpr23
	s_delay_alu instid0(VALU_DEP_1)
	v_cmpx_lt_i16_e64 0x7f, v134
	s_xor_b32 s24, exec_lo, s24
	s_cbranch_execnz .LBB4_3373
; %bb.3160:                             ;   in Loop: Header=BB4_3075 Depth=2
	s_or_saveexec_b32 s24, s24
	v_mov_b32_e32 v132, s23
	s_xor_b32 exec_lo, exec_lo, s24
	s_cbranch_execnz .LBB4_3376
.LBB4_3161:                             ;   in Loop: Header=BB4_3075 Depth=2
	s_or_b32 exec_lo, exec_lo, s24
	s_and_saveexec_b32 s23, s7
	s_cbranch_execz .LBB4_3163
.LBB4_3162:                             ;   in Loop: Header=BB4_3075 Depth=2
	v_and_b32_e32 v132, 3, v115
	v_lshrrev_b16 v144, 2, v115
	s_delay_alu instid0(VALU_DEP_2) | instskip(NEXT) | instid1(VALU_DEP_2)
	v_clz_i32_u32_e32 v134, v132
	v_and_b32_e32 v144, 31, v144
	s_delay_alu instid0(VALU_DEP_2) | instskip(NEXT) | instid1(VALU_DEP_2)
	v_min_u32_e32 v134, 32, v134
	v_cmp_eq_u32_e32 vcc_lo, 0, v144
	s_delay_alu instid0(VALU_DEP_2) | instskip(SKIP_1) | instid1(VALU_DEP_1)
	v_subrev_nc_u32_e32 v135, 29, v134
	v_sub_nc_u32_e32 v134, 30, v134
	v_dual_cndmask_b32 v134, v144, v134 :: v_dual_lshlrev_b32 v135, v135, v115
	v_lshlrev_b32_e32 v115, 24, v115
	s_delay_alu instid0(VALU_DEP_2) | instskip(NEXT) | instid1(VALU_DEP_3)
	v_and_b32_e32 v135, 3, v135
	v_lshl_add_u32 v134, v134, 23, 0x37800000
	s_delay_alu instid0(VALU_DEP_3) | instskip(NEXT) | instid1(VALU_DEP_3)
	v_and_b32_e32 v115, 0x80000000, v115
	v_cndmask_b32_e32 v132, v132, v135, vcc_lo
	s_delay_alu instid0(VALU_DEP_1) | instskip(NEXT) | instid1(VALU_DEP_1)
	v_lshlrev_b32_e32 v132, 21, v132
	v_or3_b32 v132, v115, v134, v132
.LBB4_3163:                             ;   in Loop: Header=BB4_3075 Depth=2
	s_or_b32 exec_lo, exec_lo, s23
	s_delay_alu instid0(VALU_DEP_1) | instskip(NEXT) | instid1(VALU_DEP_1)
	v_mul_f32_e32 v132, v133, v132
	v_and_b32_e32 v115, 0x7f800000, v132
	s_delay_alu instid0(VALU_DEP_1)
	v_cmp_ne_u32_e32 vcc_lo, 0x7f800000, v115
	v_mov_b32_e32 v115, 0x80
	s_and_saveexec_b32 s23, vcc_lo
	s_cbranch_execz .LBB4_3171
; %bb.3164:                             ;   in Loop: Header=BB4_3075 Depth=2
	v_mov_b32_e32 v115, 0
	s_mov_b32 s24, exec_lo
	v_cmpx_ne_u32_e32 0, v132
	s_cbranch_execz .LBB4_3170
; %bb.3165:                             ;   in Loop: Header=BB4_3075 Depth=2
	v_bfe_u32 v115, v132, 23, 8
	s_delay_alu instid0(VALU_DEP_1) | instskip(SKIP_1) | instid1(VALU_DEP_2)
	v_sub_nc_u32_e32 v134, 0x70, v115
	v_cmp_gt_u32_e32 vcc_lo, 0x71, v115
	v_dual_cndmask_b32 v134, 0, v134 :: v_dual_and_b32 v133, 0x7fffff, v132
	s_delay_alu instid0(VALU_DEP_1) | instskip(SKIP_2) | instid1(VALU_DEP_4)
	v_or_b32_e32 v135, 0x800000, v133
	v_cmp_eq_u32_e32 vcc_lo, 0, v115
	v_add_nc_u32_e32 v115, 0xffffff91, v115
	v_cndmask_b32_e64 v134, v134, 0x6f, vcc_lo
	s_delay_alu instid0(VALU_DEP_2) | instskip(SKIP_1) | instid1(VALU_DEP_3)
	v_cndmask_b32_e64 v115, v115, 0xffffff92, vcc_lo
	v_cndmask_b32_e32 v133, v135, v133, vcc_lo
	v_lshl_add_u32 v135, 0x200000, v134, -1
	v_lshlrev_b32_e64 v146, v134, 0x100000
	s_delay_alu instid0(VALU_DEP_3) | instskip(SKIP_1) | instid1(VALU_DEP_4)
	v_lshrrev_b32_e32 v144, v134, v133
	v_add_nc_u32_e32 v134, v134, v115
	v_and_b32_e32 v133, v135, v133
	s_delay_alu instid0(VALU_DEP_3) | instskip(NEXT) | instid1(VALU_DEP_2)
	v_bfe_u32 v145, v144, 21, 1
	v_cmp_eq_u32_e64 s7, v133, v146
	s_delay_alu instid0(VALU_DEP_2) | instskip(NEXT) | instid1(VALU_DEP_1)
	v_add_nc_u32_e32 v135, -1, v145
	v_cndmask_b32_e64 v133, 0, v135, s7
	v_lshrrev_b32_e32 v135, 23, v144
	s_mov_b32 s7, exec_lo
	s_delay_alu instid0(VALU_DEP_2) | instskip(NEXT) | instid1(VALU_DEP_2)
	v_add_nc_u32_e32 v133, v133, v144
	v_xor_b32_e32 v135, 1, v135
	s_delay_alu instid0(VALU_DEP_2) | instskip(NEXT) | instid1(VALU_DEP_1)
	v_and_b32_e32 v115, 0x1fffff, v133
	v_add_nc_u32_e32 v133, v115, v144
                                        ; implicit-def: $vgpr115
	s_delay_alu instid0(VALU_DEP_3)
	v_cmpx_ne_u32_e64 v134, v135
	s_xor_b32 s7, exec_lo, s7
; %bb.3166:                             ;   in Loop: Header=BB4_3075 Depth=2
	s_delay_alu instid0(VALU_DEP_2) | instskip(SKIP_2) | instid1(VALU_DEP_2)
	v_cmp_lt_u32_e32 vcc_lo, 0xffffff, v133
	v_sub_nc_u32_e32 v115, v134, v135
	v_cndmask_b32_e64 v134, 0, 1, vcc_lo
	v_add_co_ci_u32_e32 v115, vcc_lo, 0, v115, vcc_lo
	s_delay_alu instid0(VALU_DEP_2)
	v_lshrrev_b32_e32 v133, v134, v133
; %bb.3167:                             ;   in Loop: Header=BB4_3075 Depth=2
	s_and_not1_saveexec_b32 s7, s7
; %bb.3168:                             ;   in Loop: Header=BB4_3075 Depth=2
	s_delay_alu instid0(VALU_DEP_1)
	v_bfe_u32 v115, v133, 23, 1
; %bb.3169:                             ;   in Loop: Header=BB4_3075 Depth=2
	s_or_b32 exec_lo, exec_lo, s7
	v_lshrrev_b32_e32 v133, 21, v133
	s_delay_alu instid0(VALU_DEP_2) | instskip(SKIP_2) | instid1(VALU_DEP_2)
	v_cmp_gt_i32_e32 vcc_lo, 32, v115
	v_lshrrev_b32_e32 v132, 24, v132
	v_min_i32_e32 v134, 31, v115
	v_dual_cndmask_b32 v133, 3, v133 :: v_dual_and_b32 v132, 0x80, v132
	s_delay_alu instid0(VALU_DEP_1) | instskip(SKIP_1) | instid1(VALU_DEP_2)
	v_or_b32_e32 v115, v115, v133
	v_and_b32_e32 v135, 3, v133
	v_cmp_ne_u32_e32 vcc_lo, 0, v115
	v_lshlrev_b32_e32 v134, 2, v134
	s_delay_alu instid0(VALU_DEP_1) | instskip(NEXT) | instid1(VALU_DEP_1)
	v_or3_b32 v132, v134, v132, v135
	v_cndmask_b32_e32 v115, 0, v132, vcc_lo
.LBB4_3170:                             ;   in Loop: Header=BB4_3075 Depth=2
	s_or_b32 exec_lo, exec_lo, s24
.LBB4_3171:                             ;   in Loop: Header=BB4_3075 Depth=2
	s_delay_alu instid0(SALU_CYCLE_1) | instskip(SKIP_3) | instid1(VALU_DEP_1)
	s_or_b32 exec_lo, exec_lo, s23
	v_and_b32_e32 v133, 0xff, v131
	s_mov_b32 s7, 0
	s_mov_b32 s24, exec_lo
                                        ; implicit-def: $sgpr23
	v_cmpx_lt_i16_e64 0x7f, v133
	s_xor_b32 s24, exec_lo, s24
	s_cbranch_execnz .LBB4_3377
; %bb.3172:                             ;   in Loop: Header=BB4_3075 Depth=2
	s_or_saveexec_b32 s24, s24
	v_mov_b32_e32 v132, s23
	s_xor_b32 exec_lo, exec_lo, s24
	s_cbranch_execnz .LBB4_3380
.LBB4_3173:                             ;   in Loop: Header=BB4_3075 Depth=2
	s_or_b32 exec_lo, exec_lo, s24
	s_and_saveexec_b32 s23, s7
	s_cbranch_execz .LBB4_3175
.LBB4_3174:                             ;   in Loop: Header=BB4_3075 Depth=2
	v_lshrrev_b16 v135, 2, v131
	s_delay_alu instid0(VALU_DEP_1) | instskip(NEXT) | instid1(VALU_DEP_1)
	v_and_b32_e32 v135, 31, v135
	v_cmp_eq_u32_e32 vcc_lo, 0, v135
	v_and_b32_e32 v132, 3, v131
	s_delay_alu instid0(VALU_DEP_1) | instskip(NEXT) | instid1(VALU_DEP_1)
	v_clz_i32_u32_e32 v133, v132
	v_min_u32_e32 v133, 32, v133
	s_delay_alu instid0(VALU_DEP_1) | instskip(SKIP_1) | instid1(VALU_DEP_1)
	v_subrev_nc_u32_e32 v134, 29, v133
	v_sub_nc_u32_e32 v133, 30, v133
	v_dual_cndmask_b32 v133, v135, v133 :: v_dual_lshlrev_b32 v134, v134, v131
	v_lshlrev_b32_e32 v131, 24, v131
	s_delay_alu instid0(VALU_DEP_2) | instskip(NEXT) | instid1(VALU_DEP_3)
	v_and_b32_e32 v134, 3, v134
	v_lshl_add_u32 v133, v133, 23, 0x37800000
	s_delay_alu instid0(VALU_DEP_2) | instskip(NEXT) | instid1(VALU_DEP_1)
	v_dual_cndmask_b32 v132, v132, v134 :: v_dual_and_b32 v131, 0x80000000, v131
	v_lshlrev_b32_e32 v132, 21, v132
	s_delay_alu instid0(VALU_DEP_1)
	v_or3_b32 v132, v131, v133, v132
.LBB4_3175:                             ;   in Loop: Header=BB4_3075 Depth=2
	s_or_b32 exec_lo, exec_lo, s23
	s_waitcnt vmcnt(9) lgkmcnt(9)
	v_and_b32_e32 v133, 0xff, v118
	s_mov_b32 s7, 0
	s_mov_b32 s24, exec_lo
                                        ; implicit-def: $sgpr23
	s_delay_alu instid0(VALU_DEP_1)
	v_cmpx_lt_i16_e64 0x7f, v133
	s_xor_b32 s24, exec_lo, s24
	s_cbranch_execnz .LBB4_3381
; %bb.3176:                             ;   in Loop: Header=BB4_3075 Depth=2
	s_or_saveexec_b32 s24, s24
	v_mov_b32_e32 v131, s23
	s_xor_b32 exec_lo, exec_lo, s24
	s_cbranch_execnz .LBB4_3384
.LBB4_3177:                             ;   in Loop: Header=BB4_3075 Depth=2
	s_or_b32 exec_lo, exec_lo, s24
	s_and_saveexec_b32 s23, s7
	s_cbranch_execz .LBB4_3179
.LBB4_3178:                             ;   in Loop: Header=BB4_3075 Depth=2
	v_and_b32_e32 v131, 3, v118
	v_lshrrev_b16 v135, 2, v118
	s_delay_alu instid0(VALU_DEP_2) | instskip(NEXT) | instid1(VALU_DEP_2)
	v_clz_i32_u32_e32 v133, v131
	v_and_b32_e32 v135, 31, v135
	s_delay_alu instid0(VALU_DEP_2) | instskip(NEXT) | instid1(VALU_DEP_2)
	v_min_u32_e32 v133, 32, v133
	v_cmp_eq_u32_e32 vcc_lo, 0, v135
	s_delay_alu instid0(VALU_DEP_2) | instskip(SKIP_1) | instid1(VALU_DEP_1)
	v_subrev_nc_u32_e32 v134, 29, v133
	v_sub_nc_u32_e32 v133, 30, v133
	v_dual_cndmask_b32 v133, v135, v133 :: v_dual_lshlrev_b32 v134, v134, v118
	v_lshlrev_b32_e32 v118, 24, v118
	s_delay_alu instid0(VALU_DEP_2) | instskip(NEXT) | instid1(VALU_DEP_3)
	v_and_b32_e32 v134, 3, v134
	v_lshl_add_u32 v133, v133, 23, 0x37800000
	s_delay_alu instid0(VALU_DEP_3) | instskip(NEXT) | instid1(VALU_DEP_3)
	v_and_b32_e32 v118, 0x80000000, v118
	v_cndmask_b32_e32 v131, v131, v134, vcc_lo
	s_delay_alu instid0(VALU_DEP_1) | instskip(NEXT) | instid1(VALU_DEP_1)
	v_lshlrev_b32_e32 v131, 21, v131
	v_or3_b32 v131, v118, v133, v131
.LBB4_3179:                             ;   in Loop: Header=BB4_3075 Depth=2
	s_or_b32 exec_lo, exec_lo, s23
	s_delay_alu instid0(VALU_DEP_1) | instskip(NEXT) | instid1(VALU_DEP_1)
	v_mul_f32_e32 v131, v132, v131
	v_and_b32_e32 v118, 0x7f800000, v131
	s_delay_alu instid0(VALU_DEP_1)
	v_cmp_ne_u32_e32 vcc_lo, 0x7f800000, v118
	v_mov_b32_e32 v118, 0x80
	s_and_saveexec_b32 s23, vcc_lo
	s_cbranch_execz .LBB4_3187
; %bb.3180:                             ;   in Loop: Header=BB4_3075 Depth=2
	v_mov_b32_e32 v118, 0
	s_mov_b32 s24, exec_lo
	v_cmpx_ne_u32_e32 0, v131
	s_cbranch_execz .LBB4_3186
; %bb.3181:                             ;   in Loop: Header=BB4_3075 Depth=2
	v_bfe_u32 v118, v131, 23, 8
	s_delay_alu instid0(VALU_DEP_1) | instskip(SKIP_1) | instid1(VALU_DEP_2)
	v_sub_nc_u32_e32 v133, 0x70, v118
	v_cmp_gt_u32_e32 vcc_lo, 0x71, v118
	v_dual_cndmask_b32 v133, 0, v133 :: v_dual_and_b32 v132, 0x7fffff, v131
	s_delay_alu instid0(VALU_DEP_1) | instskip(SKIP_2) | instid1(VALU_DEP_4)
	v_or_b32_e32 v134, 0x800000, v132
	v_cmp_eq_u32_e32 vcc_lo, 0, v118
	v_add_nc_u32_e32 v118, 0xffffff91, v118
	v_cndmask_b32_e64 v133, v133, 0x6f, vcc_lo
	s_delay_alu instid0(VALU_DEP_2) | instskip(SKIP_1) | instid1(VALU_DEP_3)
	v_cndmask_b32_e64 v118, v118, 0xffffff92, vcc_lo
	v_cndmask_b32_e32 v132, v134, v132, vcc_lo
	v_lshl_add_u32 v134, 0x200000, v133, -1
	v_lshlrev_b32_e64 v145, v133, 0x100000
	s_delay_alu instid0(VALU_DEP_3) | instskip(SKIP_1) | instid1(VALU_DEP_4)
	v_lshrrev_b32_e32 v135, v133, v132
	v_add_nc_u32_e32 v133, v133, v118
	v_and_b32_e32 v132, v134, v132
	s_delay_alu instid0(VALU_DEP_3) | instskip(NEXT) | instid1(VALU_DEP_2)
	v_bfe_u32 v144, v135, 21, 1
	v_cmp_eq_u32_e64 s7, v132, v145
	s_delay_alu instid0(VALU_DEP_2) | instskip(NEXT) | instid1(VALU_DEP_1)
	v_add_nc_u32_e32 v134, -1, v144
	v_cndmask_b32_e64 v132, 0, v134, s7
	v_lshrrev_b32_e32 v134, 23, v135
	s_mov_b32 s7, exec_lo
	s_delay_alu instid0(VALU_DEP_2) | instskip(NEXT) | instid1(VALU_DEP_2)
	v_add_nc_u32_e32 v132, v132, v135
	v_xor_b32_e32 v134, 1, v134
	s_delay_alu instid0(VALU_DEP_2) | instskip(NEXT) | instid1(VALU_DEP_1)
	v_and_b32_e32 v118, 0x1fffff, v132
	v_add_nc_u32_e32 v132, v118, v135
                                        ; implicit-def: $vgpr118
	s_delay_alu instid0(VALU_DEP_3)
	v_cmpx_ne_u32_e64 v133, v134
	s_xor_b32 s7, exec_lo, s7
; %bb.3182:                             ;   in Loop: Header=BB4_3075 Depth=2
	s_delay_alu instid0(VALU_DEP_2) | instskip(SKIP_2) | instid1(VALU_DEP_2)
	v_cmp_lt_u32_e32 vcc_lo, 0xffffff, v132
	v_sub_nc_u32_e32 v118, v133, v134
	v_cndmask_b32_e64 v133, 0, 1, vcc_lo
	v_add_co_ci_u32_e32 v118, vcc_lo, 0, v118, vcc_lo
	s_delay_alu instid0(VALU_DEP_2)
	v_lshrrev_b32_e32 v132, v133, v132
; %bb.3183:                             ;   in Loop: Header=BB4_3075 Depth=2
	s_and_not1_saveexec_b32 s7, s7
; %bb.3184:                             ;   in Loop: Header=BB4_3075 Depth=2
	s_delay_alu instid0(VALU_DEP_1)
	v_bfe_u32 v118, v132, 23, 1
; %bb.3185:                             ;   in Loop: Header=BB4_3075 Depth=2
	s_or_b32 exec_lo, exec_lo, s7
	v_lshrrev_b32_e32 v132, 21, v132
	s_delay_alu instid0(VALU_DEP_2) | instskip(SKIP_2) | instid1(VALU_DEP_2)
	v_cmp_gt_i32_e32 vcc_lo, 32, v118
	v_lshrrev_b32_e32 v131, 24, v131
	v_min_i32_e32 v133, 31, v118
	v_dual_cndmask_b32 v132, 3, v132 :: v_dual_and_b32 v131, 0x80, v131
	s_delay_alu instid0(VALU_DEP_1) | instskip(SKIP_1) | instid1(VALU_DEP_2)
	v_or_b32_e32 v118, v118, v132
	v_and_b32_e32 v134, 3, v132
	v_cmp_ne_u32_e32 vcc_lo, 0, v118
	v_lshlrev_b32_e32 v133, 2, v133
	s_delay_alu instid0(VALU_DEP_1) | instskip(NEXT) | instid1(VALU_DEP_1)
	v_or3_b32 v131, v133, v131, v134
	v_cndmask_b32_e32 v118, 0, v131, vcc_lo
.LBB4_3186:                             ;   in Loop: Header=BB4_3075 Depth=2
	s_or_b32 exec_lo, exec_lo, s24
.LBB4_3187:                             ;   in Loop: Header=BB4_3075 Depth=2
	s_delay_alu instid0(SALU_CYCLE_1) | instskip(SKIP_3) | instid1(VALU_DEP_1)
	s_or_b32 exec_lo, exec_lo, s23
	v_and_b32_e32 v132, 0xff, v130
	s_mov_b32 s7, 0
	s_mov_b32 s24, exec_lo
                                        ; implicit-def: $sgpr23
	v_cmpx_lt_i16_e64 0x7f, v132
	s_xor_b32 s24, exec_lo, s24
	s_cbranch_execnz .LBB4_3385
; %bb.3188:                             ;   in Loop: Header=BB4_3075 Depth=2
	s_or_saveexec_b32 s24, s24
	v_mov_b32_e32 v131, s23
	s_xor_b32 exec_lo, exec_lo, s24
	s_cbranch_execnz .LBB4_3388
.LBB4_3189:                             ;   in Loop: Header=BB4_3075 Depth=2
	s_or_b32 exec_lo, exec_lo, s24
	s_and_saveexec_b32 s23, s7
	s_cbranch_execz .LBB4_3191
.LBB4_3190:                             ;   in Loop: Header=BB4_3075 Depth=2
	v_lshrrev_b16 v134, 2, v130
	s_delay_alu instid0(VALU_DEP_1) | instskip(NEXT) | instid1(VALU_DEP_1)
	v_and_b32_e32 v134, 31, v134
	v_cmp_eq_u32_e32 vcc_lo, 0, v134
	v_and_b32_e32 v131, 3, v130
	s_delay_alu instid0(VALU_DEP_1) | instskip(NEXT) | instid1(VALU_DEP_1)
	v_clz_i32_u32_e32 v132, v131
	v_min_u32_e32 v132, 32, v132
	s_delay_alu instid0(VALU_DEP_1) | instskip(SKIP_1) | instid1(VALU_DEP_1)
	v_subrev_nc_u32_e32 v133, 29, v132
	v_sub_nc_u32_e32 v132, 30, v132
	v_dual_cndmask_b32 v132, v134, v132 :: v_dual_lshlrev_b32 v133, v133, v130
	v_lshlrev_b32_e32 v130, 24, v130
	s_delay_alu instid0(VALU_DEP_2) | instskip(NEXT) | instid1(VALU_DEP_3)
	v_and_b32_e32 v133, 3, v133
	v_lshl_add_u32 v132, v132, 23, 0x37800000
	s_delay_alu instid0(VALU_DEP_2) | instskip(NEXT) | instid1(VALU_DEP_1)
	v_dual_cndmask_b32 v131, v131, v133 :: v_dual_and_b32 v130, 0x80000000, v130
	v_lshlrev_b32_e32 v131, 21, v131
	s_delay_alu instid0(VALU_DEP_1)
	v_or3_b32 v131, v130, v132, v131
.LBB4_3191:                             ;   in Loop: Header=BB4_3075 Depth=2
	s_or_b32 exec_lo, exec_lo, s23
	s_waitcnt vmcnt(8) lgkmcnt(8)
	v_and_b32_e32 v132, 0xff, v129
	s_mov_b32 s7, 0
	s_mov_b32 s24, exec_lo
                                        ; implicit-def: $sgpr23
	s_delay_alu instid0(VALU_DEP_1)
	v_cmpx_lt_i16_e64 0x7f, v132
	s_xor_b32 s24, exec_lo, s24
	s_cbranch_execnz .LBB4_3389
; %bb.3192:                             ;   in Loop: Header=BB4_3075 Depth=2
	s_or_saveexec_b32 s24, s24
	v_mov_b32_e32 v130, s23
	s_xor_b32 exec_lo, exec_lo, s24
	s_cbranch_execnz .LBB4_3392
.LBB4_3193:                             ;   in Loop: Header=BB4_3075 Depth=2
	s_or_b32 exec_lo, exec_lo, s24
	s_and_saveexec_b32 s23, s7
	s_cbranch_execz .LBB4_3195
.LBB4_3194:                             ;   in Loop: Header=BB4_3075 Depth=2
	v_and_b32_e32 v130, 3, v129
	v_lshrrev_b16 v134, 2, v129
	s_delay_alu instid0(VALU_DEP_2) | instskip(NEXT) | instid1(VALU_DEP_2)
	v_clz_i32_u32_e32 v132, v130
	v_and_b32_e32 v134, 31, v134
	s_delay_alu instid0(VALU_DEP_2) | instskip(NEXT) | instid1(VALU_DEP_2)
	v_min_u32_e32 v132, 32, v132
	v_cmp_eq_u32_e32 vcc_lo, 0, v134
	s_delay_alu instid0(VALU_DEP_2) | instskip(SKIP_1) | instid1(VALU_DEP_1)
	v_subrev_nc_u32_e32 v133, 29, v132
	v_sub_nc_u32_e32 v132, 30, v132
	v_dual_cndmask_b32 v132, v134, v132 :: v_dual_lshlrev_b32 v133, v133, v129
	v_lshlrev_b32_e32 v129, 24, v129
	s_delay_alu instid0(VALU_DEP_2) | instskip(NEXT) | instid1(VALU_DEP_3)
	v_and_b32_e32 v133, 3, v133
	v_lshl_add_u32 v132, v132, 23, 0x37800000
	s_delay_alu instid0(VALU_DEP_3) | instskip(NEXT) | instid1(VALU_DEP_3)
	v_and_b32_e32 v129, 0x80000000, v129
	v_cndmask_b32_e32 v130, v130, v133, vcc_lo
	s_delay_alu instid0(VALU_DEP_1) | instskip(NEXT) | instid1(VALU_DEP_1)
	v_lshlrev_b32_e32 v130, 21, v130
	v_or3_b32 v130, v129, v132, v130
.LBB4_3195:                             ;   in Loop: Header=BB4_3075 Depth=2
	s_or_b32 exec_lo, exec_lo, s23
	s_delay_alu instid0(VALU_DEP_1) | instskip(NEXT) | instid1(VALU_DEP_1)
	v_mul_f32_e32 v130, v131, v130
	v_and_b32_e32 v129, 0x7f800000, v130
	s_delay_alu instid0(VALU_DEP_1)
	v_cmp_ne_u32_e32 vcc_lo, 0x7f800000, v129
	v_mov_b32_e32 v129, 0x80
	s_and_saveexec_b32 s23, vcc_lo
	s_cbranch_execz .LBB4_3203
; %bb.3196:                             ;   in Loop: Header=BB4_3075 Depth=2
	v_mov_b32_e32 v129, 0
	s_mov_b32 s24, exec_lo
	v_cmpx_ne_u32_e32 0, v130
	s_cbranch_execz .LBB4_3202
; %bb.3197:                             ;   in Loop: Header=BB4_3075 Depth=2
	v_bfe_u32 v129, v130, 23, 8
	s_delay_alu instid0(VALU_DEP_1) | instskip(SKIP_1) | instid1(VALU_DEP_2)
	v_sub_nc_u32_e32 v132, 0x70, v129
	v_cmp_gt_u32_e32 vcc_lo, 0x71, v129
	v_dual_cndmask_b32 v132, 0, v132 :: v_dual_and_b32 v131, 0x7fffff, v130
	s_delay_alu instid0(VALU_DEP_1) | instskip(SKIP_2) | instid1(VALU_DEP_4)
	v_or_b32_e32 v133, 0x800000, v131
	v_cmp_eq_u32_e32 vcc_lo, 0, v129
	v_add_nc_u32_e32 v129, 0xffffff91, v129
	v_cndmask_b32_e64 v132, v132, 0x6f, vcc_lo
	s_delay_alu instid0(VALU_DEP_2) | instskip(SKIP_1) | instid1(VALU_DEP_3)
	v_cndmask_b32_e64 v129, v129, 0xffffff92, vcc_lo
	v_cndmask_b32_e32 v131, v133, v131, vcc_lo
	v_lshl_add_u32 v133, 0x200000, v132, -1
	v_lshlrev_b32_e64 v144, v132, 0x100000
	s_delay_alu instid0(VALU_DEP_3) | instskip(SKIP_1) | instid1(VALU_DEP_4)
	v_lshrrev_b32_e32 v134, v132, v131
	v_add_nc_u32_e32 v132, v132, v129
	v_and_b32_e32 v131, v133, v131
	s_delay_alu instid0(VALU_DEP_3) | instskip(NEXT) | instid1(VALU_DEP_2)
	v_bfe_u32 v135, v134, 21, 1
	v_cmp_eq_u32_e64 s7, v131, v144
	s_delay_alu instid0(VALU_DEP_2) | instskip(NEXT) | instid1(VALU_DEP_1)
	v_add_nc_u32_e32 v133, -1, v135
	v_cndmask_b32_e64 v131, 0, v133, s7
	v_lshrrev_b32_e32 v133, 23, v134
	s_mov_b32 s7, exec_lo
	s_delay_alu instid0(VALU_DEP_2) | instskip(NEXT) | instid1(VALU_DEP_2)
	v_add_nc_u32_e32 v131, v131, v134
	v_xor_b32_e32 v133, 1, v133
	s_delay_alu instid0(VALU_DEP_2) | instskip(NEXT) | instid1(VALU_DEP_1)
	v_and_b32_e32 v129, 0x1fffff, v131
	v_add_nc_u32_e32 v131, v129, v134
                                        ; implicit-def: $vgpr129
	s_delay_alu instid0(VALU_DEP_3)
	v_cmpx_ne_u32_e64 v132, v133
	s_xor_b32 s7, exec_lo, s7
; %bb.3198:                             ;   in Loop: Header=BB4_3075 Depth=2
	s_delay_alu instid0(VALU_DEP_2) | instskip(SKIP_2) | instid1(VALU_DEP_2)
	v_cmp_lt_u32_e32 vcc_lo, 0xffffff, v131
	v_sub_nc_u32_e32 v129, v132, v133
	v_cndmask_b32_e64 v132, 0, 1, vcc_lo
	v_add_co_ci_u32_e32 v129, vcc_lo, 0, v129, vcc_lo
	s_delay_alu instid0(VALU_DEP_2)
	v_lshrrev_b32_e32 v131, v132, v131
; %bb.3199:                             ;   in Loop: Header=BB4_3075 Depth=2
	s_and_not1_saveexec_b32 s7, s7
; %bb.3200:                             ;   in Loop: Header=BB4_3075 Depth=2
	s_delay_alu instid0(VALU_DEP_1)
	v_bfe_u32 v129, v131, 23, 1
; %bb.3201:                             ;   in Loop: Header=BB4_3075 Depth=2
	s_or_b32 exec_lo, exec_lo, s7
	v_lshrrev_b32_e32 v131, 21, v131
	s_delay_alu instid0(VALU_DEP_2) | instskip(SKIP_2) | instid1(VALU_DEP_2)
	v_cmp_gt_i32_e32 vcc_lo, 32, v129
	v_lshrrev_b32_e32 v130, 24, v130
	v_min_i32_e32 v132, 31, v129
	v_dual_cndmask_b32 v131, 3, v131 :: v_dual_and_b32 v130, 0x80, v130
	s_delay_alu instid0(VALU_DEP_1) | instskip(SKIP_1) | instid1(VALU_DEP_2)
	v_or_b32_e32 v129, v129, v131
	v_and_b32_e32 v133, 3, v131
	v_cmp_ne_u32_e32 vcc_lo, 0, v129
	v_lshlrev_b32_e32 v132, 2, v132
	s_delay_alu instid0(VALU_DEP_1) | instskip(NEXT) | instid1(VALU_DEP_1)
	v_or3_b32 v130, v132, v130, v133
	v_cndmask_b32_e32 v129, 0, v130, vcc_lo
.LBB4_3202:                             ;   in Loop: Header=BB4_3075 Depth=2
	s_or_b32 exec_lo, exec_lo, s24
.LBB4_3203:                             ;   in Loop: Header=BB4_3075 Depth=2
	s_delay_alu instid0(SALU_CYCLE_1) | instskip(SKIP_3) | instid1(VALU_DEP_1)
	s_or_b32 exec_lo, exec_lo, s23
	v_and_b32_e32 v131, 0xff, v128
	s_mov_b32 s7, 0
	s_mov_b32 s24, exec_lo
                                        ; implicit-def: $sgpr23
	v_cmpx_lt_i16_e64 0x7f, v131
	s_xor_b32 s24, exec_lo, s24
	s_cbranch_execnz .LBB4_3393
; %bb.3204:                             ;   in Loop: Header=BB4_3075 Depth=2
	s_or_saveexec_b32 s24, s24
	v_mov_b32_e32 v130, s23
	s_xor_b32 exec_lo, exec_lo, s24
	s_cbranch_execnz .LBB4_3396
.LBB4_3205:                             ;   in Loop: Header=BB4_3075 Depth=2
	s_or_b32 exec_lo, exec_lo, s24
	s_and_saveexec_b32 s23, s7
	s_cbranch_execz .LBB4_3207
.LBB4_3206:                             ;   in Loop: Header=BB4_3075 Depth=2
	v_lshrrev_b16 v133, 2, v128
	s_delay_alu instid0(VALU_DEP_1) | instskip(NEXT) | instid1(VALU_DEP_1)
	v_and_b32_e32 v133, 31, v133
	v_cmp_eq_u32_e32 vcc_lo, 0, v133
	v_and_b32_e32 v130, 3, v128
	s_delay_alu instid0(VALU_DEP_1) | instskip(NEXT) | instid1(VALU_DEP_1)
	v_clz_i32_u32_e32 v131, v130
	v_min_u32_e32 v131, 32, v131
	s_delay_alu instid0(VALU_DEP_1) | instskip(SKIP_1) | instid1(VALU_DEP_1)
	v_subrev_nc_u32_e32 v132, 29, v131
	v_sub_nc_u32_e32 v131, 30, v131
	v_dual_cndmask_b32 v131, v133, v131 :: v_dual_lshlrev_b32 v132, v132, v128
	v_lshlrev_b32_e32 v128, 24, v128
	s_delay_alu instid0(VALU_DEP_2) | instskip(NEXT) | instid1(VALU_DEP_3)
	v_and_b32_e32 v132, 3, v132
	v_lshl_add_u32 v131, v131, 23, 0x37800000
	s_delay_alu instid0(VALU_DEP_3) | instskip(NEXT) | instid1(VALU_DEP_3)
	v_and_b32_e32 v128, 0x80000000, v128
	v_cndmask_b32_e32 v130, v130, v132, vcc_lo
	s_delay_alu instid0(VALU_DEP_1) | instskip(NEXT) | instid1(VALU_DEP_1)
	v_lshlrev_b32_e32 v130, 21, v130
	v_or3_b32 v130, v128, v131, v130
.LBB4_3207:                             ;   in Loop: Header=BB4_3075 Depth=2
	s_or_b32 exec_lo, exec_lo, s23
	s_waitcnt vmcnt(7) lgkmcnt(7)
	v_and_b32_e32 v131, 0xff, v119
	s_mov_b32 s7, 0
	s_mov_b32 s24, exec_lo
                                        ; implicit-def: $sgpr23
	s_delay_alu instid0(VALU_DEP_1)
	v_cmpx_lt_i16_e64 0x7f, v131
	s_xor_b32 s24, exec_lo, s24
	s_cbranch_execnz .LBB4_3397
; %bb.3208:                             ;   in Loop: Header=BB4_3075 Depth=2
	s_or_saveexec_b32 s24, s24
	v_mov_b32_e32 v128, s23
	s_xor_b32 exec_lo, exec_lo, s24
	s_cbranch_execnz .LBB4_3400
.LBB4_3209:                             ;   in Loop: Header=BB4_3075 Depth=2
	s_or_b32 exec_lo, exec_lo, s24
	s_and_saveexec_b32 s23, s7
	s_cbranch_execz .LBB4_3211
.LBB4_3210:                             ;   in Loop: Header=BB4_3075 Depth=2
	v_and_b32_e32 v128, 3, v119
	v_lshrrev_b16 v133, 2, v119
	s_delay_alu instid0(VALU_DEP_2) | instskip(NEXT) | instid1(VALU_DEP_1)
	v_clz_i32_u32_e32 v131, v128
	v_min_u32_e32 v131, 32, v131
	s_delay_alu instid0(VALU_DEP_1) | instskip(SKIP_1) | instid1(VALU_DEP_2)
	v_subrev_nc_u32_e32 v132, 29, v131
	v_sub_nc_u32_e32 v131, 30, v131
	v_lshlrev_b32_e32 v132, v132, v119
	v_lshlrev_b32_e32 v119, 24, v119
	s_delay_alu instid0(VALU_DEP_2) | instskip(SKIP_1) | instid1(VALU_DEP_3)
	v_and_b32_e32 v132, 3, v132
	v_and_b32_e32 v133, 31, v133
	;; [unrolled: 1-line block ×3, first 2 shown]
	s_delay_alu instid0(VALU_DEP_2) | instskip(NEXT) | instid1(VALU_DEP_4)
	v_cmp_eq_u32_e32 vcc_lo, 0, v133
	v_dual_cndmask_b32 v128, v128, v132 :: v_dual_cndmask_b32 v131, v133, v131
	s_delay_alu instid0(VALU_DEP_1) | instskip(NEXT) | instid1(VALU_DEP_2)
	v_lshlrev_b32_e32 v128, 21, v128
	v_lshl_add_u32 v131, v131, 23, 0x37800000
	s_delay_alu instid0(VALU_DEP_1)
	v_or3_b32 v128, v119, v131, v128
.LBB4_3211:                             ;   in Loop: Header=BB4_3075 Depth=2
	s_or_b32 exec_lo, exec_lo, s23
	s_delay_alu instid0(VALU_DEP_1) | instskip(NEXT) | instid1(VALU_DEP_1)
	v_mul_f32_e32 v128, v130, v128
	v_and_b32_e32 v119, 0x7f800000, v128
	s_delay_alu instid0(VALU_DEP_1)
	v_cmp_ne_u32_e32 vcc_lo, 0x7f800000, v119
	v_mov_b32_e32 v119, 0x80
	s_and_saveexec_b32 s23, vcc_lo
	s_cbranch_execz .LBB4_3219
; %bb.3212:                             ;   in Loop: Header=BB4_3075 Depth=2
	v_mov_b32_e32 v119, 0
	s_mov_b32 s24, exec_lo
	v_cmpx_ne_u32_e32 0, v128
	s_cbranch_execz .LBB4_3218
; %bb.3213:                             ;   in Loop: Header=BB4_3075 Depth=2
	v_bfe_u32 v119, v128, 23, 8
	s_delay_alu instid0(VALU_DEP_1) | instskip(SKIP_1) | instid1(VALU_DEP_2)
	v_sub_nc_u32_e32 v131, 0x70, v119
	v_cmp_gt_u32_e32 vcc_lo, 0x71, v119
	v_dual_cndmask_b32 v131, 0, v131 :: v_dual_and_b32 v130, 0x7fffff, v128
	s_delay_alu instid0(VALU_DEP_1) | instskip(SKIP_2) | instid1(VALU_DEP_4)
	v_or_b32_e32 v132, 0x800000, v130
	v_cmp_eq_u32_e32 vcc_lo, 0, v119
	v_add_nc_u32_e32 v119, 0xffffff91, v119
	v_cndmask_b32_e64 v131, v131, 0x6f, vcc_lo
	s_delay_alu instid0(VALU_DEP_4) | instskip(NEXT) | instid1(VALU_DEP_3)
	v_cndmask_b32_e32 v130, v132, v130, vcc_lo
	v_cndmask_b32_e64 v119, v119, 0xffffff92, vcc_lo
	s_delay_alu instid0(VALU_DEP_3) | instskip(NEXT) | instid1(VALU_DEP_3)
	v_lshl_add_u32 v132, 0x200000, v131, -1
	v_lshrrev_b32_e32 v133, v131, v130
	v_lshlrev_b32_e64 v135, v131, 0x100000
	s_delay_alu instid0(VALU_DEP_4) | instskip(NEXT) | instid1(VALU_DEP_4)
	v_add_nc_u32_e32 v131, v131, v119
	v_and_b32_e32 v130, v132, v130
	s_delay_alu instid0(VALU_DEP_4) | instskip(NEXT) | instid1(VALU_DEP_2)
	v_bfe_u32 v134, v133, 21, 1
	v_cmp_eq_u32_e64 s7, v130, v135
	s_delay_alu instid0(VALU_DEP_2) | instskip(NEXT) | instid1(VALU_DEP_1)
	v_add_nc_u32_e32 v132, -1, v134
	v_cndmask_b32_e64 v130, 0, v132, s7
	v_lshrrev_b32_e32 v132, 23, v133
	s_mov_b32 s7, exec_lo
	s_delay_alu instid0(VALU_DEP_2) | instskip(NEXT) | instid1(VALU_DEP_2)
	v_add_nc_u32_e32 v130, v130, v133
	v_xor_b32_e32 v132, 1, v132
	s_delay_alu instid0(VALU_DEP_2) | instskip(NEXT) | instid1(VALU_DEP_1)
	v_and_b32_e32 v119, 0x1fffff, v130
	v_add_nc_u32_e32 v130, v119, v133
                                        ; implicit-def: $vgpr119
	s_delay_alu instid0(VALU_DEP_3)
	v_cmpx_ne_u32_e64 v131, v132
	s_xor_b32 s7, exec_lo, s7
; %bb.3214:                             ;   in Loop: Header=BB4_3075 Depth=2
	s_delay_alu instid0(VALU_DEP_2) | instskip(SKIP_2) | instid1(VALU_DEP_2)
	v_cmp_lt_u32_e32 vcc_lo, 0xffffff, v130
	v_sub_nc_u32_e32 v119, v131, v132
	v_cndmask_b32_e64 v131, 0, 1, vcc_lo
	v_add_co_ci_u32_e32 v119, vcc_lo, 0, v119, vcc_lo
	s_delay_alu instid0(VALU_DEP_2)
	v_lshrrev_b32_e32 v130, v131, v130
; %bb.3215:                             ;   in Loop: Header=BB4_3075 Depth=2
	s_and_not1_saveexec_b32 s7, s7
; %bb.3216:                             ;   in Loop: Header=BB4_3075 Depth=2
	s_delay_alu instid0(VALU_DEP_1)
	v_bfe_u32 v119, v130, 23, 1
; %bb.3217:                             ;   in Loop: Header=BB4_3075 Depth=2
	s_or_b32 exec_lo, exec_lo, s7
	v_lshrrev_b32_e32 v130, 21, v130
	s_delay_alu instid0(VALU_DEP_2) | instskip(SKIP_2) | instid1(VALU_DEP_2)
	v_cmp_gt_i32_e32 vcc_lo, 32, v119
	v_min_i32_e32 v131, 31, v119
	v_lshrrev_b32_e32 v128, 24, v128
	v_dual_cndmask_b32 v130, 3, v130 :: v_dual_lshlrev_b32 v131, 2, v131
	s_delay_alu instid0(VALU_DEP_2) | instskip(NEXT) | instid1(VALU_DEP_2)
	v_and_b32_e32 v128, 0x80, v128
	v_or_b32_e32 v119, v119, v130
	s_delay_alu instid0(VALU_DEP_1) | instskip(SKIP_1) | instid1(VALU_DEP_1)
	v_cmp_ne_u32_e32 vcc_lo, 0, v119
	v_and_b32_e32 v132, 3, v130
	v_or3_b32 v128, v131, v128, v132
	s_delay_alu instid0(VALU_DEP_1)
	v_cndmask_b32_e32 v119, 0, v128, vcc_lo
.LBB4_3218:                             ;   in Loop: Header=BB4_3075 Depth=2
	s_or_b32 exec_lo, exec_lo, s24
.LBB4_3219:                             ;   in Loop: Header=BB4_3075 Depth=2
	s_delay_alu instid0(SALU_CYCLE_1) | instskip(SKIP_3) | instid1(VALU_DEP_1)
	s_or_b32 exec_lo, exec_lo, s23
	v_and_b32_e32 v130, 0xff, v117
	s_mov_b32 s7, 0
	s_mov_b32 s24, exec_lo
                                        ; implicit-def: $sgpr23
	v_cmpx_lt_i16_e64 0x7f, v130
	s_xor_b32 s24, exec_lo, s24
	s_cbranch_execnz .LBB4_3401
; %bb.3220:                             ;   in Loop: Header=BB4_3075 Depth=2
	s_or_saveexec_b32 s24, s24
	v_mov_b32_e32 v128, s23
	s_xor_b32 exec_lo, exec_lo, s24
	s_cbranch_execnz .LBB4_3404
.LBB4_3221:                             ;   in Loop: Header=BB4_3075 Depth=2
	s_or_b32 exec_lo, exec_lo, s24
	s_and_saveexec_b32 s23, s7
	s_cbranch_execz .LBB4_3223
.LBB4_3222:                             ;   in Loop: Header=BB4_3075 Depth=2
	v_and_b32_e32 v128, 3, v117
	v_lshrrev_b16 v132, 2, v117
	s_delay_alu instid0(VALU_DEP_2) | instskip(NEXT) | instid1(VALU_DEP_2)
	v_clz_i32_u32_e32 v130, v128
	v_and_b32_e32 v132, 31, v132
	s_delay_alu instid0(VALU_DEP_2) | instskip(NEXT) | instid1(VALU_DEP_2)
	v_min_u32_e32 v130, 32, v130
	v_cmp_eq_u32_e32 vcc_lo, 0, v132
	s_delay_alu instid0(VALU_DEP_2) | instskip(SKIP_1) | instid1(VALU_DEP_1)
	v_subrev_nc_u32_e32 v131, 29, v130
	v_sub_nc_u32_e32 v130, 30, v130
	v_dual_cndmask_b32 v130, v132, v130 :: v_dual_lshlrev_b32 v131, v131, v117
	s_delay_alu instid0(VALU_DEP_1) | instskip(SKIP_1) | instid1(VALU_DEP_3)
	v_and_b32_e32 v131, 3, v131
	v_lshlrev_b32_e32 v117, 24, v117
	v_lshl_add_u32 v130, v130, 23, 0x37800000
	s_delay_alu instid0(VALU_DEP_2) | instskip(NEXT) | instid1(VALU_DEP_1)
	v_dual_cndmask_b32 v128, v128, v131 :: v_dual_and_b32 v117, 0x80000000, v117
	v_lshlrev_b32_e32 v128, 21, v128
	s_delay_alu instid0(VALU_DEP_1)
	v_or3_b32 v128, v117, v130, v128
.LBB4_3223:                             ;   in Loop: Header=BB4_3075 Depth=2
	s_or_b32 exec_lo, exec_lo, s23
	s_waitcnt vmcnt(6) lgkmcnt(6)
	v_and_b32_e32 v130, 0xff, v116
	s_mov_b32 s7, 0
	s_mov_b32 s24, exec_lo
                                        ; implicit-def: $sgpr23
	s_delay_alu instid0(VALU_DEP_1)
	v_cmpx_lt_i16_e64 0x7f, v130
	s_xor_b32 s24, exec_lo, s24
	s_cbranch_execnz .LBB4_3405
; %bb.3224:                             ;   in Loop: Header=BB4_3075 Depth=2
	s_or_saveexec_b32 s24, s24
	v_mov_b32_e32 v117, s23
	s_xor_b32 exec_lo, exec_lo, s24
	s_cbranch_execnz .LBB4_3408
.LBB4_3225:                             ;   in Loop: Header=BB4_3075 Depth=2
	s_or_b32 exec_lo, exec_lo, s24
	s_and_saveexec_b32 s23, s7
	s_cbranch_execz .LBB4_3227
.LBB4_3226:                             ;   in Loop: Header=BB4_3075 Depth=2
	v_lshrrev_b16 v132, 2, v116
	s_delay_alu instid0(VALU_DEP_1) | instskip(NEXT) | instid1(VALU_DEP_1)
	v_and_b32_e32 v132, 31, v132
	v_cmp_eq_u32_e32 vcc_lo, 0, v132
	v_and_b32_e32 v117, 3, v116
	s_delay_alu instid0(VALU_DEP_1) | instskip(NEXT) | instid1(VALU_DEP_1)
	v_clz_i32_u32_e32 v130, v117
	v_min_u32_e32 v130, 32, v130
	s_delay_alu instid0(VALU_DEP_1) | instskip(SKIP_1) | instid1(VALU_DEP_1)
	v_subrev_nc_u32_e32 v131, 29, v130
	v_sub_nc_u32_e32 v130, 30, v130
	v_dual_cndmask_b32 v130, v132, v130 :: v_dual_lshlrev_b32 v131, v131, v116
	v_lshlrev_b32_e32 v116, 24, v116
	s_delay_alu instid0(VALU_DEP_2) | instskip(NEXT) | instid1(VALU_DEP_3)
	v_and_b32_e32 v131, 3, v131
	v_lshl_add_u32 v130, v130, 23, 0x37800000
	s_delay_alu instid0(VALU_DEP_2) | instskip(NEXT) | instid1(VALU_DEP_1)
	v_dual_cndmask_b32 v117, v117, v131 :: v_dual_and_b32 v116, 0x80000000, v116
	v_lshlrev_b32_e32 v117, 21, v117
	s_delay_alu instid0(VALU_DEP_1)
	v_or3_b32 v117, v116, v130, v117
.LBB4_3227:                             ;   in Loop: Header=BB4_3075 Depth=2
	s_or_b32 exec_lo, exec_lo, s23
	s_delay_alu instid0(VALU_DEP_1) | instskip(NEXT) | instid1(VALU_DEP_1)
	v_mul_f32_e32 v117, v128, v117
	v_and_b32_e32 v116, 0x7f800000, v117
	s_delay_alu instid0(VALU_DEP_1)
	v_cmp_ne_u32_e32 vcc_lo, 0x7f800000, v116
	v_mov_b32_e32 v116, 0x80
	s_and_saveexec_b32 s23, vcc_lo
	s_cbranch_execz .LBB4_3235
; %bb.3228:                             ;   in Loop: Header=BB4_3075 Depth=2
	v_mov_b32_e32 v116, 0
	s_mov_b32 s24, exec_lo
	v_cmpx_ne_u32_e32 0, v117
	s_cbranch_execz .LBB4_3234
; %bb.3229:                             ;   in Loop: Header=BB4_3075 Depth=2
	v_bfe_u32 v116, v117, 23, 8
	v_and_b32_e32 v128, 0x7fffff, v117
	s_delay_alu instid0(VALU_DEP_2) | instskip(SKIP_1) | instid1(VALU_DEP_3)
	v_sub_nc_u32_e32 v130, 0x70, v116
	v_cmp_gt_u32_e32 vcc_lo, 0x71, v116
	v_or_b32_e32 v131, 0x800000, v128
	s_delay_alu instid0(VALU_DEP_3) | instskip(SKIP_2) | instid1(VALU_DEP_3)
	v_cndmask_b32_e32 v130, 0, v130, vcc_lo
	v_cmp_eq_u32_e32 vcc_lo, 0, v116
	v_add_nc_u32_e32 v116, 0xffffff91, v116
	v_cndmask_b32_e64 v130, v130, 0x6f, vcc_lo
	v_cndmask_b32_e32 v128, v131, v128, vcc_lo
	s_delay_alu instid0(VALU_DEP_3) | instskip(NEXT) | instid1(VALU_DEP_3)
	v_cndmask_b32_e64 v116, v116, 0xffffff92, vcc_lo
	v_lshl_add_u32 v131, 0x200000, v130, -1
	s_delay_alu instid0(VALU_DEP_3) | instskip(SKIP_1) | instid1(VALU_DEP_4)
	v_lshrrev_b32_e32 v132, v130, v128
	v_lshlrev_b32_e64 v134, v130, 0x100000
	v_add_nc_u32_e32 v130, v130, v116
	s_delay_alu instid0(VALU_DEP_4) | instskip(NEXT) | instid1(VALU_DEP_4)
	v_and_b32_e32 v128, v131, v128
	v_bfe_u32 v133, v132, 21, 1
	s_delay_alu instid0(VALU_DEP_2) | instskip(NEXT) | instid1(VALU_DEP_2)
	v_cmp_eq_u32_e64 s7, v128, v134
	v_add_nc_u32_e32 v131, -1, v133
	s_delay_alu instid0(VALU_DEP_1) | instskip(SKIP_2) | instid1(VALU_DEP_2)
	v_cndmask_b32_e64 v128, 0, v131, s7
	v_lshrrev_b32_e32 v131, 23, v132
	s_mov_b32 s7, exec_lo
	v_add_nc_u32_e32 v128, v128, v132
	s_delay_alu instid0(VALU_DEP_2) | instskip(NEXT) | instid1(VALU_DEP_2)
	v_xor_b32_e32 v131, 1, v131
	v_and_b32_e32 v116, 0x1fffff, v128
	s_delay_alu instid0(VALU_DEP_1) | instskip(NEXT) | instid1(VALU_DEP_3)
	v_add_nc_u32_e32 v128, v116, v132
                                        ; implicit-def: $vgpr116
	v_cmpx_ne_u32_e64 v130, v131
	s_xor_b32 s7, exec_lo, s7
; %bb.3230:                             ;   in Loop: Header=BB4_3075 Depth=2
	s_delay_alu instid0(VALU_DEP_2) | instskip(SKIP_2) | instid1(VALU_DEP_2)
	v_cmp_lt_u32_e32 vcc_lo, 0xffffff, v128
	v_sub_nc_u32_e32 v116, v130, v131
	v_cndmask_b32_e64 v130, 0, 1, vcc_lo
	v_add_co_ci_u32_e32 v116, vcc_lo, 0, v116, vcc_lo
	s_delay_alu instid0(VALU_DEP_2)
	v_lshrrev_b32_e32 v128, v130, v128
; %bb.3231:                             ;   in Loop: Header=BB4_3075 Depth=2
	s_and_not1_saveexec_b32 s7, s7
; %bb.3232:                             ;   in Loop: Header=BB4_3075 Depth=2
	s_delay_alu instid0(VALU_DEP_1)
	v_bfe_u32 v116, v128, 23, 1
; %bb.3233:                             ;   in Loop: Header=BB4_3075 Depth=2
	s_or_b32 exec_lo, exec_lo, s7
	v_lshrrev_b32_e32 v128, 21, v128
	s_delay_alu instid0(VALU_DEP_2) | instskip(SKIP_2) | instid1(VALU_DEP_2)
	v_cmp_gt_i32_e32 vcc_lo, 32, v116
	v_lshrrev_b32_e32 v117, 24, v117
	v_min_i32_e32 v130, 31, v116
	v_dual_cndmask_b32 v128, 3, v128 :: v_dual_and_b32 v117, 0x80, v117
	s_delay_alu instid0(VALU_DEP_2) | instskip(NEXT) | instid1(VALU_DEP_2)
	v_lshlrev_b32_e32 v130, 2, v130
	v_or_b32_e32 v116, v116, v128
	s_delay_alu instid0(VALU_DEP_1) | instskip(SKIP_1) | instid1(VALU_DEP_1)
	v_cmp_ne_u32_e32 vcc_lo, 0, v116
	v_and_b32_e32 v131, 3, v128
	v_or3_b32 v117, v130, v117, v131
	s_delay_alu instid0(VALU_DEP_1)
	v_cndmask_b32_e32 v116, 0, v117, vcc_lo
.LBB4_3234:                             ;   in Loop: Header=BB4_3075 Depth=2
	s_or_b32 exec_lo, exec_lo, s24
.LBB4_3235:                             ;   in Loop: Header=BB4_3075 Depth=2
	s_delay_alu instid0(SALU_CYCLE_1) | instskip(SKIP_3) | instid1(VALU_DEP_1)
	s_or_b32 exec_lo, exec_lo, s23
	v_and_b32_e32 v128, 0xff, v114
	s_mov_b32 s7, 0
	s_mov_b32 s24, exec_lo
                                        ; implicit-def: $sgpr23
	v_cmpx_lt_i16_e64 0x7f, v128
	s_xor_b32 s24, exec_lo, s24
	s_cbranch_execnz .LBB4_3409
; %bb.3236:                             ;   in Loop: Header=BB4_3075 Depth=2
	s_or_saveexec_b32 s24, s24
	v_mov_b32_e32 v117, s23
	s_xor_b32 exec_lo, exec_lo, s24
	s_cbranch_execnz .LBB4_3412
.LBB4_3237:                             ;   in Loop: Header=BB4_3075 Depth=2
	s_or_b32 exec_lo, exec_lo, s24
	s_and_saveexec_b32 s23, s7
	s_cbranch_execz .LBB4_3239
.LBB4_3238:                             ;   in Loop: Header=BB4_3075 Depth=2
	v_lshrrev_b16 v131, 2, v114
	s_delay_alu instid0(VALU_DEP_1) | instskip(NEXT) | instid1(VALU_DEP_1)
	v_and_b32_e32 v131, 31, v131
	v_cmp_eq_u32_e32 vcc_lo, 0, v131
	v_and_b32_e32 v117, 3, v114
	s_delay_alu instid0(VALU_DEP_1) | instskip(NEXT) | instid1(VALU_DEP_1)
	v_clz_i32_u32_e32 v128, v117
	v_min_u32_e32 v128, 32, v128
	s_delay_alu instid0(VALU_DEP_1) | instskip(SKIP_1) | instid1(VALU_DEP_2)
	v_subrev_nc_u32_e32 v130, 29, v128
	v_sub_nc_u32_e32 v128, 30, v128
	v_lshlrev_b32_e32 v130, v130, v114
	s_delay_alu instid0(VALU_DEP_2) | instskip(SKIP_1) | instid1(VALU_DEP_3)
	v_cndmask_b32_e32 v128, v131, v128, vcc_lo
	v_lshlrev_b32_e32 v114, 24, v114
	v_and_b32_e32 v130, 3, v130
	s_delay_alu instid0(VALU_DEP_3) | instskip(NEXT) | instid1(VALU_DEP_3)
	v_lshl_add_u32 v128, v128, 23, 0x37800000
	v_and_b32_e32 v114, 0x80000000, v114
	s_delay_alu instid0(VALU_DEP_3) | instskip(NEXT) | instid1(VALU_DEP_1)
	v_cndmask_b32_e32 v117, v117, v130, vcc_lo
	v_lshlrev_b32_e32 v117, 21, v117
	s_delay_alu instid0(VALU_DEP_1)
	v_or3_b32 v117, v114, v128, v117
.LBB4_3239:                             ;   in Loop: Header=BB4_3075 Depth=2
	s_or_b32 exec_lo, exec_lo, s23
	s_waitcnt vmcnt(5) lgkmcnt(5)
	v_and_b32_e32 v128, 0xff, v113
	s_mov_b32 s7, 0
	s_mov_b32 s24, exec_lo
                                        ; implicit-def: $sgpr23
	s_delay_alu instid0(VALU_DEP_1)
	v_cmpx_lt_i16_e64 0x7f, v128
	s_xor_b32 s24, exec_lo, s24
	s_cbranch_execnz .LBB4_3413
; %bb.3240:                             ;   in Loop: Header=BB4_3075 Depth=2
	s_or_saveexec_b32 s24, s24
	v_mov_b32_e32 v114, s23
	s_xor_b32 exec_lo, exec_lo, s24
	s_cbranch_execnz .LBB4_3416
.LBB4_3241:                             ;   in Loop: Header=BB4_3075 Depth=2
	s_or_b32 exec_lo, exec_lo, s24
	s_and_saveexec_b32 s23, s7
	s_cbranch_execz .LBB4_3243
.LBB4_3242:                             ;   in Loop: Header=BB4_3075 Depth=2
	v_and_b32_e32 v114, 3, v113
	v_lshrrev_b16 v131, 2, v113
	s_delay_alu instid0(VALU_DEP_2) | instskip(NEXT) | instid1(VALU_DEP_1)
	v_clz_i32_u32_e32 v128, v114
	v_min_u32_e32 v128, 32, v128
	s_delay_alu instid0(VALU_DEP_1) | instskip(SKIP_1) | instid1(VALU_DEP_2)
	v_subrev_nc_u32_e32 v130, 29, v128
	v_sub_nc_u32_e32 v128, 30, v128
	v_lshlrev_b32_e32 v130, v130, v113
	s_delay_alu instid0(VALU_DEP_1) | instskip(SKIP_1) | instid1(VALU_DEP_1)
	v_and_b32_e32 v130, 3, v130
	v_and_b32_e32 v131, 31, v131
	v_cmp_eq_u32_e32 vcc_lo, 0, v131
	s_delay_alu instid0(VALU_DEP_3) | instskip(SKIP_1) | instid1(VALU_DEP_2)
	v_dual_cndmask_b32 v114, v114, v130 :: v_dual_lshlrev_b32 v113, 24, v113
	v_cndmask_b32_e32 v128, v131, v128, vcc_lo
	v_lshlrev_b32_e32 v114, 21, v114
	s_delay_alu instid0(VALU_DEP_3) | instskip(NEXT) | instid1(VALU_DEP_3)
	v_and_b32_e32 v113, 0x80000000, v113
	v_lshl_add_u32 v128, v128, 23, 0x37800000
	s_delay_alu instid0(VALU_DEP_1)
	v_or3_b32 v114, v113, v128, v114
.LBB4_3243:                             ;   in Loop: Header=BB4_3075 Depth=2
	s_or_b32 exec_lo, exec_lo, s23
	s_delay_alu instid0(VALU_DEP_1) | instskip(NEXT) | instid1(VALU_DEP_1)
	v_mul_f32_e32 v114, v117, v114
	v_and_b32_e32 v113, 0x7f800000, v114
	s_delay_alu instid0(VALU_DEP_1)
	v_cmp_ne_u32_e32 vcc_lo, 0x7f800000, v113
	v_mov_b32_e32 v113, 0x80
	s_and_saveexec_b32 s23, vcc_lo
	s_cbranch_execz .LBB4_3251
; %bb.3244:                             ;   in Loop: Header=BB4_3075 Depth=2
	v_mov_b32_e32 v113, 0
	s_mov_b32 s24, exec_lo
	v_cmpx_ne_u32_e32 0, v114
	s_cbranch_execz .LBB4_3250
; %bb.3245:                             ;   in Loop: Header=BB4_3075 Depth=2
	v_bfe_u32 v113, v114, 23, 8
	s_delay_alu instid0(VALU_DEP_1) | instskip(SKIP_1) | instid1(VALU_DEP_2)
	v_sub_nc_u32_e32 v128, 0x70, v113
	v_cmp_gt_u32_e32 vcc_lo, 0x71, v113
	v_dual_cndmask_b32 v128, 0, v128 :: v_dual_and_b32 v117, 0x7fffff, v114
	s_delay_alu instid0(VALU_DEP_1) | instskip(SKIP_2) | instid1(VALU_DEP_4)
	v_or_b32_e32 v130, 0x800000, v117
	v_cmp_eq_u32_e32 vcc_lo, 0, v113
	v_add_nc_u32_e32 v113, 0xffffff91, v113
	v_cndmask_b32_e64 v128, v128, 0x6f, vcc_lo
	s_delay_alu instid0(VALU_DEP_4) | instskip(NEXT) | instid1(VALU_DEP_3)
	v_cndmask_b32_e32 v117, v130, v117, vcc_lo
	v_cndmask_b32_e64 v113, v113, 0xffffff92, vcc_lo
	s_delay_alu instid0(VALU_DEP_3) | instskip(NEXT) | instid1(VALU_DEP_3)
	v_lshl_add_u32 v130, 0x200000, v128, -1
	v_lshrrev_b32_e32 v131, v128, v117
	v_lshlrev_b32_e64 v133, v128, 0x100000
	s_delay_alu instid0(VALU_DEP_4) | instskip(NEXT) | instid1(VALU_DEP_4)
	v_add_nc_u32_e32 v128, v128, v113
	v_and_b32_e32 v117, v130, v117
	s_delay_alu instid0(VALU_DEP_4) | instskip(NEXT) | instid1(VALU_DEP_2)
	v_bfe_u32 v132, v131, 21, 1
	v_cmp_eq_u32_e64 s7, v117, v133
	s_delay_alu instid0(VALU_DEP_2) | instskip(NEXT) | instid1(VALU_DEP_1)
	v_add_nc_u32_e32 v130, -1, v132
	v_cndmask_b32_e64 v117, 0, v130, s7
	v_lshrrev_b32_e32 v130, 23, v131
	s_mov_b32 s7, exec_lo
	s_delay_alu instid0(VALU_DEP_2) | instskip(NEXT) | instid1(VALU_DEP_2)
	v_add_nc_u32_e32 v117, v117, v131
	v_xor_b32_e32 v130, 1, v130
	s_delay_alu instid0(VALU_DEP_2) | instskip(NEXT) | instid1(VALU_DEP_1)
	v_and_b32_e32 v113, 0x1fffff, v117
	v_add_nc_u32_e32 v117, v113, v131
                                        ; implicit-def: $vgpr113
	s_delay_alu instid0(VALU_DEP_3)
	v_cmpx_ne_u32_e64 v128, v130
	s_xor_b32 s7, exec_lo, s7
; %bb.3246:                             ;   in Loop: Header=BB4_3075 Depth=2
	s_delay_alu instid0(VALU_DEP_2) | instskip(SKIP_2) | instid1(VALU_DEP_2)
	v_cmp_lt_u32_e32 vcc_lo, 0xffffff, v117
	v_sub_nc_u32_e32 v113, v128, v130
	v_cndmask_b32_e64 v128, 0, 1, vcc_lo
	v_add_co_ci_u32_e32 v113, vcc_lo, 0, v113, vcc_lo
	s_delay_alu instid0(VALU_DEP_2)
	v_lshrrev_b32_e32 v117, v128, v117
; %bb.3247:                             ;   in Loop: Header=BB4_3075 Depth=2
	s_and_not1_saveexec_b32 s7, s7
; %bb.3248:                             ;   in Loop: Header=BB4_3075 Depth=2
	s_delay_alu instid0(VALU_DEP_1)
	v_bfe_u32 v113, v117, 23, 1
; %bb.3249:                             ;   in Loop: Header=BB4_3075 Depth=2
	s_or_b32 exec_lo, exec_lo, s7
	v_lshrrev_b32_e32 v117, 21, v117
	s_delay_alu instid0(VALU_DEP_2) | instskip(SKIP_2) | instid1(VALU_DEP_2)
	v_cmp_gt_i32_e32 vcc_lo, 32, v113
	v_lshrrev_b32_e32 v114, 24, v114
	v_min_i32_e32 v128, 31, v113
	v_dual_cndmask_b32 v117, 3, v117 :: v_dual_and_b32 v114, 0x80, v114
	s_delay_alu instid0(VALU_DEP_2) | instskip(NEXT) | instid1(VALU_DEP_2)
	v_lshlrev_b32_e32 v128, 2, v128
	v_or_b32_e32 v113, v113, v117
	s_delay_alu instid0(VALU_DEP_1) | instskip(SKIP_1) | instid1(VALU_DEP_1)
	v_cmp_ne_u32_e32 vcc_lo, 0, v113
	v_and_b32_e32 v130, 3, v117
	v_or3_b32 v114, v128, v114, v130
	s_delay_alu instid0(VALU_DEP_1)
	v_cndmask_b32_e32 v113, 0, v114, vcc_lo
.LBB4_3250:                             ;   in Loop: Header=BB4_3075 Depth=2
	s_or_b32 exec_lo, exec_lo, s24
.LBB4_3251:                             ;   in Loop: Header=BB4_3075 Depth=2
	s_delay_alu instid0(SALU_CYCLE_1) | instskip(SKIP_3) | instid1(VALU_DEP_1)
	s_or_b32 exec_lo, exec_lo, s23
	v_and_b32_e32 v117, 0xff, v103
	s_mov_b32 s7, 0
	s_mov_b32 s24, exec_lo
                                        ; implicit-def: $sgpr23
	v_cmpx_lt_i16_e32 0x7f, v117
	s_xor_b32 s24, exec_lo, s24
	s_cbranch_execnz .LBB4_3417
; %bb.3252:                             ;   in Loop: Header=BB4_3075 Depth=2
	s_or_saveexec_b32 s24, s24
	v_mov_b32_e32 v114, s23
	s_xor_b32 exec_lo, exec_lo, s24
	s_cbranch_execnz .LBB4_3420
.LBB4_3253:                             ;   in Loop: Header=BB4_3075 Depth=2
	s_or_b32 exec_lo, exec_lo, s24
	s_and_saveexec_b32 s23, s7
	s_cbranch_execz .LBB4_3255
.LBB4_3254:                             ;   in Loop: Header=BB4_3075 Depth=2
	v_lshrrev_b16 v130, 2, v103
	s_delay_alu instid0(VALU_DEP_1) | instskip(NEXT) | instid1(VALU_DEP_1)
	v_and_b32_e32 v130, 31, v130
	v_cmp_eq_u32_e32 vcc_lo, 0, v130
	v_and_b32_e32 v114, 3, v103
	s_delay_alu instid0(VALU_DEP_1) | instskip(NEXT) | instid1(VALU_DEP_1)
	v_clz_i32_u32_e32 v117, v114
	v_min_u32_e32 v117, 32, v117
	s_delay_alu instid0(VALU_DEP_1) | instskip(SKIP_1) | instid1(VALU_DEP_1)
	v_subrev_nc_u32_e32 v128, 29, v117
	v_sub_nc_u32_e32 v117, 30, v117
	v_dual_cndmask_b32 v117, v130, v117 :: v_dual_lshlrev_b32 v128, v128, v103
	s_delay_alu instid0(VALU_DEP_1) | instskip(SKIP_1) | instid1(VALU_DEP_3)
	v_and_b32_e32 v128, 3, v128
	v_lshlrev_b32_e32 v103, 24, v103
	v_lshl_add_u32 v117, v117, 23, 0x37800000
	s_delay_alu instid0(VALU_DEP_2) | instskip(NEXT) | instid1(VALU_DEP_1)
	v_dual_cndmask_b32 v114, v114, v128 :: v_dual_and_b32 v103, 0x80000000, v103
	v_lshlrev_b32_e32 v114, 21, v114
	s_delay_alu instid0(VALU_DEP_1)
	v_or3_b32 v114, v103, v117, v114
.LBB4_3255:                             ;   in Loop: Header=BB4_3075 Depth=2
	s_or_b32 exec_lo, exec_lo, s23
	s_waitcnt vmcnt(4) lgkmcnt(4)
	v_and_b32_e32 v117, 0xff, v102
	s_mov_b32 s7, 0
	s_mov_b32 s24, exec_lo
                                        ; implicit-def: $sgpr23
	s_delay_alu instid0(VALU_DEP_1)
	v_cmpx_lt_i16_e32 0x7f, v117
	s_xor_b32 s24, exec_lo, s24
	s_cbranch_execnz .LBB4_3421
; %bb.3256:                             ;   in Loop: Header=BB4_3075 Depth=2
	s_or_saveexec_b32 s24, s24
	v_mov_b32_e32 v103, s23
	s_xor_b32 exec_lo, exec_lo, s24
	s_cbranch_execnz .LBB4_3424
.LBB4_3257:                             ;   in Loop: Header=BB4_3075 Depth=2
	s_or_b32 exec_lo, exec_lo, s24
	s_and_saveexec_b32 s23, s7
	s_cbranch_execz .LBB4_3259
.LBB4_3258:                             ;   in Loop: Header=BB4_3075 Depth=2
	v_and_b32_e32 v103, 3, v102
	v_lshrrev_b16 v130, 2, v102
	s_delay_alu instid0(VALU_DEP_2) | instskip(NEXT) | instid1(VALU_DEP_2)
	v_clz_i32_u32_e32 v117, v103
	v_and_b32_e32 v130, 31, v130
	s_delay_alu instid0(VALU_DEP_2) | instskip(NEXT) | instid1(VALU_DEP_2)
	v_min_u32_e32 v117, 32, v117
	v_cmp_eq_u32_e32 vcc_lo, 0, v130
	s_delay_alu instid0(VALU_DEP_2) | instskip(SKIP_1) | instid1(VALU_DEP_1)
	v_subrev_nc_u32_e32 v128, 29, v117
	v_sub_nc_u32_e32 v117, 30, v117
	v_dual_cndmask_b32 v117, v130, v117 :: v_dual_lshlrev_b32 v128, v128, v102
	v_lshlrev_b32_e32 v102, 24, v102
	s_delay_alu instid0(VALU_DEP_2) | instskip(NEXT) | instid1(VALU_DEP_3)
	v_and_b32_e32 v128, 3, v128
	v_lshl_add_u32 v117, v117, 23, 0x37800000
	s_delay_alu instid0(VALU_DEP_2) | instskip(NEXT) | instid1(VALU_DEP_1)
	v_dual_cndmask_b32 v103, v103, v128 :: v_dual_and_b32 v102, 0x80000000, v102
	v_lshlrev_b32_e32 v103, 21, v103
	s_delay_alu instid0(VALU_DEP_1)
	v_or3_b32 v103, v102, v117, v103
.LBB4_3259:                             ;   in Loop: Header=BB4_3075 Depth=2
	s_or_b32 exec_lo, exec_lo, s23
	s_delay_alu instid0(VALU_DEP_1) | instskip(NEXT) | instid1(VALU_DEP_1)
	v_mul_f32_e32 v103, v114, v103
	v_and_b32_e32 v102, 0x7f800000, v103
	s_delay_alu instid0(VALU_DEP_1)
	v_cmp_ne_u32_e32 vcc_lo, 0x7f800000, v102
	v_mov_b32_e32 v102, 0x80
	s_and_saveexec_b32 s23, vcc_lo
	s_cbranch_execz .LBB4_3267
; %bb.3260:                             ;   in Loop: Header=BB4_3075 Depth=2
	v_mov_b32_e32 v102, 0
	s_mov_b32 s24, exec_lo
	v_cmpx_ne_u32_e32 0, v103
	s_cbranch_execz .LBB4_3266
; %bb.3261:                             ;   in Loop: Header=BB4_3075 Depth=2
	v_bfe_u32 v102, v103, 23, 8
	s_delay_alu instid0(VALU_DEP_1) | instskip(SKIP_1) | instid1(VALU_DEP_2)
	v_sub_nc_u32_e32 v117, 0x70, v102
	v_cmp_gt_u32_e32 vcc_lo, 0x71, v102
	v_dual_cndmask_b32 v117, 0, v117 :: v_dual_and_b32 v114, 0x7fffff, v103
	s_delay_alu instid0(VALU_DEP_1) | instskip(SKIP_2) | instid1(VALU_DEP_4)
	v_or_b32_e32 v128, 0x800000, v114
	v_cmp_eq_u32_e32 vcc_lo, 0, v102
	v_add_nc_u32_e32 v102, 0xffffff91, v102
	v_cndmask_b32_e64 v117, v117, 0x6f, vcc_lo
	s_delay_alu instid0(VALU_DEP_4) | instskip(NEXT) | instid1(VALU_DEP_3)
	v_cndmask_b32_e32 v114, v128, v114, vcc_lo
	v_cndmask_b32_e64 v102, v102, 0xffffff92, vcc_lo
	s_delay_alu instid0(VALU_DEP_3) | instskip(NEXT) | instid1(VALU_DEP_3)
	v_lshl_add_u32 v128, 0x200000, v117, -1
	v_lshrrev_b32_e32 v130, v117, v114
	v_lshlrev_b32_e64 v132, v117, 0x100000
	s_delay_alu instid0(VALU_DEP_4) | instskip(NEXT) | instid1(VALU_DEP_4)
	v_add_nc_u32_e32 v117, v117, v102
	v_and_b32_e32 v114, v128, v114
	s_delay_alu instid0(VALU_DEP_4) | instskip(NEXT) | instid1(VALU_DEP_2)
	v_bfe_u32 v131, v130, 21, 1
	v_cmp_eq_u32_e64 s7, v114, v132
	s_delay_alu instid0(VALU_DEP_2) | instskip(NEXT) | instid1(VALU_DEP_1)
	v_add_nc_u32_e32 v128, -1, v131
	v_cndmask_b32_e64 v114, 0, v128, s7
	v_lshrrev_b32_e32 v128, 23, v130
	s_mov_b32 s7, exec_lo
	s_delay_alu instid0(VALU_DEP_2) | instskip(NEXT) | instid1(VALU_DEP_2)
	v_add_nc_u32_e32 v114, v114, v130
	v_xor_b32_e32 v128, 1, v128
	s_delay_alu instid0(VALU_DEP_2) | instskip(NEXT) | instid1(VALU_DEP_1)
	v_and_b32_e32 v102, 0x1fffff, v114
	v_add_nc_u32_e32 v114, v102, v130
                                        ; implicit-def: $vgpr102
	s_delay_alu instid0(VALU_DEP_3)
	v_cmpx_ne_u32_e64 v117, v128
	s_xor_b32 s7, exec_lo, s7
; %bb.3262:                             ;   in Loop: Header=BB4_3075 Depth=2
	s_delay_alu instid0(VALU_DEP_2) | instskip(SKIP_2) | instid1(VALU_DEP_2)
	v_cmp_lt_u32_e32 vcc_lo, 0xffffff, v114
	v_sub_nc_u32_e32 v102, v117, v128
	v_cndmask_b32_e64 v117, 0, 1, vcc_lo
	v_add_co_ci_u32_e32 v102, vcc_lo, 0, v102, vcc_lo
	s_delay_alu instid0(VALU_DEP_2)
	v_lshrrev_b32_e32 v114, v117, v114
; %bb.3263:                             ;   in Loop: Header=BB4_3075 Depth=2
	s_and_not1_saveexec_b32 s7, s7
; %bb.3264:                             ;   in Loop: Header=BB4_3075 Depth=2
	s_delay_alu instid0(VALU_DEP_1)
	v_bfe_u32 v102, v114, 23, 1
; %bb.3265:                             ;   in Loop: Header=BB4_3075 Depth=2
	s_or_b32 exec_lo, exec_lo, s7
	v_lshrrev_b32_e32 v114, 21, v114
	s_delay_alu instid0(VALU_DEP_2) | instskip(SKIP_2) | instid1(VALU_DEP_2)
	v_cmp_gt_i32_e32 vcc_lo, 32, v102
	v_lshrrev_b32_e32 v103, 24, v103
	v_min_i32_e32 v117, 31, v102
	v_dual_cndmask_b32 v114, 3, v114 :: v_dual_and_b32 v103, 0x80, v103
	s_delay_alu instid0(VALU_DEP_1) | instskip(SKIP_1) | instid1(VALU_DEP_2)
	v_or_b32_e32 v102, v102, v114
	v_and_b32_e32 v128, 3, v114
	v_cmp_ne_u32_e32 vcc_lo, 0, v102
	v_lshlrev_b32_e32 v117, 2, v117
	s_delay_alu instid0(VALU_DEP_1) | instskip(NEXT) | instid1(VALU_DEP_1)
	v_or3_b32 v103, v117, v103, v128
	v_cndmask_b32_e32 v102, 0, v103, vcc_lo
.LBB4_3266:                             ;   in Loop: Header=BB4_3075 Depth=2
	s_or_b32 exec_lo, exec_lo, s24
.LBB4_3267:                             ;   in Loop: Header=BB4_3075 Depth=2
	s_delay_alu instid0(SALU_CYCLE_1) | instskip(SKIP_3) | instid1(VALU_DEP_1)
	s_or_b32 exec_lo, exec_lo, s23
	v_and_b32_e32 v114, 0xff, v69
	s_mov_b32 s7, 0
	s_mov_b32 s24, exec_lo
                                        ; implicit-def: $sgpr23
	v_cmpx_lt_i16_e32 0x7f, v114
	s_xor_b32 s24, exec_lo, s24
	s_cbranch_execnz .LBB4_3425
; %bb.3268:                             ;   in Loop: Header=BB4_3075 Depth=2
	s_or_saveexec_b32 s24, s24
	v_mov_b32_e32 v103, s23
	s_xor_b32 exec_lo, exec_lo, s24
	s_cbranch_execnz .LBB4_3428
.LBB4_3269:                             ;   in Loop: Header=BB4_3075 Depth=2
	s_or_b32 exec_lo, exec_lo, s24
	s_and_saveexec_b32 s23, s7
	s_cbranch_execz .LBB4_3271
.LBB4_3270:                             ;   in Loop: Header=BB4_3075 Depth=2
	v_lshrrev_b16 v128, 2, v69
	s_delay_alu instid0(VALU_DEP_1) | instskip(NEXT) | instid1(VALU_DEP_1)
	v_and_b32_e32 v128, 31, v128
	v_cmp_eq_u32_e32 vcc_lo, 0, v128
	v_and_b32_e32 v103, 3, v69
	s_delay_alu instid0(VALU_DEP_1) | instskip(NEXT) | instid1(VALU_DEP_1)
	v_clz_i32_u32_e32 v114, v103
	v_min_u32_e32 v114, 32, v114
	s_delay_alu instid0(VALU_DEP_1) | instskip(SKIP_1) | instid1(VALU_DEP_1)
	v_subrev_nc_u32_e32 v117, 29, v114
	v_sub_nc_u32_e32 v114, 30, v114
	v_dual_cndmask_b32 v114, v128, v114 :: v_dual_lshlrev_b32 v117, v117, v69
	v_lshlrev_b32_e32 v69, 24, v69
	s_delay_alu instid0(VALU_DEP_2) | instskip(NEXT) | instid1(VALU_DEP_3)
	v_and_b32_e32 v117, 3, v117
	v_lshl_add_u32 v114, v114, 23, 0x37800000
	s_delay_alu instid0(VALU_DEP_3) | instskip(NEXT) | instid1(VALU_DEP_3)
	v_and_b32_e32 v69, 0x80000000, v69
	v_cndmask_b32_e32 v103, v103, v117, vcc_lo
	s_delay_alu instid0(VALU_DEP_1) | instskip(NEXT) | instid1(VALU_DEP_1)
	v_lshlrev_b32_e32 v103, 21, v103
	v_or3_b32 v103, v69, v114, v103
.LBB4_3271:                             ;   in Loop: Header=BB4_3075 Depth=2
	s_or_b32 exec_lo, exec_lo, s23
	s_waitcnt vmcnt(3) lgkmcnt(3)
	v_and_b32_e32 v114, 0xff, v68
	s_mov_b32 s7, 0
	s_mov_b32 s24, exec_lo
                                        ; implicit-def: $sgpr23
	s_delay_alu instid0(VALU_DEP_1)
	v_cmpx_lt_i16_e32 0x7f, v114
	s_xor_b32 s24, exec_lo, s24
	s_cbranch_execnz .LBB4_3429
; %bb.3272:                             ;   in Loop: Header=BB4_3075 Depth=2
	s_or_saveexec_b32 s24, s24
	v_mov_b32_e32 v69, s23
	s_xor_b32 exec_lo, exec_lo, s24
	s_cbranch_execnz .LBB4_3432
.LBB4_3273:                             ;   in Loop: Header=BB4_3075 Depth=2
	s_or_b32 exec_lo, exec_lo, s24
	s_and_saveexec_b32 s23, s7
	s_cbranch_execz .LBB4_3275
.LBB4_3274:                             ;   in Loop: Header=BB4_3075 Depth=2
	v_lshrrev_b16 v128, 2, v68
	s_delay_alu instid0(VALU_DEP_1) | instskip(NEXT) | instid1(VALU_DEP_1)
	v_and_b32_e32 v128, 31, v128
	v_cmp_eq_u32_e32 vcc_lo, 0, v128
	v_and_b32_e32 v69, 3, v68
	s_delay_alu instid0(VALU_DEP_1) | instskip(NEXT) | instid1(VALU_DEP_1)
	v_clz_i32_u32_e32 v114, v69
	v_min_u32_e32 v114, 32, v114
	s_delay_alu instid0(VALU_DEP_1) | instskip(SKIP_1) | instid1(VALU_DEP_1)
	v_subrev_nc_u32_e32 v117, 29, v114
	v_sub_nc_u32_e32 v114, 30, v114
	v_dual_cndmask_b32 v114, v128, v114 :: v_dual_lshlrev_b32 v117, v117, v68
	v_lshlrev_b32_e32 v68, 24, v68
	s_delay_alu instid0(VALU_DEP_2) | instskip(NEXT) | instid1(VALU_DEP_3)
	v_and_b32_e32 v117, 3, v117
	v_lshl_add_u32 v114, v114, 23, 0x37800000
	s_delay_alu instid0(VALU_DEP_2) | instskip(NEXT) | instid1(VALU_DEP_1)
	v_dual_cndmask_b32 v69, v69, v117 :: v_dual_and_b32 v68, 0x80000000, v68
	v_lshlrev_b32_e32 v69, 21, v69
	s_delay_alu instid0(VALU_DEP_1)
	v_or3_b32 v69, v68, v114, v69
.LBB4_3275:                             ;   in Loop: Header=BB4_3075 Depth=2
	s_or_b32 exec_lo, exec_lo, s23
	s_delay_alu instid0(VALU_DEP_1) | instskip(NEXT) | instid1(VALU_DEP_1)
	v_mul_f32_e32 v69, v103, v69
	v_and_b32_e32 v68, 0x7f800000, v69
	s_delay_alu instid0(VALU_DEP_1)
	v_cmp_ne_u32_e32 vcc_lo, 0x7f800000, v68
	v_mov_b32_e32 v68, 0x80
	s_and_saveexec_b32 s23, vcc_lo
	s_cbranch_execz .LBB4_3283
; %bb.3276:                             ;   in Loop: Header=BB4_3075 Depth=2
	v_mov_b32_e32 v68, 0
	s_mov_b32 s24, exec_lo
	v_cmpx_ne_u32_e32 0, v69
	s_cbranch_execz .LBB4_3282
; %bb.3277:                             ;   in Loop: Header=BB4_3075 Depth=2
	v_bfe_u32 v68, v69, 23, 8
	s_delay_alu instid0(VALU_DEP_1) | instskip(SKIP_1) | instid1(VALU_DEP_2)
	v_sub_nc_u32_e32 v114, 0x70, v68
	v_cmp_gt_u32_e32 vcc_lo, 0x71, v68
	v_dual_cndmask_b32 v114, 0, v114 :: v_dual_and_b32 v103, 0x7fffff, v69
	s_delay_alu instid0(VALU_DEP_1) | instskip(SKIP_2) | instid1(VALU_DEP_4)
	v_or_b32_e32 v117, 0x800000, v103
	v_cmp_eq_u32_e32 vcc_lo, 0, v68
	v_add_nc_u32_e32 v68, 0xffffff91, v68
	v_cndmask_b32_e64 v114, v114, 0x6f, vcc_lo
	s_delay_alu instid0(VALU_DEP_4) | instskip(NEXT) | instid1(VALU_DEP_3)
	v_cndmask_b32_e32 v103, v117, v103, vcc_lo
	v_cndmask_b32_e64 v68, v68, 0xffffff92, vcc_lo
	s_delay_alu instid0(VALU_DEP_3) | instskip(NEXT) | instid1(VALU_DEP_3)
	v_lshl_add_u32 v117, 0x200000, v114, -1
	v_lshrrev_b32_e32 v128, v114, v103
	v_lshlrev_b32_e64 v131, v114, 0x100000
	s_delay_alu instid0(VALU_DEP_4) | instskip(NEXT) | instid1(VALU_DEP_4)
	v_add_nc_u32_e32 v114, v114, v68
	v_and_b32_e32 v103, v117, v103
	s_delay_alu instid0(VALU_DEP_4) | instskip(NEXT) | instid1(VALU_DEP_2)
	v_bfe_u32 v130, v128, 21, 1
	v_cmp_eq_u32_e64 s7, v103, v131
	s_delay_alu instid0(VALU_DEP_2) | instskip(NEXT) | instid1(VALU_DEP_1)
	v_add_nc_u32_e32 v117, -1, v130
	v_cndmask_b32_e64 v103, 0, v117, s7
	v_lshrrev_b32_e32 v117, 23, v128
	s_mov_b32 s7, exec_lo
	s_delay_alu instid0(VALU_DEP_2) | instskip(NEXT) | instid1(VALU_DEP_2)
	v_add_nc_u32_e32 v103, v103, v128
	v_xor_b32_e32 v117, 1, v117
	s_delay_alu instid0(VALU_DEP_2) | instskip(NEXT) | instid1(VALU_DEP_1)
	v_and_b32_e32 v68, 0x1fffff, v103
	v_add_nc_u32_e32 v103, v68, v128
                                        ; implicit-def: $vgpr68
	s_delay_alu instid0(VALU_DEP_3)
	v_cmpx_ne_u32_e64 v114, v117
	s_xor_b32 s7, exec_lo, s7
; %bb.3278:                             ;   in Loop: Header=BB4_3075 Depth=2
	s_delay_alu instid0(VALU_DEP_2) | instskip(SKIP_2) | instid1(VALU_DEP_2)
	v_cmp_lt_u32_e32 vcc_lo, 0xffffff, v103
	v_sub_nc_u32_e32 v68, v114, v117
	v_cndmask_b32_e64 v114, 0, 1, vcc_lo
	v_add_co_ci_u32_e32 v68, vcc_lo, 0, v68, vcc_lo
	s_delay_alu instid0(VALU_DEP_2)
	v_lshrrev_b32_e32 v103, v114, v103
; %bb.3279:                             ;   in Loop: Header=BB4_3075 Depth=2
	s_and_not1_saveexec_b32 s7, s7
; %bb.3280:                             ;   in Loop: Header=BB4_3075 Depth=2
	s_delay_alu instid0(VALU_DEP_1)
	v_bfe_u32 v68, v103, 23, 1
; %bb.3281:                             ;   in Loop: Header=BB4_3075 Depth=2
	s_or_b32 exec_lo, exec_lo, s7
	v_lshrrev_b32_e32 v103, 21, v103
	s_delay_alu instid0(VALU_DEP_2) | instskip(SKIP_2) | instid1(VALU_DEP_2)
	v_cmp_gt_i32_e32 vcc_lo, 32, v68
	v_min_i32_e32 v114, 31, v68
	v_lshrrev_b32_e32 v69, 24, v69
	v_dual_cndmask_b32 v103, 3, v103 :: v_dual_lshlrev_b32 v114, 2, v114
	s_delay_alu instid0(VALU_DEP_2) | instskip(NEXT) | instid1(VALU_DEP_2)
	v_and_b32_e32 v69, 0x80, v69
	v_or_b32_e32 v68, v68, v103
	s_delay_alu instid0(VALU_DEP_1) | instskip(SKIP_1) | instid1(VALU_DEP_1)
	v_cmp_ne_u32_e32 vcc_lo, 0, v68
	v_and_b32_e32 v117, 3, v103
	v_or3_b32 v69, v114, v69, v117
	s_delay_alu instid0(VALU_DEP_1)
	v_cndmask_b32_e32 v68, 0, v69, vcc_lo
.LBB4_3282:                             ;   in Loop: Header=BB4_3075 Depth=2
	s_or_b32 exec_lo, exec_lo, s24
.LBB4_3283:                             ;   in Loop: Header=BB4_3075 Depth=2
	s_delay_alu instid0(SALU_CYCLE_1) | instskip(SKIP_3) | instid1(VALU_DEP_1)
	s_or_b32 exec_lo, exec_lo, s23
	v_and_b32_e32 v103, 0xff, v66
	s_mov_b32 s7, 0
	s_mov_b32 s24, exec_lo
                                        ; implicit-def: $sgpr23
	v_cmpx_lt_i16_e32 0x7f, v103
	s_xor_b32 s24, exec_lo, s24
	s_cbranch_execnz .LBB4_3433
; %bb.3284:                             ;   in Loop: Header=BB4_3075 Depth=2
	s_or_saveexec_b32 s24, s24
	v_mov_b32_e32 v69, s23
	s_xor_b32 exec_lo, exec_lo, s24
	s_cbranch_execnz .LBB4_3436
.LBB4_3285:                             ;   in Loop: Header=BB4_3075 Depth=2
	s_or_b32 exec_lo, exec_lo, s24
	s_and_saveexec_b32 s23, s7
	s_cbranch_execz .LBB4_3287
.LBB4_3286:                             ;   in Loop: Header=BB4_3075 Depth=2
	v_and_b32_e32 v69, 3, v66
	v_lshrrev_b16 v117, 2, v66
	s_delay_alu instid0(VALU_DEP_2) | instskip(NEXT) | instid1(VALU_DEP_2)
	v_clz_i32_u32_e32 v103, v69
	v_and_b32_e32 v117, 31, v117
	s_delay_alu instid0(VALU_DEP_2) | instskip(NEXT) | instid1(VALU_DEP_2)
	v_min_u32_e32 v103, 32, v103
	v_cmp_eq_u32_e32 vcc_lo, 0, v117
	s_delay_alu instid0(VALU_DEP_2) | instskip(SKIP_1) | instid1(VALU_DEP_1)
	v_subrev_nc_u32_e32 v114, 29, v103
	v_sub_nc_u32_e32 v103, 30, v103
	v_dual_cndmask_b32 v103, v117, v103 :: v_dual_lshlrev_b32 v114, v114, v66
	v_lshlrev_b32_e32 v66, 24, v66
	s_delay_alu instid0(VALU_DEP_2) | instskip(NEXT) | instid1(VALU_DEP_3)
	v_and_b32_e32 v114, 3, v114
	v_lshl_add_u32 v103, v103, 23, 0x37800000
	s_delay_alu instid0(VALU_DEP_3) | instskip(NEXT) | instid1(VALU_DEP_3)
	v_and_b32_e32 v66, 0x80000000, v66
	v_cndmask_b32_e32 v69, v69, v114, vcc_lo
	s_delay_alu instid0(VALU_DEP_1) | instskip(NEXT) | instid1(VALU_DEP_1)
	v_lshlrev_b32_e32 v69, 21, v69
	v_or3_b32 v69, v66, v103, v69
.LBB4_3287:                             ;   in Loop: Header=BB4_3075 Depth=2
	s_or_b32 exec_lo, exec_lo, s23
	s_waitcnt vmcnt(2) lgkmcnt(2)
	v_and_b32_e32 v103, 0xff, v65
	s_mov_b32 s7, 0
	s_mov_b32 s24, exec_lo
                                        ; implicit-def: $sgpr23
	s_delay_alu instid0(VALU_DEP_1)
	v_cmpx_lt_i16_e32 0x7f, v103
	s_xor_b32 s24, exec_lo, s24
	s_cbranch_execnz .LBB4_3437
; %bb.3288:                             ;   in Loop: Header=BB4_3075 Depth=2
	s_or_saveexec_b32 s24, s24
	v_mov_b32_e32 v66, s23
	s_xor_b32 exec_lo, exec_lo, s24
	s_cbranch_execnz .LBB4_3440
.LBB4_3289:                             ;   in Loop: Header=BB4_3075 Depth=2
	s_or_b32 exec_lo, exec_lo, s24
	s_and_saveexec_b32 s23, s7
	s_cbranch_execz .LBB4_3291
.LBB4_3290:                             ;   in Loop: Header=BB4_3075 Depth=2
	v_lshrrev_b16 v117, 2, v65
	s_delay_alu instid0(VALU_DEP_1) | instskip(NEXT) | instid1(VALU_DEP_1)
	v_and_b32_e32 v117, 31, v117
	v_cmp_eq_u32_e32 vcc_lo, 0, v117
	v_and_b32_e32 v66, 3, v65
	s_delay_alu instid0(VALU_DEP_1) | instskip(NEXT) | instid1(VALU_DEP_1)
	v_clz_i32_u32_e32 v103, v66
	v_min_u32_e32 v103, 32, v103
	s_delay_alu instid0(VALU_DEP_1) | instskip(SKIP_1) | instid1(VALU_DEP_1)
	v_subrev_nc_u32_e32 v114, 29, v103
	v_sub_nc_u32_e32 v103, 30, v103
	v_dual_cndmask_b32 v103, v117, v103 :: v_dual_lshlrev_b32 v114, v114, v65
	v_lshlrev_b32_e32 v65, 24, v65
	s_delay_alu instid0(VALU_DEP_2) | instskip(NEXT) | instid1(VALU_DEP_3)
	v_and_b32_e32 v114, 3, v114
	v_lshl_add_u32 v103, v103, 23, 0x37800000
	s_delay_alu instid0(VALU_DEP_2) | instskip(NEXT) | instid1(VALU_DEP_1)
	v_dual_cndmask_b32 v66, v66, v114 :: v_dual_and_b32 v65, 0x80000000, v65
	v_lshlrev_b32_e32 v66, 21, v66
	s_delay_alu instid0(VALU_DEP_1)
	v_or3_b32 v66, v65, v103, v66
.LBB4_3291:                             ;   in Loop: Header=BB4_3075 Depth=2
	s_or_b32 exec_lo, exec_lo, s23
	s_delay_alu instid0(VALU_DEP_1) | instskip(NEXT) | instid1(VALU_DEP_1)
	v_mul_f32_e32 v66, v69, v66
	v_and_b32_e32 v65, 0x7f800000, v66
	s_delay_alu instid0(VALU_DEP_1)
	v_cmp_ne_u32_e32 vcc_lo, 0x7f800000, v65
	v_mov_b32_e32 v65, 0x80
	s_and_saveexec_b32 s23, vcc_lo
	s_cbranch_execz .LBB4_3299
; %bb.3292:                             ;   in Loop: Header=BB4_3075 Depth=2
	v_mov_b32_e32 v65, 0
	s_mov_b32 s24, exec_lo
	v_cmpx_ne_u32_e32 0, v66
	s_cbranch_execz .LBB4_3298
; %bb.3293:                             ;   in Loop: Header=BB4_3075 Depth=2
	v_bfe_u32 v65, v66, 23, 8
	v_and_b32_e32 v69, 0x7fffff, v66
	s_delay_alu instid0(VALU_DEP_2) | instskip(SKIP_1) | instid1(VALU_DEP_3)
	v_sub_nc_u32_e32 v103, 0x70, v65
	v_cmp_gt_u32_e32 vcc_lo, 0x71, v65
	v_or_b32_e32 v114, 0x800000, v69
	s_delay_alu instid0(VALU_DEP_3) | instskip(SKIP_2) | instid1(VALU_DEP_3)
	v_cndmask_b32_e32 v103, 0, v103, vcc_lo
	v_cmp_eq_u32_e32 vcc_lo, 0, v65
	v_add_nc_u32_e32 v65, 0xffffff91, v65
	v_cndmask_b32_e64 v103, v103, 0x6f, vcc_lo
	v_cndmask_b32_e32 v69, v114, v69, vcc_lo
	s_delay_alu instid0(VALU_DEP_3) | instskip(NEXT) | instid1(VALU_DEP_3)
	v_cndmask_b32_e64 v65, v65, 0xffffff92, vcc_lo
	v_lshl_add_u32 v114, 0x200000, v103, -1
	s_delay_alu instid0(VALU_DEP_3) | instskip(SKIP_1) | instid1(VALU_DEP_4)
	v_lshrrev_b32_e32 v117, v103, v69
	v_lshlrev_b32_e64 v130, v103, 0x100000
	v_add_nc_u32_e32 v103, v103, v65
	s_delay_alu instid0(VALU_DEP_4) | instskip(NEXT) | instid1(VALU_DEP_4)
	v_and_b32_e32 v69, v114, v69
	v_bfe_u32 v128, v117, 21, 1
	s_delay_alu instid0(VALU_DEP_2) | instskip(NEXT) | instid1(VALU_DEP_2)
	v_cmp_eq_u32_e64 s7, v69, v130
	v_add_nc_u32_e32 v114, -1, v128
	s_delay_alu instid0(VALU_DEP_1) | instskip(SKIP_2) | instid1(VALU_DEP_2)
	v_cndmask_b32_e64 v69, 0, v114, s7
	v_lshrrev_b32_e32 v114, 23, v117
	s_mov_b32 s7, exec_lo
	v_add_nc_u32_e32 v69, v69, v117
	s_delay_alu instid0(VALU_DEP_2) | instskip(NEXT) | instid1(VALU_DEP_2)
	v_xor_b32_e32 v114, 1, v114
	v_and_b32_e32 v65, 0x1fffff, v69
	s_delay_alu instid0(VALU_DEP_1) | instskip(NEXT) | instid1(VALU_DEP_3)
	v_add_nc_u32_e32 v69, v65, v117
                                        ; implicit-def: $vgpr65
	v_cmpx_ne_u32_e64 v103, v114
	s_xor_b32 s7, exec_lo, s7
; %bb.3294:                             ;   in Loop: Header=BB4_3075 Depth=2
	s_delay_alu instid0(VALU_DEP_2) | instskip(SKIP_2) | instid1(VALU_DEP_2)
	v_cmp_lt_u32_e32 vcc_lo, 0xffffff, v69
	v_sub_nc_u32_e32 v65, v103, v114
	v_cndmask_b32_e64 v103, 0, 1, vcc_lo
	v_add_co_ci_u32_e32 v65, vcc_lo, 0, v65, vcc_lo
	s_delay_alu instid0(VALU_DEP_2)
	v_lshrrev_b32_e32 v69, v103, v69
; %bb.3295:                             ;   in Loop: Header=BB4_3075 Depth=2
	s_and_not1_saveexec_b32 s7, s7
; %bb.3296:                             ;   in Loop: Header=BB4_3075 Depth=2
	s_delay_alu instid0(VALU_DEP_1)
	v_bfe_u32 v65, v69, 23, 1
; %bb.3297:                             ;   in Loop: Header=BB4_3075 Depth=2
	s_or_b32 exec_lo, exec_lo, s7
	v_lshrrev_b32_e32 v69, 21, v69
	s_delay_alu instid0(VALU_DEP_2) | instskip(SKIP_2) | instid1(VALU_DEP_2)
	v_cmp_gt_i32_e32 vcc_lo, 32, v65
	v_lshrrev_b32_e32 v66, 24, v66
	v_min_i32_e32 v103, 31, v65
	v_dual_cndmask_b32 v69, 3, v69 :: v_dual_and_b32 v66, 0x80, v66
	s_delay_alu instid0(VALU_DEP_2) | instskip(NEXT) | instid1(VALU_DEP_2)
	v_lshlrev_b32_e32 v103, 2, v103
	v_or_b32_e32 v65, v65, v69
	s_delay_alu instid0(VALU_DEP_1) | instskip(SKIP_1) | instid1(VALU_DEP_1)
	v_cmp_ne_u32_e32 vcc_lo, 0, v65
	v_and_b32_e32 v114, 3, v69
	v_or3_b32 v66, v103, v66, v114
	s_delay_alu instid0(VALU_DEP_1)
	v_cndmask_b32_e32 v65, 0, v66, vcc_lo
.LBB4_3298:                             ;   in Loop: Header=BB4_3075 Depth=2
	s_or_b32 exec_lo, exec_lo, s24
.LBB4_3299:                             ;   in Loop: Header=BB4_3075 Depth=2
	s_delay_alu instid0(SALU_CYCLE_1) | instskip(SKIP_3) | instid1(VALU_DEP_1)
	s_or_b32 exec_lo, exec_lo, s23
	v_and_b32_e32 v69, 0xff, v25
	s_mov_b32 s7, 0
	s_mov_b32 s24, exec_lo
                                        ; implicit-def: $sgpr23
	v_cmpx_lt_i16_e32 0x7f, v69
	s_xor_b32 s24, exec_lo, s24
	s_cbranch_execnz .LBB4_3441
; %bb.3300:                             ;   in Loop: Header=BB4_3075 Depth=2
	s_or_saveexec_b32 s24, s24
	v_mov_b32_e32 v66, s23
	s_xor_b32 exec_lo, exec_lo, s24
	s_cbranch_execnz .LBB4_3444
.LBB4_3301:                             ;   in Loop: Header=BB4_3075 Depth=2
	s_or_b32 exec_lo, exec_lo, s24
	s_and_saveexec_b32 s23, s7
	s_cbranch_execz .LBB4_3303
.LBB4_3302:                             ;   in Loop: Header=BB4_3075 Depth=2
	v_and_b32_e32 v66, 3, v25
	v_lshrrev_b16 v114, 2, v25
	s_delay_alu instid0(VALU_DEP_2) | instskip(NEXT) | instid1(VALU_DEP_2)
	v_clz_i32_u32_e32 v69, v66
	v_and_b32_e32 v114, 31, v114
	s_delay_alu instid0(VALU_DEP_2) | instskip(NEXT) | instid1(VALU_DEP_2)
	v_min_u32_e32 v69, 32, v69
	v_cmp_eq_u32_e32 vcc_lo, 0, v114
	s_delay_alu instid0(VALU_DEP_2) | instskip(SKIP_1) | instid1(VALU_DEP_2)
	v_subrev_nc_u32_e32 v103, 29, v69
	v_sub_nc_u32_e32 v69, 30, v69
	v_lshlrev_b32_e32 v103, v103, v25
	s_delay_alu instid0(VALU_DEP_1) | instskip(NEXT) | instid1(VALU_DEP_1)
	v_and_b32_e32 v103, 3, v103
	v_dual_cndmask_b32 v66, v66, v103 :: v_dual_lshlrev_b32 v25, 24, v25
	s_delay_alu instid0(VALU_DEP_4) | instskip(NEXT) | instid1(VALU_DEP_2)
	v_cndmask_b32_e32 v69, v114, v69, vcc_lo
	v_and_b32_e32 v25, 0x80000000, v25
	s_delay_alu instid0(VALU_DEP_3) | instskip(NEXT) | instid1(VALU_DEP_3)
	v_lshlrev_b32_e32 v66, 21, v66
	v_lshl_add_u32 v69, v69, 23, 0x37800000
	s_delay_alu instid0(VALU_DEP_1)
	v_or3_b32 v66, v25, v69, v66
.LBB4_3303:                             ;   in Loop: Header=BB4_3075 Depth=2
	s_or_b32 exec_lo, exec_lo, s23
	s_waitcnt vmcnt(1) lgkmcnt(1)
	v_and_b32_e32 v69, 0xff, v24
	s_mov_b32 s7, 0
	s_mov_b32 s24, exec_lo
                                        ; implicit-def: $sgpr23
	s_delay_alu instid0(VALU_DEP_1)
	v_cmpx_lt_i16_e32 0x7f, v69
	s_xor_b32 s24, exec_lo, s24
	s_cbranch_execnz .LBB4_3445
; %bb.3304:                             ;   in Loop: Header=BB4_3075 Depth=2
	s_or_saveexec_b32 s24, s24
	v_mov_b32_e32 v25, s23
	s_xor_b32 exec_lo, exec_lo, s24
	s_cbranch_execnz .LBB4_3448
.LBB4_3305:                             ;   in Loop: Header=BB4_3075 Depth=2
	s_or_b32 exec_lo, exec_lo, s24
	s_and_saveexec_b32 s23, s7
	s_cbranch_execz .LBB4_3307
.LBB4_3306:                             ;   in Loop: Header=BB4_3075 Depth=2
	v_and_b32_e32 v25, 3, v24
	v_lshrrev_b16 v114, 2, v24
	s_delay_alu instid0(VALU_DEP_2) | instskip(NEXT) | instid1(VALU_DEP_1)
	v_clz_i32_u32_e32 v69, v25
	v_min_u32_e32 v69, 32, v69
	s_delay_alu instid0(VALU_DEP_1) | instskip(SKIP_1) | instid1(VALU_DEP_2)
	v_subrev_nc_u32_e32 v103, 29, v69
	v_sub_nc_u32_e32 v69, 30, v69
	v_lshlrev_b32_e32 v103, v103, v24
	s_delay_alu instid0(VALU_DEP_1) | instskip(SKIP_1) | instid1(VALU_DEP_1)
	v_and_b32_e32 v103, 3, v103
	v_and_b32_e32 v114, 31, v114
	v_cmp_eq_u32_e32 vcc_lo, 0, v114
	s_delay_alu instid0(VALU_DEP_3) | instskip(SKIP_1) | instid1(VALU_DEP_2)
	v_dual_cndmask_b32 v25, v25, v103 :: v_dual_lshlrev_b32 v24, 24, v24
	v_cndmask_b32_e32 v69, v114, v69, vcc_lo
	v_lshlrev_b32_e32 v25, 21, v25
	s_delay_alu instid0(VALU_DEP_3) | instskip(NEXT) | instid1(VALU_DEP_3)
	v_and_b32_e32 v24, 0x80000000, v24
	v_lshl_add_u32 v69, v69, 23, 0x37800000
	s_delay_alu instid0(VALU_DEP_1)
	v_or3_b32 v25, v24, v69, v25
.LBB4_3307:                             ;   in Loop: Header=BB4_3075 Depth=2
	s_or_b32 exec_lo, exec_lo, s23
	s_delay_alu instid0(VALU_DEP_1) | instskip(NEXT) | instid1(VALU_DEP_1)
	v_mul_f32_e32 v25, v66, v25
	v_and_b32_e32 v24, 0x7f800000, v25
	s_delay_alu instid0(VALU_DEP_1)
	v_cmp_ne_u32_e32 vcc_lo, 0x7f800000, v24
	v_mov_b32_e32 v24, 0x80
	s_and_saveexec_b32 s23, vcc_lo
	s_cbranch_execz .LBB4_3315
; %bb.3308:                             ;   in Loop: Header=BB4_3075 Depth=2
	v_mov_b32_e32 v24, 0
	s_mov_b32 s24, exec_lo
	v_cmpx_ne_u32_e32 0, v25
	s_cbranch_execz .LBB4_3314
; %bb.3309:                             ;   in Loop: Header=BB4_3075 Depth=2
	v_bfe_u32 v24, v25, 23, 8
	v_and_b32_e32 v66, 0x7fffff, v25
	s_delay_alu instid0(VALU_DEP_2) | instskip(SKIP_1) | instid1(VALU_DEP_3)
	v_sub_nc_u32_e32 v69, 0x70, v24
	v_cmp_gt_u32_e32 vcc_lo, 0x71, v24
	v_or_b32_e32 v103, 0x800000, v66
	s_delay_alu instid0(VALU_DEP_3) | instskip(SKIP_2) | instid1(VALU_DEP_4)
	v_cndmask_b32_e32 v69, 0, v69, vcc_lo
	v_cmp_eq_u32_e32 vcc_lo, 0, v24
	v_add_nc_u32_e32 v24, 0xffffff91, v24
	v_cndmask_b32_e32 v66, v103, v66, vcc_lo
	s_delay_alu instid0(VALU_DEP_4) | instskip(NEXT) | instid1(VALU_DEP_3)
	v_cndmask_b32_e64 v69, v69, 0x6f, vcc_lo
	v_cndmask_b32_e64 v24, v24, 0xffffff92, vcc_lo
	s_delay_alu instid0(VALU_DEP_2) | instskip(SKIP_2) | instid1(VALU_DEP_4)
	v_lshrrev_b32_e32 v114, v69, v66
	v_lshl_add_u32 v103, 0x200000, v69, -1
	v_lshlrev_b32_e64 v128, v69, 0x100000
	v_add_nc_u32_e32 v69, v69, v24
	s_delay_alu instid0(VALU_DEP_4) | instskip(NEXT) | instid1(VALU_DEP_4)
	v_bfe_u32 v117, v114, 21, 1
	v_and_b32_e32 v66, v103, v66
	s_delay_alu instid0(VALU_DEP_2) | instskip(NEXT) | instid1(VALU_DEP_2)
	v_add_nc_u32_e32 v103, -1, v117
	v_cmp_eq_u32_e64 s7, v66, v128
	s_delay_alu instid0(VALU_DEP_1) | instskip(SKIP_2) | instid1(VALU_DEP_2)
	v_cndmask_b32_e64 v66, 0, v103, s7
	v_lshrrev_b32_e32 v103, 23, v114
	s_mov_b32 s7, exec_lo
	v_add_nc_u32_e32 v66, v66, v114
	s_delay_alu instid0(VALU_DEP_2) | instskip(NEXT) | instid1(VALU_DEP_2)
	v_xor_b32_e32 v103, 1, v103
	v_and_b32_e32 v24, 0x1fffff, v66
	s_delay_alu instid0(VALU_DEP_1) | instskip(NEXT) | instid1(VALU_DEP_3)
	v_add_nc_u32_e32 v66, v24, v114
                                        ; implicit-def: $vgpr24
	v_cmpx_ne_u32_e64 v69, v103
	s_xor_b32 s7, exec_lo, s7
; %bb.3310:                             ;   in Loop: Header=BB4_3075 Depth=2
	s_delay_alu instid0(VALU_DEP_2) | instskip(SKIP_2) | instid1(VALU_DEP_2)
	v_cmp_lt_u32_e32 vcc_lo, 0xffffff, v66
	v_sub_nc_u32_e32 v24, v69, v103
	v_cndmask_b32_e64 v69, 0, 1, vcc_lo
	v_add_co_ci_u32_e32 v24, vcc_lo, 0, v24, vcc_lo
	s_delay_alu instid0(VALU_DEP_2)
	v_lshrrev_b32_e32 v66, v69, v66
; %bb.3311:                             ;   in Loop: Header=BB4_3075 Depth=2
	s_and_not1_saveexec_b32 s7, s7
; %bb.3312:                             ;   in Loop: Header=BB4_3075 Depth=2
	s_delay_alu instid0(VALU_DEP_1)
	v_bfe_u32 v24, v66, 23, 1
; %bb.3313:                             ;   in Loop: Header=BB4_3075 Depth=2
	s_or_b32 exec_lo, exec_lo, s7
	v_lshrrev_b32_e32 v66, 21, v66
	s_delay_alu instid0(VALU_DEP_2) | instskip(SKIP_2) | instid1(VALU_DEP_2)
	v_cmp_gt_i32_e32 vcc_lo, 32, v24
	v_lshrrev_b32_e32 v25, 24, v25
	v_min_i32_e32 v69, 31, v24
	v_dual_cndmask_b32 v66, 3, v66 :: v_dual_and_b32 v25, 0x80, v25
	s_delay_alu instid0(VALU_DEP_2) | instskip(NEXT) | instid1(VALU_DEP_2)
	v_lshlrev_b32_e32 v69, 2, v69
	v_or_b32_e32 v24, v24, v66
	s_delay_alu instid0(VALU_DEP_1) | instskip(SKIP_1) | instid1(VALU_DEP_1)
	v_cmp_ne_u32_e32 vcc_lo, 0, v24
	v_and_b32_e32 v103, 3, v66
	v_or3_b32 v25, v69, v25, v103
	s_delay_alu instid0(VALU_DEP_1)
	v_cndmask_b32_e32 v24, 0, v25, vcc_lo
.LBB4_3314:                             ;   in Loop: Header=BB4_3075 Depth=2
	s_or_b32 exec_lo, exec_lo, s24
.LBB4_3315:                             ;   in Loop: Header=BB4_3075 Depth=2
	s_delay_alu instid0(SALU_CYCLE_1) | instskip(SKIP_3) | instid1(VALU_DEP_1)
	s_or_b32 exec_lo, exec_lo, s23
	v_and_b32_e32 v66, 0xff, v22
	s_mov_b32 s7, 0
	s_mov_b32 s24, exec_lo
                                        ; implicit-def: $sgpr23
	v_cmpx_lt_i16_e32 0x7f, v66
	s_xor_b32 s24, exec_lo, s24
	s_cbranch_execnz .LBB4_3449
; %bb.3316:                             ;   in Loop: Header=BB4_3075 Depth=2
	s_or_saveexec_b32 s24, s24
	v_mov_b32_e32 v25, s23
	s_xor_b32 exec_lo, exec_lo, s24
	s_cbranch_execnz .LBB4_3452
.LBB4_3317:                             ;   in Loop: Header=BB4_3075 Depth=2
	s_or_b32 exec_lo, exec_lo, s24
	s_and_saveexec_b32 s23, s7
	s_cbranch_execz .LBB4_3319
.LBB4_3318:                             ;   in Loop: Header=BB4_3075 Depth=2
	v_and_b32_e32 v25, 3, v22
	v_lshrrev_b16 v103, 2, v22
	s_delay_alu instid0(VALU_DEP_2) | instskip(NEXT) | instid1(VALU_DEP_2)
	v_clz_i32_u32_e32 v66, v25
	v_and_b32_e32 v103, 31, v103
	s_delay_alu instid0(VALU_DEP_2) | instskip(NEXT) | instid1(VALU_DEP_2)
	v_min_u32_e32 v66, 32, v66
	v_cmp_eq_u32_e32 vcc_lo, 0, v103
	s_delay_alu instid0(VALU_DEP_2) | instskip(SKIP_1) | instid1(VALU_DEP_2)
	v_subrev_nc_u32_e32 v69, 29, v66
	v_sub_nc_u32_e32 v66, 30, v66
	v_lshlrev_b32_e32 v69, v69, v22
	s_delay_alu instid0(VALU_DEP_1) | instskip(SKIP_1) | instid1(VALU_DEP_2)
	v_dual_cndmask_b32 v66, v103, v66 :: v_dual_and_b32 v69, 3, v69
	v_lshlrev_b32_e32 v22, 24, v22
	v_lshl_add_u32 v66, v66, 23, 0x37800000
	s_delay_alu instid0(VALU_DEP_2) | instskip(NEXT) | instid1(VALU_DEP_1)
	v_dual_cndmask_b32 v25, v25, v69 :: v_dual_and_b32 v22, 0x80000000, v22
	v_lshlrev_b32_e32 v25, 21, v25
	s_delay_alu instid0(VALU_DEP_1)
	v_or3_b32 v25, v22, v66, v25
.LBB4_3319:                             ;   in Loop: Header=BB4_3075 Depth=2
	s_or_b32 exec_lo, exec_lo, s23
	s_waitcnt vmcnt(0) lgkmcnt(0)
	v_and_b32_e32 v66, 0xff, v21
	s_mov_b32 s7, 0
	s_mov_b32 s24, exec_lo
                                        ; implicit-def: $sgpr23
	s_delay_alu instid0(VALU_DEP_1)
	v_cmpx_lt_i16_e32 0x7f, v66
	s_xor_b32 s24, exec_lo, s24
	s_cbranch_execnz .LBB4_3453
; %bb.3320:                             ;   in Loop: Header=BB4_3075 Depth=2
	s_or_saveexec_b32 s24, s24
	v_mov_b32_e32 v22, s23
	s_xor_b32 exec_lo, exec_lo, s24
	s_cbranch_execnz .LBB4_3456
.LBB4_3321:                             ;   in Loop: Header=BB4_3075 Depth=2
	s_or_b32 exec_lo, exec_lo, s24
	s_and_saveexec_b32 s23, s7
	s_cbranch_execz .LBB4_3323
.LBB4_3322:                             ;   in Loop: Header=BB4_3075 Depth=2
	v_and_b32_e32 v22, 3, v21
	v_lshrrev_b16 v103, 2, v21
	s_delay_alu instid0(VALU_DEP_2) | instskip(NEXT) | instid1(VALU_DEP_2)
	v_clz_i32_u32_e32 v66, v22
	v_and_b32_e32 v103, 31, v103
	s_delay_alu instid0(VALU_DEP_2) | instskip(NEXT) | instid1(VALU_DEP_2)
	v_min_u32_e32 v66, 32, v66
	v_cmp_eq_u32_e32 vcc_lo, 0, v103
	s_delay_alu instid0(VALU_DEP_2) | instskip(SKIP_1) | instid1(VALU_DEP_1)
	v_subrev_nc_u32_e32 v69, 29, v66
	v_sub_nc_u32_e32 v66, 30, v66
	v_dual_cndmask_b32 v66, v103, v66 :: v_dual_lshlrev_b32 v69, v69, v21
	v_lshlrev_b32_e32 v21, 24, v21
	s_delay_alu instid0(VALU_DEP_2) | instskip(NEXT) | instid1(VALU_DEP_3)
	v_and_b32_e32 v69, 3, v69
	v_lshl_add_u32 v66, v66, 23, 0x37800000
	s_delay_alu instid0(VALU_DEP_3) | instskip(NEXT) | instid1(VALU_DEP_3)
	v_and_b32_e32 v21, 0x80000000, v21
	v_cndmask_b32_e32 v22, v22, v69, vcc_lo
	s_delay_alu instid0(VALU_DEP_1) | instskip(NEXT) | instid1(VALU_DEP_1)
	v_lshlrev_b32_e32 v22, 21, v22
	v_or3_b32 v22, v21, v66, v22
.LBB4_3323:                             ;   in Loop: Header=BB4_3075 Depth=2
	s_or_b32 exec_lo, exec_lo, s23
	s_delay_alu instid0(VALU_DEP_1) | instskip(NEXT) | instid1(VALU_DEP_1)
	v_mul_f32_e32 v22, v25, v22
	v_and_b32_e32 v21, 0x7f800000, v22
	s_delay_alu instid0(VALU_DEP_1)
	v_cmp_ne_u32_e32 vcc_lo, 0x7f800000, v21
	v_mov_b32_e32 v21, 0x80
	s_and_saveexec_b32 s23, vcc_lo
	s_cbranch_execz .LBB4_3074
; %bb.3324:                             ;   in Loop: Header=BB4_3075 Depth=2
	v_mov_b32_e32 v21, 0
	s_mov_b32 s24, exec_lo
	v_cmpx_ne_u32_e32 0, v22
	s_cbranch_execz .LBB4_3073
; %bb.3325:                             ;   in Loop: Header=BB4_3075 Depth=2
	v_bfe_u32 v21, v22, 23, 8
	v_and_b32_e32 v25, 0x7fffff, v22
	s_delay_alu instid0(VALU_DEP_2) | instskip(SKIP_1) | instid1(VALU_DEP_3)
	v_sub_nc_u32_e32 v66, 0x70, v21
	v_cmp_gt_u32_e32 vcc_lo, 0x71, v21
	v_or_b32_e32 v69, 0x800000, v25
	s_delay_alu instid0(VALU_DEP_3) | instskip(SKIP_2) | instid1(VALU_DEP_4)
	v_cndmask_b32_e32 v66, 0, v66, vcc_lo
	v_cmp_eq_u32_e32 vcc_lo, 0, v21
	v_add_nc_u32_e32 v21, 0xffffff91, v21
	v_cndmask_b32_e32 v25, v69, v25, vcc_lo
	s_delay_alu instid0(VALU_DEP_4) | instskip(NEXT) | instid1(VALU_DEP_3)
	v_cndmask_b32_e64 v66, v66, 0x6f, vcc_lo
	v_cndmask_b32_e64 v21, v21, 0xffffff92, vcc_lo
	s_delay_alu instid0(VALU_DEP_2) | instskip(SKIP_2) | instid1(VALU_DEP_4)
	v_lshrrev_b32_e32 v103, v66, v25
	v_lshl_add_u32 v69, 0x200000, v66, -1
	v_lshlrev_b32_e64 v117, v66, 0x100000
	v_add_nc_u32_e32 v66, v66, v21
	s_delay_alu instid0(VALU_DEP_4) | instskip(NEXT) | instid1(VALU_DEP_4)
	v_bfe_u32 v114, v103, 21, 1
	v_and_b32_e32 v25, v69, v25
	s_delay_alu instid0(VALU_DEP_2) | instskip(NEXT) | instid1(VALU_DEP_2)
	v_add_nc_u32_e32 v69, -1, v114
	v_cmp_eq_u32_e64 s7, v25, v117
	s_delay_alu instid0(VALU_DEP_1) | instskip(SKIP_2) | instid1(VALU_DEP_2)
	v_cndmask_b32_e64 v25, 0, v69, s7
	v_lshrrev_b32_e32 v69, 23, v103
	s_mov_b32 s7, exec_lo
	v_add_nc_u32_e32 v25, v25, v103
	s_delay_alu instid0(VALU_DEP_2) | instskip(NEXT) | instid1(VALU_DEP_2)
	v_xor_b32_e32 v69, 1, v69
	v_and_b32_e32 v21, 0x1fffff, v25
	s_delay_alu instid0(VALU_DEP_1) | instskip(NEXT) | instid1(VALU_DEP_3)
	v_add_nc_u32_e32 v25, v21, v103
                                        ; implicit-def: $vgpr21
	v_cmpx_ne_u32_e64 v66, v69
	s_xor_b32 s7, exec_lo, s7
; %bb.3326:                             ;   in Loop: Header=BB4_3075 Depth=2
	s_delay_alu instid0(VALU_DEP_2) | instskip(SKIP_2) | instid1(VALU_DEP_2)
	v_cmp_lt_u32_e32 vcc_lo, 0xffffff, v25
	v_sub_nc_u32_e32 v21, v66, v69
	v_cndmask_b32_e64 v66, 0, 1, vcc_lo
	v_add_co_ci_u32_e32 v21, vcc_lo, 0, v21, vcc_lo
	s_delay_alu instid0(VALU_DEP_2)
	v_lshrrev_b32_e32 v25, v66, v25
; %bb.3327:                             ;   in Loop: Header=BB4_3075 Depth=2
	s_and_not1_saveexec_b32 s7, s7
	s_cbranch_execz .LBB4_3072
; %bb.3328:                             ;   in Loop: Header=BB4_3075 Depth=2
	s_delay_alu instid0(VALU_DEP_1)
	v_bfe_u32 v21, v25, 23, 1
	s_branch .LBB4_3072
.LBB4_3329:                             ;   in Loop: Header=BB4_3075 Depth=2
	s_mov_b32 s7, -1
	s_mov_b32 s25, exec_lo
                                        ; implicit-def: $sgpr23
	v_cmpx_eq_u16_e64 0x80, v146
; %bb.3330:                             ;   in Loop: Header=BB4_3075 Depth=2
	s_mov_b32 s23, 0x7f800001
	s_xor_b32 s7, exec_lo, -1
; %bb.3331:                             ;   in Loop: Header=BB4_3075 Depth=2
	s_or_b32 exec_lo, exec_lo, s25
	s_delay_alu instid0(SALU_CYCLE_1)
	s_and_b32 s7, s7, exec_lo
	s_or_saveexec_b32 s24, s24
	v_mov_b32_e32 v145, s23
	s_xor_b32 exec_lo, exec_lo, s24
	s_cbranch_execz .LBB4_3077
.LBB4_3332:                             ;   in Loop: Header=BB4_3075 Depth=2
	v_cmp_ne_u16_e64 vcc_lo, 0, v146
	v_mov_b32_e32 v145, 0
	s_and_not1_b32 s7, s7, exec_lo
	s_delay_alu instid0(VALU_DEP_2) | instskip(NEXT) | instid1(SALU_CYCLE_1)
	s_and_b32 s23, vcc_lo, exec_lo
	s_or_b32 s7, s7, s23
	s_or_b32 exec_lo, exec_lo, s24
	s_and_saveexec_b32 s23, s7
	s_cbranch_execnz .LBB4_3078
	s_branch .LBB4_3079
.LBB4_3333:                             ;   in Loop: Header=BB4_3075 Depth=2
	s_mov_b32 s7, -1
	s_mov_b32 s25, exec_lo
                                        ; implicit-def: $sgpr23
	v_cmpx_eq_u16_e64 0x80, v147
; %bb.3334:                             ;   in Loop: Header=BB4_3075 Depth=2
	s_mov_b32 s23, 0x7f800001
	s_xor_b32 s7, exec_lo, -1
; %bb.3335:                             ;   in Loop: Header=BB4_3075 Depth=2
	s_or_b32 exec_lo, exec_lo, s25
	s_delay_alu instid0(SALU_CYCLE_1)
	s_and_b32 s7, s7, exec_lo
                                        ; implicit-def: $vgpr147
	s_or_saveexec_b32 s24, s24
	v_mov_b32_e32 v146, s23
	s_xor_b32 exec_lo, exec_lo, s24
	s_cbranch_execz .LBB4_3081
.LBB4_3336:                             ;   in Loop: Header=BB4_3075 Depth=2
	v_cmp_ne_u16_e64 vcc_lo, 0, v147
	v_mov_b32_e32 v146, 0
	s_and_not1_b32 s7, s7, exec_lo
	s_delay_alu instid0(VALU_DEP_2) | instskip(NEXT) | instid1(SALU_CYCLE_1)
	s_and_b32 s23, vcc_lo, exec_lo
	s_or_b32 s7, s7, s23
	s_or_b32 exec_lo, exec_lo, s24
	s_and_saveexec_b32 s23, s7
	s_cbranch_execnz .LBB4_3082
	s_branch .LBB4_3083
.LBB4_3337:                             ;   in Loop: Header=BB4_3075 Depth=2
	s_mov_b32 s7, -1
	s_mov_b32 s25, exec_lo
                                        ; implicit-def: $sgpr23
	v_cmpx_eq_u16_e64 0x80, v146
; %bb.3338:                             ;   in Loop: Header=BB4_3075 Depth=2
	s_mov_b32 s23, 0x7f800001
	s_xor_b32 s7, exec_lo, -1
; %bb.3339:                             ;   in Loop: Header=BB4_3075 Depth=2
	s_or_b32 exec_lo, exec_lo, s25
	s_delay_alu instid0(SALU_CYCLE_1)
	s_and_b32 s7, s7, exec_lo
                                        ; implicit-def: $vgpr146
	s_or_saveexec_b32 s24, s24
	v_mov_b32_e32 v145, s23
	s_xor_b32 exec_lo, exec_lo, s24
	s_cbranch_execz .LBB4_3093
.LBB4_3340:                             ;   in Loop: Header=BB4_3075 Depth=2
	v_cmp_ne_u16_e64 vcc_lo, 0, v146
	v_mov_b32_e32 v145, 0
	s_and_not1_b32 s7, s7, exec_lo
	s_delay_alu instid0(VALU_DEP_2) | instskip(NEXT) | instid1(SALU_CYCLE_1)
	s_and_b32 s23, vcc_lo, exec_lo
	s_or_b32 s7, s7, s23
	s_or_b32 exec_lo, exec_lo, s24
	s_and_saveexec_b32 s23, s7
	s_cbranch_execnz .LBB4_3094
	s_branch .LBB4_3095
.LBB4_3341:                             ;   in Loop: Header=BB4_3075 Depth=2
	s_mov_b32 s7, -1
	s_mov_b32 s25, exec_lo
                                        ; implicit-def: $sgpr23
	v_cmpx_eq_u16_e64 0x80, v146
; %bb.3342:                             ;   in Loop: Header=BB4_3075 Depth=2
	s_mov_b32 s23, 0x7f800001
	s_xor_b32 s7, exec_lo, -1
; %bb.3343:                             ;   in Loop: Header=BB4_3075 Depth=2
	s_or_b32 exec_lo, exec_lo, s25
	s_delay_alu instid0(SALU_CYCLE_1)
	s_and_b32 s7, s7, exec_lo
                                        ; implicit-def: $vgpr146
	s_or_saveexec_b32 s24, s24
	v_mov_b32_e32 v144, s23
	s_xor_b32 exec_lo, exec_lo, s24
	s_cbranch_execz .LBB4_3097
.LBB4_3344:                             ;   in Loop: Header=BB4_3075 Depth=2
	v_cmp_ne_u16_e64 vcc_lo, 0, v146
	v_mov_b32_e32 v144, 0
	s_and_not1_b32 s7, s7, exec_lo
	s_delay_alu instid0(VALU_DEP_2) | instskip(NEXT) | instid1(SALU_CYCLE_1)
	s_and_b32 s23, vcc_lo, exec_lo
	s_or_b32 s7, s7, s23
	s_or_b32 exec_lo, exec_lo, s24
	s_and_saveexec_b32 s23, s7
	s_cbranch_execnz .LBB4_3098
	s_branch .LBB4_3099
.LBB4_3345:                             ;   in Loop: Header=BB4_3075 Depth=2
	s_mov_b32 s7, -1
	s_mov_b32 s25, exec_lo
                                        ; implicit-def: $sgpr23
	v_cmpx_eq_u16_e64 0x80, v145
; %bb.3346:                             ;   in Loop: Header=BB4_3075 Depth=2
	s_mov_b32 s23, 0x7f800001
	s_xor_b32 s7, exec_lo, -1
; %bb.3347:                             ;   in Loop: Header=BB4_3075 Depth=2
	s_or_b32 exec_lo, exec_lo, s25
	s_delay_alu instid0(SALU_CYCLE_1)
	s_and_b32 s7, s7, exec_lo
                                        ; implicit-def: $vgpr145
	s_or_saveexec_b32 s24, s24
	v_mov_b32_e32 v144, s23
	s_xor_b32 exec_lo, exec_lo, s24
	s_cbranch_execz .LBB4_3109
.LBB4_3348:                             ;   in Loop: Header=BB4_3075 Depth=2
	v_cmp_ne_u16_e64 vcc_lo, 0, v145
	v_mov_b32_e32 v144, 0
	s_and_not1_b32 s7, s7, exec_lo
	s_delay_alu instid0(VALU_DEP_2) | instskip(NEXT) | instid1(SALU_CYCLE_1)
	s_and_b32 s23, vcc_lo, exec_lo
	s_or_b32 s7, s7, s23
	s_or_b32 exec_lo, exec_lo, s24
	s_and_saveexec_b32 s23, s7
	s_cbranch_execnz .LBB4_3110
	s_branch .LBB4_3111
.LBB4_3349:                             ;   in Loop: Header=BB4_3075 Depth=2
	s_mov_b32 s7, -1
	s_mov_b32 s25, exec_lo
                                        ; implicit-def: $sgpr23
	v_cmpx_eq_u16_e64 0x80, v145
; %bb.3350:                             ;   in Loop: Header=BB4_3075 Depth=2
	s_mov_b32 s23, 0x7f800001
	s_xor_b32 s7, exec_lo, -1
; %bb.3351:                             ;   in Loop: Header=BB4_3075 Depth=2
	s_or_b32 exec_lo, exec_lo, s25
	s_delay_alu instid0(SALU_CYCLE_1)
	s_and_b32 s7, s7, exec_lo
                                        ; implicit-def: $vgpr145
	s_or_saveexec_b32 s24, s24
	v_mov_b32_e32 v135, s23
	s_xor_b32 exec_lo, exec_lo, s24
	s_cbranch_execz .LBB4_3113
.LBB4_3352:                             ;   in Loop: Header=BB4_3075 Depth=2
	v_cmp_ne_u16_e64 vcc_lo, 0, v145
	v_mov_b32_e32 v135, 0
	s_and_not1_b32 s7, s7, exec_lo
	s_delay_alu instid0(VALU_DEP_2) | instskip(NEXT) | instid1(SALU_CYCLE_1)
	s_and_b32 s23, vcc_lo, exec_lo
	s_or_b32 s7, s7, s23
	s_or_b32 exec_lo, exec_lo, s24
	s_and_saveexec_b32 s23, s7
	s_cbranch_execnz .LBB4_3114
	s_branch .LBB4_3115
.LBB4_3353:                             ;   in Loop: Header=BB4_3075 Depth=2
	s_mov_b32 s7, -1
	s_mov_b32 s25, exec_lo
                                        ; implicit-def: $sgpr23
	v_cmpx_eq_u16_e64 0x80, v144
; %bb.3354:                             ;   in Loop: Header=BB4_3075 Depth=2
	s_mov_b32 s23, 0x7f800001
	s_xor_b32 s7, exec_lo, -1
; %bb.3355:                             ;   in Loop: Header=BB4_3075 Depth=2
	s_or_b32 exec_lo, exec_lo, s25
	s_delay_alu instid0(SALU_CYCLE_1)
	s_and_b32 s7, s7, exec_lo
                                        ; implicit-def: $vgpr144
	s_or_saveexec_b32 s24, s24
	v_mov_b32_e32 v135, s23
	s_xor_b32 exec_lo, exec_lo, s24
	s_cbranch_execz .LBB4_3125
.LBB4_3356:                             ;   in Loop: Header=BB4_3075 Depth=2
	v_cmp_ne_u16_e64 vcc_lo, 0, v144
	v_mov_b32_e32 v135, 0
	s_and_not1_b32 s7, s7, exec_lo
	s_delay_alu instid0(VALU_DEP_2) | instskip(NEXT) | instid1(SALU_CYCLE_1)
	s_and_b32 s23, vcc_lo, exec_lo
	s_or_b32 s7, s7, s23
	s_or_b32 exec_lo, exec_lo, s24
	s_and_saveexec_b32 s23, s7
	s_cbranch_execnz .LBB4_3126
	s_branch .LBB4_3127
.LBB4_3357:                             ;   in Loop: Header=BB4_3075 Depth=2
	s_mov_b32 s7, -1
	s_mov_b32 s25, exec_lo
                                        ; implicit-def: $sgpr23
	v_cmpx_eq_u16_e64 0x80, v144
; %bb.3358:                             ;   in Loop: Header=BB4_3075 Depth=2
	s_mov_b32 s23, 0x7f800001
	s_xor_b32 s7, exec_lo, -1
; %bb.3359:                             ;   in Loop: Header=BB4_3075 Depth=2
	s_or_b32 exec_lo, exec_lo, s25
	s_delay_alu instid0(SALU_CYCLE_1)
	s_and_b32 s7, s7, exec_lo
                                        ; implicit-def: $vgpr144
	s_or_saveexec_b32 s24, s24
	v_mov_b32_e32 v134, s23
	s_xor_b32 exec_lo, exec_lo, s24
	s_cbranch_execz .LBB4_3129
.LBB4_3360:                             ;   in Loop: Header=BB4_3075 Depth=2
	v_cmp_ne_u16_e64 vcc_lo, 0, v144
	v_mov_b32_e32 v134, 0
	s_and_not1_b32 s7, s7, exec_lo
	s_delay_alu instid0(VALU_DEP_2) | instskip(NEXT) | instid1(SALU_CYCLE_1)
	s_and_b32 s23, vcc_lo, exec_lo
	s_or_b32 s7, s7, s23
	s_or_b32 exec_lo, exec_lo, s24
	s_and_saveexec_b32 s23, s7
	s_cbranch_execnz .LBB4_3130
	s_branch .LBB4_3131
.LBB4_3361:                             ;   in Loop: Header=BB4_3075 Depth=2
	s_mov_b32 s7, -1
	s_mov_b32 s25, exec_lo
                                        ; implicit-def: $sgpr23
	v_cmpx_eq_u16_e64 0x80, v135
; %bb.3362:                             ;   in Loop: Header=BB4_3075 Depth=2
	s_mov_b32 s23, 0x7f800001
	s_xor_b32 s7, exec_lo, -1
; %bb.3363:                             ;   in Loop: Header=BB4_3075 Depth=2
	s_or_b32 exec_lo, exec_lo, s25
	s_delay_alu instid0(SALU_CYCLE_1)
	s_and_b32 s7, s7, exec_lo
                                        ; implicit-def: $vgpr135
	s_or_saveexec_b32 s24, s24
	v_mov_b32_e32 v134, s23
	s_xor_b32 exec_lo, exec_lo, s24
	s_cbranch_execz .LBB4_3141
.LBB4_3364:                             ;   in Loop: Header=BB4_3075 Depth=2
	v_cmp_ne_u16_e64 vcc_lo, 0, v135
	v_mov_b32_e32 v134, 0
	s_and_not1_b32 s7, s7, exec_lo
	s_delay_alu instid0(VALU_DEP_2) | instskip(NEXT) | instid1(SALU_CYCLE_1)
	s_and_b32 s23, vcc_lo, exec_lo
	s_or_b32 s7, s7, s23
	s_or_b32 exec_lo, exec_lo, s24
	s_and_saveexec_b32 s23, s7
	s_cbranch_execnz .LBB4_3142
	s_branch .LBB4_3143
.LBB4_3365:                             ;   in Loop: Header=BB4_3075 Depth=2
	s_mov_b32 s7, -1
	s_mov_b32 s25, exec_lo
                                        ; implicit-def: $sgpr23
	v_cmpx_eq_u16_e64 0x80, v135
; %bb.3366:                             ;   in Loop: Header=BB4_3075 Depth=2
	s_mov_b32 s23, 0x7f800001
	s_xor_b32 s7, exec_lo, -1
; %bb.3367:                             ;   in Loop: Header=BB4_3075 Depth=2
	s_or_b32 exec_lo, exec_lo, s25
	s_delay_alu instid0(SALU_CYCLE_1)
	s_and_b32 s7, s7, exec_lo
                                        ; implicit-def: $vgpr135
	s_or_saveexec_b32 s24, s24
	v_mov_b32_e32 v133, s23
	s_xor_b32 exec_lo, exec_lo, s24
	s_cbranch_execz .LBB4_3145
.LBB4_3368:                             ;   in Loop: Header=BB4_3075 Depth=2
	v_cmp_ne_u16_e64 vcc_lo, 0, v135
	v_mov_b32_e32 v133, 0
	s_and_not1_b32 s7, s7, exec_lo
	s_delay_alu instid0(VALU_DEP_2) | instskip(NEXT) | instid1(SALU_CYCLE_1)
	s_and_b32 s23, vcc_lo, exec_lo
	s_or_b32 s7, s7, s23
	s_or_b32 exec_lo, exec_lo, s24
	s_and_saveexec_b32 s23, s7
	s_cbranch_execnz .LBB4_3146
	s_branch .LBB4_3147
.LBB4_3369:                             ;   in Loop: Header=BB4_3075 Depth=2
	s_mov_b32 s7, -1
	s_mov_b32 s25, exec_lo
                                        ; implicit-def: $sgpr23
	v_cmpx_eq_u16_e64 0x80, v134
; %bb.3370:                             ;   in Loop: Header=BB4_3075 Depth=2
	s_mov_b32 s23, 0x7f800001
	s_xor_b32 s7, exec_lo, -1
; %bb.3371:                             ;   in Loop: Header=BB4_3075 Depth=2
	s_or_b32 exec_lo, exec_lo, s25
	s_delay_alu instid0(SALU_CYCLE_1)
	s_and_b32 s7, s7, exec_lo
                                        ; implicit-def: $vgpr134
	s_or_saveexec_b32 s24, s24
	v_mov_b32_e32 v133, s23
	s_xor_b32 exec_lo, exec_lo, s24
	s_cbranch_execz .LBB4_3157
.LBB4_3372:                             ;   in Loop: Header=BB4_3075 Depth=2
	v_cmp_ne_u16_e64 vcc_lo, 0, v134
	v_mov_b32_e32 v133, 0
	s_and_not1_b32 s7, s7, exec_lo
	s_delay_alu instid0(VALU_DEP_2) | instskip(NEXT) | instid1(SALU_CYCLE_1)
	s_and_b32 s23, vcc_lo, exec_lo
	s_or_b32 s7, s7, s23
	s_or_b32 exec_lo, exec_lo, s24
	s_and_saveexec_b32 s23, s7
	s_cbranch_execnz .LBB4_3158
	s_branch .LBB4_3159
.LBB4_3373:                             ;   in Loop: Header=BB4_3075 Depth=2
	s_mov_b32 s7, -1
	s_mov_b32 s25, exec_lo
                                        ; implicit-def: $sgpr23
	v_cmpx_eq_u16_e64 0x80, v134
; %bb.3374:                             ;   in Loop: Header=BB4_3075 Depth=2
	s_mov_b32 s23, 0x7f800001
	s_xor_b32 s7, exec_lo, -1
; %bb.3375:                             ;   in Loop: Header=BB4_3075 Depth=2
	s_or_b32 exec_lo, exec_lo, s25
	s_delay_alu instid0(SALU_CYCLE_1)
	s_and_b32 s7, s7, exec_lo
                                        ; implicit-def: $vgpr134
	s_or_saveexec_b32 s24, s24
	v_mov_b32_e32 v132, s23
	s_xor_b32 exec_lo, exec_lo, s24
	s_cbranch_execz .LBB4_3161
.LBB4_3376:                             ;   in Loop: Header=BB4_3075 Depth=2
	v_cmp_ne_u16_e64 vcc_lo, 0, v134
	v_mov_b32_e32 v132, 0
	s_and_not1_b32 s7, s7, exec_lo
	s_delay_alu instid0(VALU_DEP_2) | instskip(NEXT) | instid1(SALU_CYCLE_1)
	s_and_b32 s23, vcc_lo, exec_lo
	s_or_b32 s7, s7, s23
	s_or_b32 exec_lo, exec_lo, s24
	s_and_saveexec_b32 s23, s7
	s_cbranch_execnz .LBB4_3162
	s_branch .LBB4_3163
.LBB4_3377:                             ;   in Loop: Header=BB4_3075 Depth=2
	s_mov_b32 s7, -1
	s_mov_b32 s25, exec_lo
                                        ; implicit-def: $sgpr23
	v_cmpx_eq_u16_e64 0x80, v133
; %bb.3378:                             ;   in Loop: Header=BB4_3075 Depth=2
	s_mov_b32 s23, 0x7f800001
	s_xor_b32 s7, exec_lo, -1
; %bb.3379:                             ;   in Loop: Header=BB4_3075 Depth=2
	s_or_b32 exec_lo, exec_lo, s25
	s_delay_alu instid0(SALU_CYCLE_1)
	s_and_b32 s7, s7, exec_lo
                                        ; implicit-def: $vgpr133
	s_or_saveexec_b32 s24, s24
	v_mov_b32_e32 v132, s23
	s_xor_b32 exec_lo, exec_lo, s24
	s_cbranch_execz .LBB4_3173
.LBB4_3380:                             ;   in Loop: Header=BB4_3075 Depth=2
	v_cmp_ne_u16_e64 vcc_lo, 0, v133
	v_mov_b32_e32 v132, 0
	s_and_not1_b32 s7, s7, exec_lo
	s_delay_alu instid0(VALU_DEP_2) | instskip(NEXT) | instid1(SALU_CYCLE_1)
	s_and_b32 s23, vcc_lo, exec_lo
	s_or_b32 s7, s7, s23
	s_or_b32 exec_lo, exec_lo, s24
	s_and_saveexec_b32 s23, s7
	s_cbranch_execnz .LBB4_3174
	s_branch .LBB4_3175
.LBB4_3381:                             ;   in Loop: Header=BB4_3075 Depth=2
	s_mov_b32 s7, -1
	s_mov_b32 s25, exec_lo
                                        ; implicit-def: $sgpr23
	v_cmpx_eq_u16_e64 0x80, v133
; %bb.3382:                             ;   in Loop: Header=BB4_3075 Depth=2
	s_mov_b32 s23, 0x7f800001
	s_xor_b32 s7, exec_lo, -1
; %bb.3383:                             ;   in Loop: Header=BB4_3075 Depth=2
	s_or_b32 exec_lo, exec_lo, s25
	s_delay_alu instid0(SALU_CYCLE_1)
	s_and_b32 s7, s7, exec_lo
                                        ; implicit-def: $vgpr133
	s_or_saveexec_b32 s24, s24
	v_mov_b32_e32 v131, s23
	s_xor_b32 exec_lo, exec_lo, s24
	s_cbranch_execz .LBB4_3177
.LBB4_3384:                             ;   in Loop: Header=BB4_3075 Depth=2
	v_cmp_ne_u16_e64 vcc_lo, 0, v133
	v_mov_b32_e32 v131, 0
	s_and_not1_b32 s7, s7, exec_lo
	s_delay_alu instid0(VALU_DEP_2) | instskip(NEXT) | instid1(SALU_CYCLE_1)
	s_and_b32 s23, vcc_lo, exec_lo
	s_or_b32 s7, s7, s23
	s_or_b32 exec_lo, exec_lo, s24
	s_and_saveexec_b32 s23, s7
	s_cbranch_execnz .LBB4_3178
	s_branch .LBB4_3179
.LBB4_3385:                             ;   in Loop: Header=BB4_3075 Depth=2
	s_mov_b32 s7, -1
	s_mov_b32 s25, exec_lo
                                        ; implicit-def: $sgpr23
	v_cmpx_eq_u16_e64 0x80, v132
; %bb.3386:                             ;   in Loop: Header=BB4_3075 Depth=2
	s_mov_b32 s23, 0x7f800001
	s_xor_b32 s7, exec_lo, -1
; %bb.3387:                             ;   in Loop: Header=BB4_3075 Depth=2
	s_or_b32 exec_lo, exec_lo, s25
	s_delay_alu instid0(SALU_CYCLE_1)
	s_and_b32 s7, s7, exec_lo
                                        ; implicit-def: $vgpr132
	s_or_saveexec_b32 s24, s24
	v_mov_b32_e32 v131, s23
	s_xor_b32 exec_lo, exec_lo, s24
	s_cbranch_execz .LBB4_3189
.LBB4_3388:                             ;   in Loop: Header=BB4_3075 Depth=2
	v_cmp_ne_u16_e64 vcc_lo, 0, v132
	v_mov_b32_e32 v131, 0
	s_and_not1_b32 s7, s7, exec_lo
	s_delay_alu instid0(VALU_DEP_2) | instskip(NEXT) | instid1(SALU_CYCLE_1)
	s_and_b32 s23, vcc_lo, exec_lo
	s_or_b32 s7, s7, s23
	s_or_b32 exec_lo, exec_lo, s24
	s_and_saveexec_b32 s23, s7
	s_cbranch_execnz .LBB4_3190
	s_branch .LBB4_3191
.LBB4_3389:                             ;   in Loop: Header=BB4_3075 Depth=2
	s_mov_b32 s7, -1
	s_mov_b32 s25, exec_lo
                                        ; implicit-def: $sgpr23
	v_cmpx_eq_u16_e64 0x80, v132
; %bb.3390:                             ;   in Loop: Header=BB4_3075 Depth=2
	s_mov_b32 s23, 0x7f800001
	s_xor_b32 s7, exec_lo, -1
; %bb.3391:                             ;   in Loop: Header=BB4_3075 Depth=2
	s_or_b32 exec_lo, exec_lo, s25
	s_delay_alu instid0(SALU_CYCLE_1)
	s_and_b32 s7, s7, exec_lo
                                        ; implicit-def: $vgpr132
	s_or_saveexec_b32 s24, s24
	v_mov_b32_e32 v130, s23
	s_xor_b32 exec_lo, exec_lo, s24
	s_cbranch_execz .LBB4_3193
.LBB4_3392:                             ;   in Loop: Header=BB4_3075 Depth=2
	v_cmp_ne_u16_e64 vcc_lo, 0, v132
	v_mov_b32_e32 v130, 0
	s_and_not1_b32 s7, s7, exec_lo
	s_delay_alu instid0(VALU_DEP_2) | instskip(NEXT) | instid1(SALU_CYCLE_1)
	s_and_b32 s23, vcc_lo, exec_lo
	s_or_b32 s7, s7, s23
	s_or_b32 exec_lo, exec_lo, s24
	s_and_saveexec_b32 s23, s7
	s_cbranch_execnz .LBB4_3194
	s_branch .LBB4_3195
.LBB4_3393:                             ;   in Loop: Header=BB4_3075 Depth=2
	s_mov_b32 s7, -1
	s_mov_b32 s25, exec_lo
                                        ; implicit-def: $sgpr23
	v_cmpx_eq_u16_e64 0x80, v131
; %bb.3394:                             ;   in Loop: Header=BB4_3075 Depth=2
	s_mov_b32 s23, 0x7f800001
	s_xor_b32 s7, exec_lo, -1
; %bb.3395:                             ;   in Loop: Header=BB4_3075 Depth=2
	s_or_b32 exec_lo, exec_lo, s25
	s_delay_alu instid0(SALU_CYCLE_1)
	s_and_b32 s7, s7, exec_lo
                                        ; implicit-def: $vgpr131
	s_or_saveexec_b32 s24, s24
	v_mov_b32_e32 v130, s23
	s_xor_b32 exec_lo, exec_lo, s24
	s_cbranch_execz .LBB4_3205
.LBB4_3396:                             ;   in Loop: Header=BB4_3075 Depth=2
	v_cmp_ne_u16_e64 vcc_lo, 0, v131
	v_mov_b32_e32 v130, 0
	s_and_not1_b32 s7, s7, exec_lo
	s_delay_alu instid0(VALU_DEP_2) | instskip(NEXT) | instid1(SALU_CYCLE_1)
	s_and_b32 s23, vcc_lo, exec_lo
	s_or_b32 s7, s7, s23
	s_or_b32 exec_lo, exec_lo, s24
	s_and_saveexec_b32 s23, s7
	s_cbranch_execnz .LBB4_3206
	s_branch .LBB4_3207
.LBB4_3397:                             ;   in Loop: Header=BB4_3075 Depth=2
	s_mov_b32 s7, -1
	s_mov_b32 s25, exec_lo
                                        ; implicit-def: $sgpr23
	v_cmpx_eq_u16_e64 0x80, v131
; %bb.3398:                             ;   in Loop: Header=BB4_3075 Depth=2
	s_mov_b32 s23, 0x7f800001
	s_xor_b32 s7, exec_lo, -1
; %bb.3399:                             ;   in Loop: Header=BB4_3075 Depth=2
	s_or_b32 exec_lo, exec_lo, s25
	s_delay_alu instid0(SALU_CYCLE_1)
	s_and_b32 s7, s7, exec_lo
                                        ; implicit-def: $vgpr131
	s_or_saveexec_b32 s24, s24
	v_mov_b32_e32 v128, s23
	s_xor_b32 exec_lo, exec_lo, s24
	s_cbranch_execz .LBB4_3209
.LBB4_3400:                             ;   in Loop: Header=BB4_3075 Depth=2
	v_cmp_ne_u16_e64 vcc_lo, 0, v131
	v_mov_b32_e32 v128, 0
	s_and_not1_b32 s7, s7, exec_lo
	s_delay_alu instid0(VALU_DEP_2) | instskip(NEXT) | instid1(SALU_CYCLE_1)
	s_and_b32 s23, vcc_lo, exec_lo
	s_or_b32 s7, s7, s23
	s_or_b32 exec_lo, exec_lo, s24
	s_and_saveexec_b32 s23, s7
	s_cbranch_execnz .LBB4_3210
	s_branch .LBB4_3211
.LBB4_3401:                             ;   in Loop: Header=BB4_3075 Depth=2
	s_mov_b32 s7, -1
	s_mov_b32 s25, exec_lo
                                        ; implicit-def: $sgpr23
	v_cmpx_eq_u16_e64 0x80, v130
; %bb.3402:                             ;   in Loop: Header=BB4_3075 Depth=2
	s_mov_b32 s23, 0x7f800001
	s_xor_b32 s7, exec_lo, -1
; %bb.3403:                             ;   in Loop: Header=BB4_3075 Depth=2
	s_or_b32 exec_lo, exec_lo, s25
	s_delay_alu instid0(SALU_CYCLE_1)
	s_and_b32 s7, s7, exec_lo
                                        ; implicit-def: $vgpr130
	s_or_saveexec_b32 s24, s24
	v_mov_b32_e32 v128, s23
	s_xor_b32 exec_lo, exec_lo, s24
	s_cbranch_execz .LBB4_3221
.LBB4_3404:                             ;   in Loop: Header=BB4_3075 Depth=2
	v_cmp_ne_u16_e64 vcc_lo, 0, v130
	v_mov_b32_e32 v128, 0
	s_and_not1_b32 s7, s7, exec_lo
	s_delay_alu instid0(VALU_DEP_2) | instskip(NEXT) | instid1(SALU_CYCLE_1)
	s_and_b32 s23, vcc_lo, exec_lo
	s_or_b32 s7, s7, s23
	s_or_b32 exec_lo, exec_lo, s24
	s_and_saveexec_b32 s23, s7
	s_cbranch_execnz .LBB4_3222
	s_branch .LBB4_3223
.LBB4_3405:                             ;   in Loop: Header=BB4_3075 Depth=2
	s_mov_b32 s7, -1
	s_mov_b32 s25, exec_lo
                                        ; implicit-def: $sgpr23
	v_cmpx_eq_u16_e64 0x80, v130
; %bb.3406:                             ;   in Loop: Header=BB4_3075 Depth=2
	s_mov_b32 s23, 0x7f800001
	s_xor_b32 s7, exec_lo, -1
; %bb.3407:                             ;   in Loop: Header=BB4_3075 Depth=2
	s_or_b32 exec_lo, exec_lo, s25
	s_delay_alu instid0(SALU_CYCLE_1)
	s_and_b32 s7, s7, exec_lo
                                        ; implicit-def: $vgpr130
	s_or_saveexec_b32 s24, s24
	v_mov_b32_e32 v117, s23
	s_xor_b32 exec_lo, exec_lo, s24
	s_cbranch_execz .LBB4_3225
.LBB4_3408:                             ;   in Loop: Header=BB4_3075 Depth=2
	v_cmp_ne_u16_e64 vcc_lo, 0, v130
	v_mov_b32_e32 v117, 0
	s_and_not1_b32 s7, s7, exec_lo
	s_delay_alu instid0(VALU_DEP_2) | instskip(NEXT) | instid1(SALU_CYCLE_1)
	s_and_b32 s23, vcc_lo, exec_lo
	s_or_b32 s7, s7, s23
	s_or_b32 exec_lo, exec_lo, s24
	s_and_saveexec_b32 s23, s7
	s_cbranch_execnz .LBB4_3226
	s_branch .LBB4_3227
.LBB4_3409:                             ;   in Loop: Header=BB4_3075 Depth=2
	s_mov_b32 s7, -1
	s_mov_b32 s25, exec_lo
                                        ; implicit-def: $sgpr23
	v_cmpx_eq_u16_e64 0x80, v128
; %bb.3410:                             ;   in Loop: Header=BB4_3075 Depth=2
	s_mov_b32 s23, 0x7f800001
	s_xor_b32 s7, exec_lo, -1
; %bb.3411:                             ;   in Loop: Header=BB4_3075 Depth=2
	s_or_b32 exec_lo, exec_lo, s25
	s_delay_alu instid0(SALU_CYCLE_1)
	s_and_b32 s7, s7, exec_lo
                                        ; implicit-def: $vgpr128
	s_or_saveexec_b32 s24, s24
	v_mov_b32_e32 v117, s23
	s_xor_b32 exec_lo, exec_lo, s24
	s_cbranch_execz .LBB4_3237
.LBB4_3412:                             ;   in Loop: Header=BB4_3075 Depth=2
	v_cmp_ne_u16_e64 vcc_lo, 0, v128
	v_mov_b32_e32 v117, 0
	s_and_not1_b32 s7, s7, exec_lo
	s_delay_alu instid0(VALU_DEP_2) | instskip(NEXT) | instid1(SALU_CYCLE_1)
	s_and_b32 s23, vcc_lo, exec_lo
	s_or_b32 s7, s7, s23
	s_or_b32 exec_lo, exec_lo, s24
	s_and_saveexec_b32 s23, s7
	s_cbranch_execnz .LBB4_3238
	s_branch .LBB4_3239
.LBB4_3413:                             ;   in Loop: Header=BB4_3075 Depth=2
	s_mov_b32 s7, -1
	s_mov_b32 s25, exec_lo
                                        ; implicit-def: $sgpr23
	v_cmpx_eq_u16_e64 0x80, v128
; %bb.3414:                             ;   in Loop: Header=BB4_3075 Depth=2
	s_mov_b32 s23, 0x7f800001
	s_xor_b32 s7, exec_lo, -1
; %bb.3415:                             ;   in Loop: Header=BB4_3075 Depth=2
	s_or_b32 exec_lo, exec_lo, s25
	s_delay_alu instid0(SALU_CYCLE_1)
	s_and_b32 s7, s7, exec_lo
                                        ; implicit-def: $vgpr128
	s_or_saveexec_b32 s24, s24
	v_mov_b32_e32 v114, s23
	s_xor_b32 exec_lo, exec_lo, s24
	s_cbranch_execz .LBB4_3241
.LBB4_3416:                             ;   in Loop: Header=BB4_3075 Depth=2
	v_cmp_ne_u16_e64 vcc_lo, 0, v128
	v_mov_b32_e32 v114, 0
	s_and_not1_b32 s7, s7, exec_lo
	s_delay_alu instid0(VALU_DEP_2) | instskip(NEXT) | instid1(SALU_CYCLE_1)
	s_and_b32 s23, vcc_lo, exec_lo
	s_or_b32 s7, s7, s23
	s_or_b32 exec_lo, exec_lo, s24
	s_and_saveexec_b32 s23, s7
	s_cbranch_execnz .LBB4_3242
	s_branch .LBB4_3243
.LBB4_3417:                             ;   in Loop: Header=BB4_3075 Depth=2
	s_mov_b32 s7, -1
	s_mov_b32 s25, exec_lo
                                        ; implicit-def: $sgpr23
	v_cmpx_eq_u16_e32 0x80, v117
; %bb.3418:                             ;   in Loop: Header=BB4_3075 Depth=2
	s_mov_b32 s23, 0x7f800001
	s_xor_b32 s7, exec_lo, -1
; %bb.3419:                             ;   in Loop: Header=BB4_3075 Depth=2
	s_or_b32 exec_lo, exec_lo, s25
	s_delay_alu instid0(SALU_CYCLE_1)
	s_and_b32 s7, s7, exec_lo
                                        ; implicit-def: $vgpr117
	s_or_saveexec_b32 s24, s24
	v_mov_b32_e32 v114, s23
	s_xor_b32 exec_lo, exec_lo, s24
	s_cbranch_execz .LBB4_3253
.LBB4_3420:                             ;   in Loop: Header=BB4_3075 Depth=2
	v_cmp_ne_u16_e32 vcc_lo, 0, v117
	v_mov_b32_e32 v114, 0
	s_and_not1_b32 s7, s7, exec_lo
	s_and_b32 s23, vcc_lo, exec_lo
	s_delay_alu instid0(SALU_CYCLE_1)
	s_or_b32 s7, s7, s23
	s_or_b32 exec_lo, exec_lo, s24
	s_and_saveexec_b32 s23, s7
	s_cbranch_execnz .LBB4_3254
	s_branch .LBB4_3255
.LBB4_3421:                             ;   in Loop: Header=BB4_3075 Depth=2
	s_mov_b32 s7, -1
	s_mov_b32 s25, exec_lo
                                        ; implicit-def: $sgpr23
	v_cmpx_eq_u16_e32 0x80, v117
; %bb.3422:                             ;   in Loop: Header=BB4_3075 Depth=2
	s_mov_b32 s23, 0x7f800001
	s_xor_b32 s7, exec_lo, -1
; %bb.3423:                             ;   in Loop: Header=BB4_3075 Depth=2
	s_or_b32 exec_lo, exec_lo, s25
	s_delay_alu instid0(SALU_CYCLE_1)
	s_and_b32 s7, s7, exec_lo
                                        ; implicit-def: $vgpr117
	s_or_saveexec_b32 s24, s24
	v_mov_b32_e32 v103, s23
	s_xor_b32 exec_lo, exec_lo, s24
	s_cbranch_execz .LBB4_3257
.LBB4_3424:                             ;   in Loop: Header=BB4_3075 Depth=2
	v_cmp_ne_u16_e32 vcc_lo, 0, v117
	v_mov_b32_e32 v103, 0
	s_and_not1_b32 s7, s7, exec_lo
	s_and_b32 s23, vcc_lo, exec_lo
	s_delay_alu instid0(SALU_CYCLE_1)
	s_or_b32 s7, s7, s23
	s_or_b32 exec_lo, exec_lo, s24
	s_and_saveexec_b32 s23, s7
	s_cbranch_execnz .LBB4_3258
	s_branch .LBB4_3259
.LBB4_3425:                             ;   in Loop: Header=BB4_3075 Depth=2
	s_mov_b32 s7, -1
	s_mov_b32 s25, exec_lo
                                        ; implicit-def: $sgpr23
	v_cmpx_eq_u16_e32 0x80, v114
; %bb.3426:                             ;   in Loop: Header=BB4_3075 Depth=2
	s_mov_b32 s23, 0x7f800001
	s_xor_b32 s7, exec_lo, -1
; %bb.3427:                             ;   in Loop: Header=BB4_3075 Depth=2
	s_or_b32 exec_lo, exec_lo, s25
	s_delay_alu instid0(SALU_CYCLE_1)
	s_and_b32 s7, s7, exec_lo
                                        ; implicit-def: $vgpr114
	s_or_saveexec_b32 s24, s24
	v_mov_b32_e32 v103, s23
	s_xor_b32 exec_lo, exec_lo, s24
	s_cbranch_execz .LBB4_3269
.LBB4_3428:                             ;   in Loop: Header=BB4_3075 Depth=2
	v_cmp_ne_u16_e32 vcc_lo, 0, v114
	v_mov_b32_e32 v103, 0
	s_and_not1_b32 s7, s7, exec_lo
	s_and_b32 s23, vcc_lo, exec_lo
	s_delay_alu instid0(SALU_CYCLE_1)
	s_or_b32 s7, s7, s23
	s_or_b32 exec_lo, exec_lo, s24
	s_and_saveexec_b32 s23, s7
	s_cbranch_execnz .LBB4_3270
	s_branch .LBB4_3271
.LBB4_3429:                             ;   in Loop: Header=BB4_3075 Depth=2
	s_mov_b32 s7, -1
	s_mov_b32 s25, exec_lo
                                        ; implicit-def: $sgpr23
	v_cmpx_eq_u16_e32 0x80, v114
; %bb.3430:                             ;   in Loop: Header=BB4_3075 Depth=2
	s_mov_b32 s23, 0x7f800001
	s_xor_b32 s7, exec_lo, -1
; %bb.3431:                             ;   in Loop: Header=BB4_3075 Depth=2
	s_or_b32 exec_lo, exec_lo, s25
	s_delay_alu instid0(SALU_CYCLE_1)
	s_and_b32 s7, s7, exec_lo
                                        ; implicit-def: $vgpr114
	s_or_saveexec_b32 s24, s24
	v_mov_b32_e32 v69, s23
	s_xor_b32 exec_lo, exec_lo, s24
	s_cbranch_execz .LBB4_3273
.LBB4_3432:                             ;   in Loop: Header=BB4_3075 Depth=2
	v_cmp_ne_u16_e32 vcc_lo, 0, v114
	v_mov_b32_e32 v69, 0
	s_and_not1_b32 s7, s7, exec_lo
	s_and_b32 s23, vcc_lo, exec_lo
	s_delay_alu instid0(SALU_CYCLE_1)
	s_or_b32 s7, s7, s23
	s_or_b32 exec_lo, exec_lo, s24
	s_and_saveexec_b32 s23, s7
	s_cbranch_execnz .LBB4_3274
	s_branch .LBB4_3275
.LBB4_3433:                             ;   in Loop: Header=BB4_3075 Depth=2
	s_mov_b32 s7, -1
	s_mov_b32 s25, exec_lo
                                        ; implicit-def: $sgpr23
	v_cmpx_eq_u16_e32 0x80, v103
; %bb.3434:                             ;   in Loop: Header=BB4_3075 Depth=2
	s_mov_b32 s23, 0x7f800001
	s_xor_b32 s7, exec_lo, -1
; %bb.3435:                             ;   in Loop: Header=BB4_3075 Depth=2
	s_or_b32 exec_lo, exec_lo, s25
	s_delay_alu instid0(SALU_CYCLE_1)
	s_and_b32 s7, s7, exec_lo
                                        ; implicit-def: $vgpr103
	s_or_saveexec_b32 s24, s24
	v_mov_b32_e32 v69, s23
	s_xor_b32 exec_lo, exec_lo, s24
	s_cbranch_execz .LBB4_3285
.LBB4_3436:                             ;   in Loop: Header=BB4_3075 Depth=2
	v_cmp_ne_u16_e32 vcc_lo, 0, v103
	v_mov_b32_e32 v69, 0
	s_and_not1_b32 s7, s7, exec_lo
	s_and_b32 s23, vcc_lo, exec_lo
	s_delay_alu instid0(SALU_CYCLE_1)
	s_or_b32 s7, s7, s23
	s_or_b32 exec_lo, exec_lo, s24
	s_and_saveexec_b32 s23, s7
	s_cbranch_execnz .LBB4_3286
	s_branch .LBB4_3287
.LBB4_3437:                             ;   in Loop: Header=BB4_3075 Depth=2
	s_mov_b32 s7, -1
	s_mov_b32 s25, exec_lo
                                        ; implicit-def: $sgpr23
	v_cmpx_eq_u16_e32 0x80, v103
; %bb.3438:                             ;   in Loop: Header=BB4_3075 Depth=2
	s_mov_b32 s23, 0x7f800001
	s_xor_b32 s7, exec_lo, -1
; %bb.3439:                             ;   in Loop: Header=BB4_3075 Depth=2
	s_or_b32 exec_lo, exec_lo, s25
	s_delay_alu instid0(SALU_CYCLE_1)
	s_and_b32 s7, s7, exec_lo
                                        ; implicit-def: $vgpr103
	s_or_saveexec_b32 s24, s24
	v_mov_b32_e32 v66, s23
	s_xor_b32 exec_lo, exec_lo, s24
	s_cbranch_execz .LBB4_3289
.LBB4_3440:                             ;   in Loop: Header=BB4_3075 Depth=2
	v_cmp_ne_u16_e32 vcc_lo, 0, v103
	v_mov_b32_e32 v66, 0
	s_and_not1_b32 s7, s7, exec_lo
	s_and_b32 s23, vcc_lo, exec_lo
	s_delay_alu instid0(SALU_CYCLE_1)
	s_or_b32 s7, s7, s23
	s_or_b32 exec_lo, exec_lo, s24
	s_and_saveexec_b32 s23, s7
	s_cbranch_execnz .LBB4_3290
	s_branch .LBB4_3291
.LBB4_3441:                             ;   in Loop: Header=BB4_3075 Depth=2
	s_mov_b32 s7, -1
	s_mov_b32 s25, exec_lo
                                        ; implicit-def: $sgpr23
	v_cmpx_eq_u16_e32 0x80, v69
; %bb.3442:                             ;   in Loop: Header=BB4_3075 Depth=2
	s_mov_b32 s23, 0x7f800001
	s_xor_b32 s7, exec_lo, -1
; %bb.3443:                             ;   in Loop: Header=BB4_3075 Depth=2
	s_or_b32 exec_lo, exec_lo, s25
	s_delay_alu instid0(SALU_CYCLE_1)
	s_and_b32 s7, s7, exec_lo
                                        ; implicit-def: $vgpr69
	s_or_saveexec_b32 s24, s24
	v_mov_b32_e32 v66, s23
	s_xor_b32 exec_lo, exec_lo, s24
	s_cbranch_execz .LBB4_3301
.LBB4_3444:                             ;   in Loop: Header=BB4_3075 Depth=2
	v_cmp_ne_u16_e32 vcc_lo, 0, v69
	v_mov_b32_e32 v66, 0
	s_and_not1_b32 s7, s7, exec_lo
	s_and_b32 s23, vcc_lo, exec_lo
	s_delay_alu instid0(SALU_CYCLE_1)
	s_or_b32 s7, s7, s23
	s_or_b32 exec_lo, exec_lo, s24
	s_and_saveexec_b32 s23, s7
	s_cbranch_execnz .LBB4_3302
	s_branch .LBB4_3303
.LBB4_3445:                             ;   in Loop: Header=BB4_3075 Depth=2
	s_mov_b32 s7, -1
	s_mov_b32 s25, exec_lo
                                        ; implicit-def: $sgpr23
	v_cmpx_eq_u16_e32 0x80, v69
; %bb.3446:                             ;   in Loop: Header=BB4_3075 Depth=2
	s_mov_b32 s23, 0x7f800001
	s_xor_b32 s7, exec_lo, -1
; %bb.3447:                             ;   in Loop: Header=BB4_3075 Depth=2
	s_or_b32 exec_lo, exec_lo, s25
	s_delay_alu instid0(SALU_CYCLE_1)
	s_and_b32 s7, s7, exec_lo
                                        ; implicit-def: $vgpr69
	s_or_saveexec_b32 s24, s24
	v_mov_b32_e32 v25, s23
	s_xor_b32 exec_lo, exec_lo, s24
	s_cbranch_execz .LBB4_3305
.LBB4_3448:                             ;   in Loop: Header=BB4_3075 Depth=2
	v_cmp_ne_u16_e32 vcc_lo, 0, v69
	v_mov_b32_e32 v25, 0
	s_and_not1_b32 s7, s7, exec_lo
	s_and_b32 s23, vcc_lo, exec_lo
	s_delay_alu instid0(SALU_CYCLE_1)
	s_or_b32 s7, s7, s23
	s_or_b32 exec_lo, exec_lo, s24
	s_and_saveexec_b32 s23, s7
	s_cbranch_execnz .LBB4_3306
	s_branch .LBB4_3307
.LBB4_3449:                             ;   in Loop: Header=BB4_3075 Depth=2
	s_mov_b32 s7, -1
	s_mov_b32 s25, exec_lo
                                        ; implicit-def: $sgpr23
	v_cmpx_eq_u16_e32 0x80, v66
; %bb.3450:                             ;   in Loop: Header=BB4_3075 Depth=2
	s_mov_b32 s23, 0x7f800001
	s_xor_b32 s7, exec_lo, -1
; %bb.3451:                             ;   in Loop: Header=BB4_3075 Depth=2
	s_or_b32 exec_lo, exec_lo, s25
	s_delay_alu instid0(SALU_CYCLE_1)
	s_and_b32 s7, s7, exec_lo
                                        ; implicit-def: $vgpr66
	s_or_saveexec_b32 s24, s24
	v_mov_b32_e32 v25, s23
	s_xor_b32 exec_lo, exec_lo, s24
	s_cbranch_execz .LBB4_3317
.LBB4_3452:                             ;   in Loop: Header=BB4_3075 Depth=2
	v_cmp_ne_u16_e32 vcc_lo, 0, v66
	v_mov_b32_e32 v25, 0
	s_and_not1_b32 s7, s7, exec_lo
	s_and_b32 s23, vcc_lo, exec_lo
	s_delay_alu instid0(SALU_CYCLE_1)
	s_or_b32 s7, s7, s23
	s_or_b32 exec_lo, exec_lo, s24
	s_and_saveexec_b32 s23, s7
	s_cbranch_execnz .LBB4_3318
	s_branch .LBB4_3319
.LBB4_3453:                             ;   in Loop: Header=BB4_3075 Depth=2
	s_mov_b32 s7, -1
	s_mov_b32 s25, exec_lo
                                        ; implicit-def: $sgpr23
	v_cmpx_eq_u16_e32 0x80, v66
; %bb.3454:                             ;   in Loop: Header=BB4_3075 Depth=2
	s_mov_b32 s23, 0x7f800001
	s_xor_b32 s7, exec_lo, -1
; %bb.3455:                             ;   in Loop: Header=BB4_3075 Depth=2
	s_or_b32 exec_lo, exec_lo, s25
	s_delay_alu instid0(SALU_CYCLE_1)
	s_and_b32 s7, s7, exec_lo
                                        ; implicit-def: $vgpr66
	s_or_saveexec_b32 s24, s24
	v_mov_b32_e32 v22, s23
	s_xor_b32 exec_lo, exec_lo, s24
	s_cbranch_execz .LBB4_3321
.LBB4_3456:                             ;   in Loop: Header=BB4_3075 Depth=2
	v_cmp_ne_u16_e32 vcc_lo, 0, v66
	v_mov_b32_e32 v22, 0
	s_and_not1_b32 s7, s7, exec_lo
	s_and_b32 s23, vcc_lo, exec_lo
	s_delay_alu instid0(SALU_CYCLE_1)
	s_or_b32 s7, s7, s23
	s_or_b32 exec_lo, exec_lo, s24
	s_and_saveexec_b32 s23, s7
	s_cbranch_execnz .LBB4_3322
	s_branch .LBB4_3323
.LBB4_3457:                             ;   in Loop: Header=BB4_1821 Depth=1
	s_or_b32 exec_lo, exec_lo, s22
.LBB4_3458:                             ;   in Loop: Header=BB4_1821 Depth=1
	s_delay_alu instid0(SALU_CYCLE_1) | instskip(SKIP_1) | instid1(VALU_DEP_1)
	s_or_b32 exec_lo, exec_lo, s21
	v_lshlrev_b32_e32 v10, 9, v20
	v_cmp_ne_u32_e32 vcc_lo, v17, v10
	s_and_b32 exec_lo, exec_lo, vcc_lo
	s_cbranch_execz .LBB4_3487
; %bb.3459:                             ;   in Loop: Header=BB4_1821 Depth=1
	v_ashrrev_i32_e32 v11, 31, v18
	v_lshlrev_b32_e32 v12, 5, v19
	s_delay_alu instid0(VALU_DEP_2) | instskip(NEXT) | instid1(VALU_DEP_1)
	v_lshrrev_b32_e32 v11, 27, v11
	v_add_nc_u32_e32 v11, v18, v11
	s_delay_alu instid0(VALU_DEP_1) | instskip(NEXT) | instid1(VALU_DEP_1)
	v_and_b32_e32 v11, 0xffffffe0, v11
	v_sub_nc_u32_e32 v11, v18, v11
	s_delay_alu instid0(VALU_DEP_1) | instskip(NEXT) | instid1(VALU_DEP_1)
	v_sub_nc_u32_e32 v11, v11, v12
	v_add_nc_u32_e32 v10, v10, v11
	s_delay_alu instid0(VALU_DEP_1) | instskip(NEXT) | instid1(VALU_DEP_1)
	v_sub_nc_u32_e32 v17, v17, v10
	v_cmp_lt_i32_e32 vcc_lo, 0, v17
	s_and_b32 exec_lo, exec_lo, vcc_lo
	s_cbranch_execz .LBB4_3487
; %bb.3460:                             ;   in Loop: Header=BB4_1821 Depth=1
	s_cbranch_execnz .LBB4_4017
; %bb.3461:                             ;   in Loop: Header=BB4_1821 Depth=1
	ds_load_b128 v[11:14], v0
	ds_load_b64 v[18:19], v0
	v_add_nc_u32_e32 v15, v10, v16
	s_mov_b32 s21, 0
	s_delay_alu instid0(VALU_DEP_1) | instskip(SKIP_2) | instid1(VALU_DEP_2)
	v_ashrrev_i32_e32 v16, 31, v15
	s_waitcnt lgkmcnt(1)
	v_add_co_u32 v10, vcc_lo, v11, v15
	v_add_co_ci_u32_e32 v11, vcc_lo, v12, v16, vcc_lo
	v_add_co_u32 v12, vcc_lo, v13, v15
	v_add_co_ci_u32_e32 v13, vcc_lo, v14, v16, vcc_lo
	s_waitcnt lgkmcnt(0)
	v_add_co_u32 v14, vcc_lo, v18, v15
	v_add_co_ci_u32_e32 v15, vcc_lo, v19, v16, vcc_lo
	s_branch .LBB4_3465
.LBB4_3462:                             ;   in Loop: Header=BB4_3465 Depth=2
	s_or_b32 exec_lo, exec_lo, s7
	s_delay_alu instid0(VALU_DEP_1) | instskip(NEXT) | instid1(VALU_DEP_2)
	v_lshrrev_b32_e32 v19, 21, v19
	v_cmp_gt_i32_e32 vcc_lo, 32, v18
	v_lshrrev_b32_e32 v16, 24, v16
	v_min_i32_e32 v20, 31, v18
	s_delay_alu instid0(VALU_DEP_2) | instskip(NEXT) | instid1(VALU_DEP_2)
	v_dual_cndmask_b32 v19, 3, v19 :: v_dual_and_b32 v16, 0x80, v16
	v_lshlrev_b32_e32 v20, 2, v20
	s_delay_alu instid0(VALU_DEP_2) | instskip(NEXT) | instid1(VALU_DEP_1)
	v_or_b32_e32 v18, v18, v19
	v_cmp_ne_u32_e32 vcc_lo, 0, v18
	v_and_b32_e32 v21, 3, v19
	s_delay_alu instid0(VALU_DEP_1) | instskip(NEXT) | instid1(VALU_DEP_1)
	v_or3_b32 v16, v20, v16, v21
	v_cndmask_b32_e32 v18, 0, v16, vcc_lo
.LBB4_3463:                             ;   in Loop: Header=BB4_3465 Depth=2
	s_or_b32 exec_lo, exec_lo, s23
.LBB4_3464:                             ;   in Loop: Header=BB4_3465 Depth=2
	s_delay_alu instid0(SALU_CYCLE_1)
	s_or_b32 exec_lo, exec_lo, s22
	v_add_co_u32 v10, vcc_lo, v10, v71
	v_sub_nc_u32_e32 v17, v17, v71
	v_add_co_ci_u32_e32 v11, vcc_lo, v11, v99, vcc_lo
	v_add_co_u32 v12, vcc_lo, v12, v71
	v_add_co_ci_u32_e32 v13, vcc_lo, v13, v99, vcc_lo
	flat_store_b8 v[14:15], v18 glc slc dlc
	v_cmp_gt_i32_e32 vcc_lo, 1, v17
	v_add_co_u32 v14, s7, v14, v71
	s_delay_alu instid0(VALU_DEP_1) | instskip(SKIP_1) | instid1(SALU_CYCLE_1)
	v_add_co_ci_u32_e64 v15, s7, v15, v99, s7
	s_or_b32 s21, vcc_lo, s21
	s_and_not1_b32 exec_lo, exec_lo, s21
	s_cbranch_execz .LBB4_3487
.LBB4_3465:                             ;   Parent Loop BB4_1821 Depth=1
                                        ; =>  This Inner Loop Header: Depth=2
	flat_load_u8 v19, v[10:11] slc dlc
	flat_load_u8 v16, v[12:13] slc dlc
	s_mov_b32 s7, 0
	s_mov_b32 s23, exec_lo
                                        ; implicit-def: $sgpr22
	s_waitcnt vmcnt(1) lgkmcnt(1)
	v_cmpx_lt_i16_e32 0x7f, v19
	s_xor_b32 s23, exec_lo, s23
	s_cbranch_execnz .LBB4_3479
; %bb.3466:                             ;   in Loop: Header=BB4_3465 Depth=2
	s_or_saveexec_b32 s23, s23
	v_mov_b32_e32 v18, s22
	s_xor_b32 exec_lo, exec_lo, s23
	s_cbranch_execnz .LBB4_3482
.LBB4_3467:                             ;   in Loop: Header=BB4_3465 Depth=2
	s_or_b32 exec_lo, exec_lo, s23
	s_and_saveexec_b32 s22, s7
	s_cbranch_execz .LBB4_3469
.LBB4_3468:                             ;   in Loop: Header=BB4_3465 Depth=2
	v_and_b32_e32 v18, 0xffff, v19
	s_delay_alu instid0(VALU_DEP_1) | instskip(NEXT) | instid1(VALU_DEP_1)
	v_and_b32_e32 v20, 3, v18
	v_clz_i32_u32_e32 v21, v20
	s_delay_alu instid0(VALU_DEP_1) | instskip(NEXT) | instid1(VALU_DEP_1)
	v_min_u32_e32 v21, 32, v21
	v_subrev_nc_u32_e32 v22, 29, v21
	v_sub_nc_u32_e32 v21, 30, v21
	s_delay_alu instid0(VALU_DEP_2) | instskip(SKIP_1) | instid1(VALU_DEP_2)
	v_lshlrev_b32_e32 v22, v22, v18
	v_bfe_u32 v18, v18, 2, 5
	v_and_b32_e32 v22, 3, v22
	s_delay_alu instid0(VALU_DEP_2) | instskip(SKIP_1) | instid1(VALU_DEP_1)
	v_cmp_eq_u32_e32 vcc_lo, 0, v18
	v_dual_cndmask_b32 v18, v18, v21 :: v_dual_lshlrev_b32 v19, 24, v19
	v_dual_cndmask_b32 v20, v20, v22 :: v_dual_and_b32 v19, 0x80000000, v19
	s_delay_alu instid0(VALU_DEP_2) | instskip(NEXT) | instid1(VALU_DEP_2)
	v_lshl_add_u32 v18, v18, 23, 0x37800000
	v_lshlrev_b32_e32 v20, 21, v20
	s_delay_alu instid0(VALU_DEP_1)
	v_or3_b32 v18, v19, v18, v20
.LBB4_3469:                             ;   in Loop: Header=BB4_3465 Depth=2
	s_or_b32 exec_lo, exec_lo, s22
	s_waitcnt vmcnt(0) lgkmcnt(0)
	v_and_b32_e32 v20, 0xff, v16
	s_mov_b32 s7, 0
	s_mov_b32 s23, exec_lo
                                        ; implicit-def: $sgpr22
	s_delay_alu instid0(VALU_DEP_1)
	v_cmpx_lt_i16_e32 0x7f, v20
	s_xor_b32 s23, exec_lo, s23
	s_cbranch_execnz .LBB4_3483
; %bb.3470:                             ;   in Loop: Header=BB4_3465 Depth=2
	s_or_saveexec_b32 s23, s23
	v_mov_b32_e32 v19, s22
	s_xor_b32 exec_lo, exec_lo, s23
	s_cbranch_execnz .LBB4_3486
.LBB4_3471:                             ;   in Loop: Header=BB4_3465 Depth=2
	s_or_b32 exec_lo, exec_lo, s23
	s_and_saveexec_b32 s22, s7
	s_cbranch_execz .LBB4_3473
.LBB4_3472:                             ;   in Loop: Header=BB4_3465 Depth=2
	v_and_b32_e32 v19, 3, v16
	v_lshrrev_b16 v22, 2, v16
	s_delay_alu instid0(VALU_DEP_2) | instskip(NEXT) | instid1(VALU_DEP_1)
	v_clz_i32_u32_e32 v20, v19
	v_min_u32_e32 v20, 32, v20
	s_delay_alu instid0(VALU_DEP_1) | instskip(SKIP_1) | instid1(VALU_DEP_2)
	v_subrev_nc_u32_e32 v21, 29, v20
	v_sub_nc_u32_e32 v20, 30, v20
	v_lshlrev_b32_e32 v21, v21, v16
	v_lshlrev_b32_e32 v16, 24, v16
	s_delay_alu instid0(VALU_DEP_2) | instskip(SKIP_1) | instid1(VALU_DEP_3)
	v_and_b32_e32 v21, 3, v21
	v_and_b32_e32 v22, 31, v22
	;; [unrolled: 1-line block ×3, first 2 shown]
	s_delay_alu instid0(VALU_DEP_2) | instskip(NEXT) | instid1(VALU_DEP_4)
	v_cmp_eq_u32_e32 vcc_lo, 0, v22
	v_dual_cndmask_b32 v19, v19, v21 :: v_dual_cndmask_b32 v20, v22, v20
	s_delay_alu instid0(VALU_DEP_1) | instskip(NEXT) | instid1(VALU_DEP_2)
	v_lshlrev_b32_e32 v19, 21, v19
	v_lshl_add_u32 v20, v20, 23, 0x37800000
	s_delay_alu instid0(VALU_DEP_1)
	v_or3_b32 v19, v16, v20, v19
.LBB4_3473:                             ;   in Loop: Header=BB4_3465 Depth=2
	s_or_b32 exec_lo, exec_lo, s22
	s_delay_alu instid0(VALU_DEP_1) | instskip(NEXT) | instid1(VALU_DEP_1)
	v_mul_f32_e32 v16, v18, v19
	v_and_b32_e32 v18, 0x7f800000, v16
	s_delay_alu instid0(VALU_DEP_1)
	v_cmp_ne_u32_e32 vcc_lo, 0x7f800000, v18
	v_mov_b32_e32 v18, 0x80
	s_and_saveexec_b32 s22, vcc_lo
	s_cbranch_execz .LBB4_3464
; %bb.3474:                             ;   in Loop: Header=BB4_3465 Depth=2
	v_mov_b32_e32 v18, 0
	s_mov_b32 s23, exec_lo
	v_cmpx_ne_u32_e32 0, v16
	s_cbranch_execz .LBB4_3463
; %bb.3475:                             ;   in Loop: Header=BB4_3465 Depth=2
	v_bfe_u32 v18, v16, 23, 8
	v_and_b32_e32 v19, 0x7fffff, v16
	s_delay_alu instid0(VALU_DEP_2) | instskip(SKIP_1) | instid1(VALU_DEP_3)
	v_sub_nc_u32_e32 v20, 0x70, v18
	v_cmp_gt_u32_e32 vcc_lo, 0x71, v18
	v_or_b32_e32 v21, 0x800000, v19
	s_delay_alu instid0(VALU_DEP_3) | instskip(SKIP_1) | instid1(VALU_DEP_3)
	v_cndmask_b32_e32 v20, 0, v20, vcc_lo
	v_cmp_eq_u32_e32 vcc_lo, 0, v18
	v_dual_cndmask_b32 v19, v21, v19 :: v_dual_add_nc_u32 v18, 0xffffff91, v18
	s_delay_alu instid0(VALU_DEP_3) | instskip(NEXT) | instid1(VALU_DEP_2)
	v_cndmask_b32_e64 v20, v20, 0x6f, vcc_lo
	v_cndmask_b32_e64 v18, v18, 0xffffff92, vcc_lo
	s_delay_alu instid0(VALU_DEP_2) | instskip(SKIP_2) | instid1(VALU_DEP_4)
	v_lshrrev_b32_e32 v22, v20, v19
	v_lshl_add_u32 v21, 0x200000, v20, -1
	v_lshlrev_b32_e64 v24, v20, 0x100000
	v_add_nc_u32_e32 v20, v20, v18
	s_delay_alu instid0(VALU_DEP_4) | instskip(NEXT) | instid1(VALU_DEP_4)
	v_bfe_u32 v23, v22, 21, 1
	v_and_b32_e32 v19, v21, v19
	s_delay_alu instid0(VALU_DEP_2) | instskip(NEXT) | instid1(VALU_DEP_2)
	v_add_nc_u32_e32 v21, -1, v23
	v_cmp_eq_u32_e64 s7, v19, v24
	s_delay_alu instid0(VALU_DEP_1) | instskip(SKIP_2) | instid1(VALU_DEP_2)
	v_cndmask_b32_e64 v19, 0, v21, s7
	v_lshrrev_b32_e32 v21, 23, v22
	s_mov_b32 s7, exec_lo
	v_add_nc_u32_e32 v19, v19, v22
	s_delay_alu instid0(VALU_DEP_2) | instskip(NEXT) | instid1(VALU_DEP_2)
	v_xor_b32_e32 v21, 1, v21
	v_and_b32_e32 v18, 0x1fffff, v19
	s_delay_alu instid0(VALU_DEP_1) | instskip(NEXT) | instid1(VALU_DEP_3)
	v_add_nc_u32_e32 v19, v18, v22
                                        ; implicit-def: $vgpr18
	v_cmpx_ne_u32_e64 v20, v21
	s_xor_b32 s7, exec_lo, s7
; %bb.3476:                             ;   in Loop: Header=BB4_3465 Depth=2
	s_delay_alu instid0(VALU_DEP_2) | instskip(SKIP_2) | instid1(VALU_DEP_2)
	v_cmp_lt_u32_e32 vcc_lo, 0xffffff, v19
	v_sub_nc_u32_e32 v18, v20, v21
	v_cndmask_b32_e64 v20, 0, 1, vcc_lo
	v_add_co_ci_u32_e32 v18, vcc_lo, 0, v18, vcc_lo
	s_delay_alu instid0(VALU_DEP_2)
	v_lshrrev_b32_e32 v19, v20, v19
; %bb.3477:                             ;   in Loop: Header=BB4_3465 Depth=2
	s_and_not1_saveexec_b32 s7, s7
	s_cbranch_execz .LBB4_3462
; %bb.3478:                             ;   in Loop: Header=BB4_3465 Depth=2
	s_delay_alu instid0(VALU_DEP_1)
	v_bfe_u32 v18, v19, 23, 1
	s_branch .LBB4_3462
.LBB4_3479:                             ;   in Loop: Header=BB4_3465 Depth=2
	s_mov_b32 s7, -1
	s_mov_b32 s24, exec_lo
                                        ; implicit-def: $sgpr22
	v_cmpx_eq_u16_e32 0x80, v19
; %bb.3480:                             ;   in Loop: Header=BB4_3465 Depth=2
	s_mov_b32 s22, 0x7f800001
	s_xor_b32 s7, exec_lo, -1
; %bb.3481:                             ;   in Loop: Header=BB4_3465 Depth=2
	s_or_b32 exec_lo, exec_lo, s24
	s_delay_alu instid0(SALU_CYCLE_1)
	s_and_b32 s7, s7, exec_lo
	s_or_saveexec_b32 s23, s23
	v_mov_b32_e32 v18, s22
	s_xor_b32 exec_lo, exec_lo, s23
	s_cbranch_execz .LBB4_3467
.LBB4_3482:                             ;   in Loop: Header=BB4_3465 Depth=2
	v_cmp_ne_u16_e32 vcc_lo, 0, v19
	v_mov_b32_e32 v18, 0
	s_and_not1_b32 s7, s7, exec_lo
	s_and_b32 s22, vcc_lo, exec_lo
	s_delay_alu instid0(SALU_CYCLE_1)
	s_or_b32 s7, s7, s22
	s_or_b32 exec_lo, exec_lo, s23
	s_and_saveexec_b32 s22, s7
	s_cbranch_execnz .LBB4_3468
	s_branch .LBB4_3469
.LBB4_3483:                             ;   in Loop: Header=BB4_3465 Depth=2
	s_mov_b32 s7, -1
	s_mov_b32 s24, exec_lo
                                        ; implicit-def: $sgpr22
	v_cmpx_eq_u16_e32 0x80, v20
; %bb.3484:                             ;   in Loop: Header=BB4_3465 Depth=2
	s_mov_b32 s22, 0x7f800001
	s_xor_b32 s7, exec_lo, -1
; %bb.3485:                             ;   in Loop: Header=BB4_3465 Depth=2
	s_or_b32 exec_lo, exec_lo, s24
	s_delay_alu instid0(SALU_CYCLE_1)
	s_and_b32 s7, s7, exec_lo
                                        ; implicit-def: $vgpr20
	s_or_saveexec_b32 s23, s23
	v_mov_b32_e32 v19, s22
	s_xor_b32 exec_lo, exec_lo, s23
	s_cbranch_execz .LBB4_3471
.LBB4_3486:                             ;   in Loop: Header=BB4_3465 Depth=2
	v_cmp_ne_u16_e32 vcc_lo, 0, v20
	v_mov_b32_e32 v19, 0
	s_and_not1_b32 s7, s7, exec_lo
	s_and_b32 s22, vcc_lo, exec_lo
	s_delay_alu instid0(SALU_CYCLE_1)
	s_or_b32 s7, s7, s22
	s_or_b32 exec_lo, exec_lo, s23
	s_and_saveexec_b32 s22, s7
	s_cbranch_execnz .LBB4_3472
	s_branch .LBB4_3473
.LBB4_3487:                             ;   in Loop: Header=BB4_1821 Depth=1
	s_or_b32 exec_lo, exec_lo, s10
	v_cmp_ne_u32_e64 s7, 0, v50
.LBB4_3488:                             ;   in Loop: Header=BB4_1821 Depth=1
	s_and_saveexec_b32 s10, s2
	s_cbranch_execz .LBB4_3510
; %bb.3489:                             ;   in Loop: Header=BB4_1821 Depth=1
	s_and_saveexec_b32 s21, s3
	s_delay_alu instid0(SALU_CYCLE_1)
	s_xor_b32 s21, exec_lo, s21
	s_cbranch_execz .LBB4_3507
; %bb.3490:                             ;   in Loop: Header=BB4_1821 Depth=1
	s_and_saveexec_b32 s22, s4
	s_cbranch_execz .LBB4_3506
; %bb.3491:                             ;   in Loop: Header=BB4_1821 Depth=1
	s_mov_b32 s24, exec_lo
	s_mov_b32 s23, exec_lo
	v_mbcnt_lo_u32_b32 v10, s24, 0
	s_waitcnt lgkmcnt(0)
	s_waitcnt_vscnt null, 0x0
	buffer_gl1_inv
	buffer_gl0_inv
	v_cmpx_eq_u32_e32 0, v10
	s_cbranch_execz .LBB4_3493
; %bb.3492:                             ;   in Loop: Header=BB4_1821 Depth=1
	s_bcnt1_i32_b32 s24, s24
	s_delay_alu instid0(SALU_CYCLE_1)
	v_mov_b32_e32 v50, s24
	ds_add_u64 v0, v[50:51]
	s_cbranch_execnz .LBB4_4005
.LBB4_3493:                             ;   in Loop: Header=BB4_1821 Depth=1
	s_or_b32 exec_lo, exec_lo, s23
	s_cbranch_execnz .LBB4_3983
; %bb.3494:                             ;   in Loop: Header=BB4_1821 Depth=1
	ds_load_b64 v[10:11], v0
	v_add_co_u32 v38, vcc_lo, v38, v70
	v_add_co_ci_u32_e32 v39, vcc_lo, 0, v39, vcc_lo
	s_mov_b32 s23, exec_lo
	s_waitcnt lgkmcnt(0)
	s_delay_alu instid0(VALU_DEP_1)
	v_cmpx_lt_u64_e64 v[10:11], v[38:39]
	s_cbranch_execz .LBB4_3505
; %bb.3495:                             ;   in Loop: Header=BB4_1821 Depth=1
	s_mov_b32 s24, 0
	s_mov_b32 s27, 0
                                        ; implicit-def: $sgpr25
                                        ; implicit-def: $sgpr26
	s_branch .LBB4_3497
.LBB4_3496:                             ;   in Loop: Header=BB4_3497 Depth=2
	s_or_b32 exec_lo, exec_lo, vcc_hi
	s_delay_alu instid0(SALU_CYCLE_1) | instskip(NEXT) | instid1(SALU_CYCLE_1)
	s_and_b32 s28, exec_lo, s29
	s_or_b32 s24, s28, s24
	s_and_not1_b32 s25, s25, exec_lo
	s_and_b32 s28, s26, exec_lo
	s_delay_alu instid0(SALU_CYCLE_1)
	s_or_b32 s25, s25, s28
	s_and_not1_b32 exec_lo, exec_lo, s24
	s_cbranch_execz .LBB4_3503
.LBB4_3497:                             ;   Parent Loop BB4_1821 Depth=1
                                        ; =>  This Inner Loop Header: Depth=2
	s_add_i32 s27, s27, 1
                                        ; implicit-def: $sgpr29
	s_delay_alu instid0(SALU_CYCLE_1) | instskip(SKIP_1) | instid1(SALU_CYCLE_1)
	s_cmpk_lg_i32 s27, 0x2710
	s_cselect_b32 s28, -1, 0
	s_and_b32 vcc_lo, exec_lo, s28
	s_cbranch_vccz .LBB4_3501
.LBB4_3498:                             ;   in Loop: Header=BB4_3497 Depth=2
	s_and_not1_b32 s26, s26, exec_lo
	s_and_b32 vcc_lo, s29, exec_lo
	s_mov_b32 s29, -1
	s_or_b32 s26, s26, vcc_lo
	s_and_saveexec_b32 vcc_hi, s28
	s_cbranch_execz .LBB4_3496
; %bb.3499:                             ;   in Loop: Header=BB4_3497 Depth=2
	s_sleep 1
	s_cbranch_execnz .LBB4_4027
; %bb.3500:                             ;   in Loop: Header=BB4_3497 Depth=2
	ds_load_b64 v[10:11], v0
	s_and_not1_b32 s26, s26, exec_lo
	s_waitcnt lgkmcnt(0)
	v_cmp_ge_u64_e32 vcc_lo, v[10:11], v[38:39]
	s_or_not1_b32 s29, vcc_lo, exec_lo
	s_branch .LBB4_3496
.LBB4_3501:                             ;   in Loop: Header=BB4_3497 Depth=2
	s_cbranch_execnz .LBB4_4033
; %bb.3502:                             ;   in Loop: Header=BB4_3497 Depth=2
	ds_load_b64 v[10:11], v0
	s_and_not1_b32 s28, s28, exec_lo
	s_mov_b32 s27, 0
	s_mov_b32 s29, -1
	s_waitcnt lgkmcnt(0)
	flat_load_b32 v10, v[10:11] glc
	s_waitcnt vmcnt(0) lgkmcnt(0)
	buffer_gl1_inv
	buffer_gl0_inv
	v_cmp_eq_u32_e32 vcc_lo, 0, v10
	s_and_b32 vcc_lo, vcc_lo, exec_lo
	s_delay_alu instid0(SALU_CYCLE_1)
	s_or_b32 s28, s28, vcc_lo
	s_branch .LBB4_3498
.LBB4_3503:                             ;   in Loop: Header=BB4_1821 Depth=1
	s_or_b32 exec_lo, exec_lo, s24
	s_and_saveexec_b32 s24, s25
	s_delay_alu instid0(SALU_CYCLE_1)
	s_xor_b32 s24, exec_lo, s24
	s_cbranch_execz .LBB4_3505
; %bb.3504:                             ;   in Loop: Header=BB4_1821 Depth=1
	ds_store_b32 v0, v100
	s_cbranch_execnz .LBB4_4057
.LBB4_3505:                             ;   in Loop: Header=BB4_1821 Depth=1
	s_or_b32 exec_lo, exec_lo, s23
	;;#ASMSTART
	s_wakeup
	;;#ASMEND
.LBB4_3506:                             ;   in Loop: Header=BB4_1821 Depth=1
	s_or_b32 exec_lo, exec_lo, s22
.LBB4_3507:                             ;   in Loop: Header=BB4_1821 Depth=1
	s_and_not1_saveexec_b32 s21, s21
	s_cbranch_execz .LBB4_3509
; %bb.3508:                             ;   in Loop: Header=BB4_1821 Depth=1
	s_waitcnt lgkmcnt(0)
	s_waitcnt_vscnt null, 0x0
	buffer_gl1_inv
	buffer_gl0_inv
	s_barrier
.LBB4_3509:                             ;   in Loop: Header=BB4_1821 Depth=1
	s_or_b32 exec_lo, exec_lo, s21
.LBB4_3510:                             ;   in Loop: Header=BB4_1821 Depth=1
	s_delay_alu instid0(SALU_CYCLE_1) | instskip(SKIP_1) | instid1(VALU_DEP_1)
	s_or_b32 exec_lo, exec_lo, s10
	v_and_b32_e32 v10, 16, v30
	v_cmp_ne_u32_e32 vcc_lo, 0, v10
	s_and_b32 s10, vcc_lo, s7
	s_delay_alu instid0(SALU_CYCLE_1)
	s_and_saveexec_b32 s7, s10
	s_cbranch_execz .LBB4_3512
; %bb.3511:                             ;   in Loop: Header=BB4_1821 Depth=1
	s_waitcnt lgkmcnt(0)
	s_waitcnt_vscnt null, 0x0
	buffer_gl1_inv
	buffer_gl0_inv
.LBB4_3512:                             ;   in Loop: Header=BB4_1821 Depth=1
	s_or_b32 exec_lo, exec_lo, s7
	v_and_b32_e32 v10, 32, v30
	s_mov_b32 s7, exec_lo
	s_delay_alu instid0(VALU_DEP_1)
	v_cmpx_ne_u32_e32 0, v10
	s_cbranch_execz .LBB4_3514
; %bb.3513:                             ;   in Loop: Header=BB4_1821 Depth=1
	v_add_co_u32 v8, vcc_lo, v8, 1
	v_add_co_ci_u32_e32 v9, vcc_lo, 0, v9, vcc_lo
	s_waitcnt lgkmcnt(0)
	s_waitcnt_vscnt null, 0x0
	flat_store_b64 v[32:33], v[8:9]
.LBB4_3514:                             ;   in Loop: Header=BB4_1821 Depth=1
	s_or_b32 exec_lo, exec_lo, s7
	v_mov_b32_e32 v14, v55
.LBB4_3515:                             ;   in Loop: Header=BB4_1821 Depth=1
	s_or_b32 exec_lo, exec_lo, s20
	s_and_saveexec_b32 s10, s19
	s_cbranch_execz .LBB4_3568
; %bb.3516:                             ;   in Loop: Header=BB4_1821 Depth=1
	v_and_b32_e32 v10, 4, v30
	s_mov_b32 s19, -1
	s_mov_b32 s7, exec_lo
	s_delay_alu instid0(VALU_DEP_1)
	v_cmpx_ne_u32_e32 0, v10
	s_cbranch_execz .LBB4_3530
; %bb.3517:                             ;   in Loop: Header=BB4_1821 Depth=1
	s_waitcnt lgkmcnt(0)
	v_add_co_u32 v10, vcc_lo, v8, 1
	v_add_co_ci_u32_e32 v11, vcc_lo, 0, v9, vcc_lo
	v_mov_b32_e32 v12, 1
	s_mov_b32 s19, exec_lo
	s_delay_alu instid0(VALU_DEP_2)
	v_cmpx_lt_u64_e64 v[36:37], v[10:11]
	s_cbranch_execz .LBB4_3529
; %bb.3518:                             ;   in Loop: Header=BB4_1821 Depth=1
	v_mov_b32_e32 v12, 0
	s_mov_b32 s20, 0
                                        ; implicit-def: $sgpr21
	s_branch .LBB4_3522
.LBB4_3519:                             ;   in Loop: Header=BB4_3522 Depth=2
	s_or_b32 exec_lo, exec_lo, s25
	v_mov_b32_e32 v13, 0
	s_or_not1_b32 s24, s24, exec_lo
.LBB4_3520:                             ;   in Loop: Header=BB4_3522 Depth=2
	s_or_b32 exec_lo, exec_lo, s23
	s_delay_alu instid0(VALU_DEP_1) | instskip(SKIP_2) | instid1(SALU_CYCLE_1)
	v_mov_b32_e32 v12, v13
	s_and_not1_b32 s21, s21, exec_lo
	s_and_b32 s23, s24, exec_lo
	s_or_b32 s21, s21, s23
.LBB4_3521:                             ;   in Loop: Header=BB4_3522 Depth=2
	s_or_b32 exec_lo, exec_lo, s22
	s_waitcnt vmcnt(0) lgkmcnt(0)
	v_cmp_ge_u64_e32 vcc_lo, v[36:37], v[10:11]
	s_xor_b32 s22, s21, -1
	s_delay_alu instid0(SALU_CYCLE_1) | instskip(NEXT) | instid1(SALU_CYCLE_1)
	s_or_b32 s22, s22, vcc_lo
	s_and_b32 s22, exec_lo, s22
	s_delay_alu instid0(SALU_CYCLE_1) | instskip(NEXT) | instid1(SALU_CYCLE_1)
	s_or_b32 s20, s22, s20
	s_and_not1_b32 exec_lo, exec_lo, s20
	s_cbranch_execz .LBB4_3528
.LBB4_3522:                             ;   Parent Loop BB4_1821 Depth=1
                                        ; =>  This Inner Loop Header: Depth=2
	s_sleep 1
	flat_load_b64 v[36:37], v[32:33] glc
	v_and_b32_e32 v13, 64, v30
	s_and_not1_b32 s21, s21, exec_lo
	s_mov_b32 s22, exec_lo
	s_delay_alu instid0(VALU_DEP_1)
	v_cmpx_eq_u32_e32 0, v13
	s_cbranch_execz .LBB4_3521
; %bb.3523:                             ;   in Loop: Header=BB4_3522 Depth=2
	v_add_nc_u32_e32 v13, 1, v12
	s_mov_b32 s24, -1
	s_mov_b32 s23, exec_lo
	v_cmpx_lt_i32_e32 0x270e, v12
	s_cbranch_execz .LBB4_3520
; %bb.3524:                             ;   in Loop: Header=BB4_3522 Depth=2
	s_cbranch_execnz .LBB4_3887
; %bb.3525:                             ;   in Loop: Header=BB4_3522 Depth=2
	ds_load_b64 v[12:13], v0
	s_mov_b32 s25, exec_lo
	s_waitcnt vmcnt(0) lgkmcnt(0)
	s_waitcnt_vscnt null, 0x0
	flat_load_b32 v12, v[12:13] glc
	s_waitcnt vmcnt(0) lgkmcnt(0)
	buffer_gl1_inv
	buffer_gl0_inv
	v_cmpx_ne_u32_e32 0, v12
	s_cbranch_execz .LBB4_3519
; %bb.3526:                             ;   in Loop: Header=BB4_3522 Depth=2
	ds_store_b32 v0, v12
	s_cbranch_execnz .LBB4_3917
; %bb.3527:                             ;   in Loop: Header=BB4_3522 Depth=2
	v_or_b32_e32 v30, 64, v30
	s_xor_b32 s24, exec_lo, -1
	s_branch .LBB4_3519
.LBB4_3528:                             ;   in Loop: Header=BB4_1821 Depth=1
	s_or_b32 exec_lo, exec_lo, s20
	v_and_b32_e32 v12, 4, v30
.LBB4_3529:                             ;   in Loop: Header=BB4_1821 Depth=1
	s_or_b32 exec_lo, exec_lo, s19
	s_delay_alu instid0(VALU_DEP_1)
	v_cmp_eq_u32_e32 vcc_lo, 0, v12
	;;#ASMSTART
	s_wakeup
	;;#ASMEND
	s_or_not1_b32 s19, vcc_lo, exec_lo
.LBB4_3530:                             ;   in Loop: Header=BB4_1821 Depth=1
	s_or_b32 exec_lo, exec_lo, s7
	s_xor_b32 s7, s19, -1
	s_delay_alu instid0(SALU_CYCLE_1)
	s_and_saveexec_b32 s19, s7
	s_cbranch_execz .LBB4_3540
; %bb.3531:                             ;   in Loop: Header=BB4_1821 Depth=1
	v_and_b32_e32 v10, 0x100, v30
	s_waitcnt lgkmcnt(0)
	v_and_b32_e32 v15, 7, v8
	s_mov_b32 s7, -1
	s_delay_alu instid0(VALU_DEP_2)
	v_cmp_ne_u32_e32 vcc_lo, 0, v10
                                        ; implicit-def: $vgpr10_vgpr11
	s_and_saveexec_b32 s20, vcc_lo
	s_cbranch_execz .LBB4_3535
; %bb.3532:                             ;   in Loop: Header=BB4_1821 Depth=1
	v_mad_u64_u32 v[12:13], null, v15, 24, v[6:7]
	flat_load_b32 v10, v[12:13]
	s_waitcnt vmcnt(0) lgkmcnt(0)
	v_cmp_ne_u32_e32 vcc_lo, 1, v10
	v_cmp_eq_u32_e64 s7, 1, v10
                                        ; implicit-def: $vgpr10_vgpr11
	s_delay_alu instid0(VALU_DEP_1)
	s_and_saveexec_b32 s21, s7
	s_cbranch_execz .LBB4_3534
; %bb.3533:                             ;   in Loop: Header=BB4_1821 Depth=1
	flat_load_b32 v10, v[12:13] offset:4 glc
	s_waitcnt vmcnt(0) lgkmcnt(0)
	v_ashrrev_i32_e32 v11, 31, v10
.LBB4_3534:                             ;   in Loop: Header=BB4_1821 Depth=1
	s_or_b32 exec_lo, exec_lo, s21
	s_delay_alu instid0(SALU_CYCLE_1)
	s_or_not1_b32 s7, vcc_lo, exec_lo
.LBB4_3535:                             ;   in Loop: Header=BB4_1821 Depth=1
	s_or_b32 exec_lo, exec_lo, s20
	s_and_saveexec_b32 s20, s7
; %bb.3536:                             ;   in Loop: Header=BB4_1821 Depth=1
	v_mad_i64_i32 v[10:11], null, v15, v81, 0
; %bb.3537:                             ;   in Loop: Header=BB4_1821 Depth=1
	s_or_b32 exec_lo, exec_lo, s20
	s_delay_alu instid0(VALU_DEP_1) | instskip(SKIP_1) | instid1(VALU_DEP_3)
	v_add_co_u32 v10, vcc_lo, v34, v10
	v_and_b32_e32 v12, 0x2000, v30
	v_add_co_ci_u32_e32 v11, vcc_lo, v35, v11, vcc_lo
	s_mov_b32 s7, exec_lo
	ds_store_b64 v0, v[10:11] offset:728
	v_cmpx_ne_u32_e32 0, v12
	s_cbranch_execz .LBB4_3539
; %bb.3538:                             ;   in Loop: Header=BB4_1821 Depth=1
	ds_load_b64 v[10:11], v0 offset:584
	s_waitcnt lgkmcnt(0)
	v_add_co_u32 v10, vcc_lo, v10, 1
	v_add_co_ci_u32_e32 v11, vcc_lo, 0, v11, vcc_lo
	ds_store_b64 v0, v[10:11] offset:584
.LBB4_3539:                             ;   in Loop: Header=BB4_1821 Depth=1
	s_or_b32 exec_lo, exec_lo, s7
	v_add_co_u32 v8, vcc_lo, v8, 1
	v_add_co_ci_u32_e32 v9, vcc_lo, 0, v9, vcc_lo
.LBB4_3540:                             ;   in Loop: Header=BB4_1821 Depth=1
	s_or_b32 exec_lo, exec_lo, s19
	s_and_saveexec_b32 s7, s2
	s_cbranch_execz .LBB4_3562
; %bb.3541:                             ;   in Loop: Header=BB4_1821 Depth=1
	s_and_saveexec_b32 s19, s3
	s_delay_alu instid0(SALU_CYCLE_1)
	s_xor_b32 s19, exec_lo, s19
	s_cbranch_execz .LBB4_3559
; %bb.3542:                             ;   in Loop: Header=BB4_1821 Depth=1
	s_and_saveexec_b32 s20, s4
	s_cbranch_execz .LBB4_3558
; %bb.3543:                             ;   in Loop: Header=BB4_1821 Depth=1
	s_mov_b32 s22, exec_lo
	s_mov_b32 s21, exec_lo
	v_mbcnt_lo_u32_b32 v10, s22, 0
	s_waitcnt lgkmcnt(0)
	s_waitcnt_vscnt null, 0x0
	buffer_gl1_inv
	buffer_gl0_inv
	v_cmpx_eq_u32_e32 0, v10
	s_cbranch_execz .LBB4_3545
; %bb.3544:                             ;   in Loop: Header=BB4_1821 Depth=1
	s_bcnt1_i32_b32 s22, s22
	s_delay_alu instid0(SALU_CYCLE_1)
	v_mov_b32_e32 v50, s22
	ds_add_u64 v0, v[50:51]
	s_cbranch_execnz .LBB4_3933
.LBB4_3545:                             ;   in Loop: Header=BB4_1821 Depth=1
	s_or_b32 exec_lo, exec_lo, s21
	s_cbranch_execnz .LBB4_3919
; %bb.3546:                             ;   in Loop: Header=BB4_1821 Depth=1
	ds_load_b64 v[10:11], v0
	v_add_co_u32 v38, vcc_lo, v38, v70
	v_add_co_ci_u32_e32 v39, vcc_lo, 0, v39, vcc_lo
	s_mov_b32 s21, exec_lo
	s_waitcnt lgkmcnt(0)
	s_delay_alu instid0(VALU_DEP_1)
	v_cmpx_lt_u64_e64 v[10:11], v[38:39]
	s_cbranch_execz .LBB4_3557
; %bb.3547:                             ;   in Loop: Header=BB4_1821 Depth=1
	s_mov_b32 s22, 0
	s_mov_b32 s25, 0
                                        ; implicit-def: $sgpr23
                                        ; implicit-def: $sgpr24
	s_branch .LBB4_3549
.LBB4_3548:                             ;   in Loop: Header=BB4_3549 Depth=2
	s_or_b32 exec_lo, exec_lo, s28
	s_delay_alu instid0(SALU_CYCLE_1) | instskip(NEXT) | instid1(SALU_CYCLE_1)
	s_and_b32 s26, exec_lo, s27
	s_or_b32 s22, s26, s22
	s_and_not1_b32 s23, s23, exec_lo
	s_and_b32 s26, s24, exec_lo
	s_delay_alu instid0(SALU_CYCLE_1)
	s_or_b32 s23, s23, s26
	s_and_not1_b32 exec_lo, exec_lo, s22
	s_cbranch_execz .LBB4_3555
.LBB4_3549:                             ;   Parent Loop BB4_1821 Depth=1
                                        ; =>  This Inner Loop Header: Depth=2
	s_add_i32 s25, s25, 1
                                        ; implicit-def: $sgpr27
	s_delay_alu instid0(SALU_CYCLE_1) | instskip(SKIP_1) | instid1(SALU_CYCLE_1)
	s_cmpk_lg_i32 s25, 0x2710
	s_cselect_b32 s26, -1, 0
	s_and_b32 vcc_lo, exec_lo, s26
	s_cbranch_vccz .LBB4_3553
.LBB4_3550:                             ;   in Loop: Header=BB4_3549 Depth=2
	s_and_not1_b32 s24, s24, exec_lo
	s_and_b32 s28, s27, exec_lo
	s_mov_b32 s27, -1
	s_or_b32 s24, s24, s28
	s_and_saveexec_b32 s28, s26
	s_cbranch_execz .LBB4_3548
; %bb.3551:                             ;   in Loop: Header=BB4_3549 Depth=2
	s_sleep 1
	s_cbranch_execnz .LBB4_3977
; %bb.3552:                             ;   in Loop: Header=BB4_3549 Depth=2
	ds_load_b64 v[10:11], v0
	s_and_not1_b32 s24, s24, exec_lo
	s_waitcnt lgkmcnt(0)
	v_cmp_ge_u64_e32 vcc_lo, v[10:11], v[38:39]
	s_or_not1_b32 s27, vcc_lo, exec_lo
	s_branch .LBB4_3548
.LBB4_3553:                             ;   in Loop: Header=BB4_3549 Depth=2
	s_cbranch_execnz .LBB4_3999
; %bb.3554:                             ;   in Loop: Header=BB4_3549 Depth=2
	ds_load_b64 v[10:11], v0
	s_and_not1_b32 s26, s26, exec_lo
	s_mov_b32 s25, 0
	s_mov_b32 s27, -1
	s_waitcnt lgkmcnt(0)
	flat_load_b32 v10, v[10:11] glc
	s_waitcnt vmcnt(0) lgkmcnt(0)
	buffer_gl1_inv
	buffer_gl0_inv
	v_cmp_eq_u32_e32 vcc_lo, 0, v10
	s_and_b32 s28, vcc_lo, exec_lo
	s_delay_alu instid0(SALU_CYCLE_1)
	s_or_b32 s26, s26, s28
	s_branch .LBB4_3550
.LBB4_3555:                             ;   in Loop: Header=BB4_1821 Depth=1
	s_or_b32 exec_lo, exec_lo, s22
	s_and_saveexec_b32 s22, s23
	s_delay_alu instid0(SALU_CYCLE_1)
	s_xor_b32 s22, exec_lo, s22
	s_cbranch_execz .LBB4_3557
; %bb.3556:                             ;   in Loop: Header=BB4_1821 Depth=1
	ds_store_b32 v0, v100
	s_cbranch_execnz .LBB4_4047
.LBB4_3557:                             ;   in Loop: Header=BB4_1821 Depth=1
	s_or_b32 exec_lo, exec_lo, s21
	;;#ASMSTART
	s_wakeup
	;;#ASMEND
.LBB4_3558:                             ;   in Loop: Header=BB4_1821 Depth=1
	s_or_b32 exec_lo, exec_lo, s20
.LBB4_3559:                             ;   in Loop: Header=BB4_1821 Depth=1
	s_and_not1_saveexec_b32 s19, s19
	s_cbranch_execz .LBB4_3561
; %bb.3560:                             ;   in Loop: Header=BB4_1821 Depth=1
	s_waitcnt lgkmcnt(0)
	s_waitcnt_vscnt null, 0x0
	buffer_gl1_inv
	buffer_gl0_inv
	s_barrier
.LBB4_3561:                             ;   in Loop: Header=BB4_1821 Depth=1
	s_or_b32 exec_lo, exec_lo, s19
.LBB4_3562:                             ;   in Loop: Header=BB4_1821 Depth=1
	s_delay_alu instid0(SALU_CYCLE_1)
	s_or_b32 exec_lo, exec_lo, s7
	s_cbranch_execnz .LBB4_3858
; %bb.3563:                             ;   in Loop: Header=BB4_1821 Depth=1
	ds_load_b32 v10, v0
	v_sub_nc_u32_e32 v11, v54, v14
	s_delay_alu instid0(VALU_DEP_1) | instskip(NEXT) | instid1(VALU_DEP_1)
	v_min_i32_e32 v11, v55, v11
	v_cmp_lt_i32_e32 vcc_lo, 0, v11
	s_waitcnt lgkmcnt(0)
	v_readfirstlane_b32 s7, v10
	v_and_b32_e32 v10, 16, v30
	s_delay_alu instid0(VALU_DEP_2) | instskip(NEXT) | instid1(VALU_DEP_1)
	s_cmp_eq_u32 s7, 0
	v_cmp_ne_u32_e64 s7, 0, v10
	s_cselect_b32 s19, -1, 0
	s_delay_alu instid0(SALU_CYCLE_1)
	s_and_b32 s19, vcc_lo, s19
	s_delay_alu instid0(VALU_DEP_1) | instid1(SALU_CYCLE_1)
	s_and_b32 s19, s7, s19
	s_delay_alu instid0(SALU_CYCLE_1)
	s_and_saveexec_b32 s7, s19
	s_cbranch_execz .LBB4_3565
; %bb.3564:                             ;   in Loop: Header=BB4_1821 Depth=1
	s_waitcnt_vscnt null, 0x0
	buffer_gl1_inv
	buffer_gl0_inv
.LBB4_3565:                             ;   in Loop: Header=BB4_1821 Depth=1
	s_or_b32 exec_lo, exec_lo, s7
	v_and_b32_e32 v10, 32, v30
	s_mov_b32 s7, exec_lo
	s_delay_alu instid0(VALU_DEP_1)
	v_cmpx_ne_u32_e32 0, v10
	s_cbranch_execz .LBB4_3567
; %bb.3566:                             ;   in Loop: Header=BB4_1821 Depth=1
	v_add_co_u32 v8, vcc_lo, v8, 1
	v_add_co_ci_u32_e32 v9, vcc_lo, 0, v9, vcc_lo
	s_waitcnt_vscnt null, 0x0
	flat_store_b64 v[32:33], v[8:9]
.LBB4_3567:                             ;   in Loop: Header=BB4_1821 Depth=1
	s_or_b32 exec_lo, exec_lo, s7
.LBB4_3568:                             ;   in Loop: Header=BB4_1821 Depth=1
	s_delay_alu instid0(SALU_CYCLE_1) | instskip(SKIP_2) | instid1(VALU_DEP_1)
	s_or_b32 exec_lo, exec_lo, s10
	v_add_co_u32 v52, vcc_lo, v52, v48
	v_add_co_ci_u32_e32 v53, vcc_lo, 0, v53, vcc_lo
	v_cmp_ge_u64_e32 vcc_lo, v[52:53], v[4:5]
	s_or_b32 s16, vcc_lo, s16
	s_delay_alu instid0(SALU_CYCLE_1)
	s_and_not1_b32 exec_lo, exec_lo, s16
	s_cbranch_execnz .LBB4_1821
; %bb.3569:
	s_or_b32 exec_lo, exec_lo, s16
.LBB4_3570:
	s_delay_alu instid0(SALU_CYCLE_1)
	s_or_b32 exec_lo, exec_lo, s12
.LBB4_3571:
	s_delay_alu instid0(SALU_CYCLE_1)
	s_or_b32 exec_lo, exec_lo, s11
                                        ; implicit-def: $vgpr26_vgpr27
                                        ; implicit-def: $vgpr4_vgpr5
                                        ; implicit-def: $vgpr50_vgpr51
                                        ; implicit-def: $vgpr81
                                        ; implicit-def: $vgpr36_vgpr37
                                        ; implicit-def: $vgpr34_vgpr35
                                        ; implicit-def: $vgpr32_vgpr33
                                        ; implicit-def: $vgpr0
                                        ; implicit-def: $vgpr54
                                        ; implicit-def: $vgpr48_vgpr49
.LBB4_3572:
	s_and_not1_saveexec_b32 s12, s15
	s_cbranch_execz .LBB4_3770
; %bb.3573:
	v_mov_b32_e32 v38, 0
	v_mov_b32_e32 v39, 0
	s_mov_b32 s15, exec_lo
	v_cmpx_ne_u64_e32 0, v[4:5]
	s_cbranch_execz .LBB4_3769
; %bb.3574:
	v_cmp_ge_i32_e64 s1, v0, v1
	s_cbranch_execnz .LBB4_3799
; %bb.3575:
	v_ashrrev_i32_e32 v10, 31, v0
	v_lshrrev_b32_e32 v19, 5, v1
	v_dual_mov_b32 v65, 1 :: v_dual_and_b32 v12, 31, v31
	s_ashr_i32 s4, s14, 31
	s_delay_alu instid0(VALU_DEP_3)
	v_lshrrev_b32_e32 v10, 27, v10
	s_lshr_b32 s4, s4, 24
	s_waitcnt lgkmcnt(0)
	v_and_b32_e32 v20, 0xffffffe0, v1
	s_add_i32 s14, s14, s4
	v_cmp_eq_u32_e64 s4, 0, v12
	v_dual_mov_b32 v11, 0 :: v_dual_add_nc_u32 v10, v0, v10
	v_cmp_eq_u32_e32 vcc_lo, 32, v1
	v_cmp_ne_u32_e64 s2, 32, v1
	v_cmp_ne_u32_e64 s3, v80, v1
	s_delay_alu instid0(VALU_DEP_4)
	v_and_b32_e32 v13, 0xffffffe0, v10
	v_ashrrev_i32_e32 v21, 5, v10
	v_lshl_add_u32 v10, v19, 11, 0xfffff800
	s_ashr_i32 s16, s14, 8
	s_mov_b32 s14, 0
	v_sub_nc_u32_e32 v23, v0, v13
	v_lshlrev_b32_e32 v13, 11, v21
	v_ashrrev_i32_e32 v12, 31, v10
	v_add_co_u32 v25, s5, 0x800, v10
	s_delay_alu instid0(VALU_DEP_4) | instskip(NEXT) | instid1(VALU_DEP_4)
	v_cmp_lt_i32_e64 s6, v23, v54
	v_lshl_add_u32 v24, v23, 4, v13
	s_delay_alu instid0(VALU_DEP_4)
	v_add_co_ci_u32_e64 v52, s5, 0, v12, s5
	v_mov_b32_e32 v12, 0
	v_dual_mov_b32 v13, 0 :: v_dual_lshlrev_b32 v22, 9, v19
	v_cmp_gt_i32_e64 s5, 1, v23
	v_ashrrev_i32_e32 v53, 31, v24
	v_ashrrev_i32_e32 v64, 31, v20
	s_delay_alu instid0(VALU_DEP_4) | instskip(SKIP_2) | instid1(VALU_DEP_2)
	v_dual_mov_b32 v39, v13 :: v_dual_add_nc_u32 v14, 0xfffffe00, v22
	v_mov_b32_e32 v38, v12
	s_xor_b32 s17, vcc_lo, -1
	v_ashrrev_i32_e32 v10, 31, v14
	v_add_co_u32 v54, s7, 0x200, v14
	s_delay_alu instid0(VALU_DEP_1)
	v_add_co_ci_u32_e64 v55, s7, 0, v10, s7
	v_cmp_ne_u64_e64 s7, 0, v[50:51]
.LBB4_3576:                             ; =>This Loop Header: Depth=1
                                        ;     Child Loop BB4_3586 Depth 2
                                        ;     Child Loop BB4_3613 Depth 2
	;; [unrolled: 1-line block ×10, first 2 shown]
	v_sub_co_u32 v14, vcc_lo, v4, v12
	v_sub_co_ci_u32_e32 v15, vcc_lo, v5, v13, vcc_lo
	v_mov_b32_e32 v17, 0
	s_delay_alu instid0(VALU_DEP_2) | instskip(SKIP_2) | instid1(VALU_DEP_2)
	v_cmp_lt_u64_e32 vcc_lo, v[48:49], v[14:15]
	v_cndmask_b32_e32 v14, v14, v48, vcc_lo
	v_cndmask_b32_e64 v15, v15, 0, vcc_lo
	v_add_nc_u32_e32 v10, 15, v14
	s_delay_alu instid0(VALU_DEP_2) | instskip(NEXT) | instid1(VALU_DEP_2)
	v_cmp_eq_u64_e32 vcc_lo, 0, v[14:15]
	v_and_b32_e32 v10, 0x7ffffff0, v10
	s_or_b32 s18, s1, vcc_lo
	s_delay_alu instid0(SALU_CYCLE_1) | instskip(NEXT) | instid1(VALU_DEP_1)
	s_xor_b32 s10, s18, -1
	v_max_i32_e32 v10, s16, v10
	s_and_saveexec_b32 s19, s10
	s_cbranch_execz .LBB4_3712
; %bb.3577:                             ;   in Loop: Header=BB4_3576 Depth=1
	s_and_saveexec_b32 s10, s0
	s_cbranch_execz .LBB4_3580
; %bb.3578:                             ;   in Loop: Header=BB4_3576 Depth=1
	s_cbranch_execnz .LBB4_3840
; %bb.3579:                             ;   in Loop: Header=BB4_3576 Depth=1
	ds_load_b64 v[15:16], v0
	s_waitcnt lgkmcnt(0)
	v_add_co_u32 v17, vcc_lo, v15, v26
	v_add_co_ci_u32_e32 v16, vcc_lo, v16, v27, vcc_lo
	v_mov_b32_e32 v15, v11
	s_delay_alu instid0(VALU_DEP_3) | instskip(NEXT) | instid1(VALU_DEP_3)
	v_add_co_u32 v17, vcc_lo, v17, v12
	v_add_co_ci_u32_e32 v18, vcc_lo, v16, v13, vcc_lo
	v_mov_b32_e32 v16, v11
	ds_store_b64 v0, v[17:18]
	ds_store_b64 v0, v[15:16]
.LBB4_3580:                             ;   in Loop: Header=BB4_3576 Depth=1
	s_or_b32 exec_lo, exec_lo, s10
	v_and_b32_e32 v15, 8, v30
	s_mov_b32 s11, -1
	s_mov_b32 s10, exec_lo
	s_delay_alu instid0(VALU_DEP_1)
	v_cmpx_ne_u32_e32 0, v15
	s_cbranch_execz .LBB4_3594
; %bb.3581:                             ;   in Loop: Header=BB4_3576 Depth=1
	v_add_co_u32 v17, vcc_lo, v36, 8
	v_add_co_ci_u32_e32 v18, vcc_lo, 0, v37, vcc_lo
	v_add_co_u32 v15, vcc_lo, v8, 1
	v_add_co_ci_u32_e32 v16, vcc_lo, 0, v9, vcc_lo
	s_delay_alu instid0(VALU_DEP_1)
	v_cmp_lt_u64_e32 vcc_lo, v[17:18], v[15:16]
	v_mov_b32_e32 v17, 1
	s_and_saveexec_b32 s11, vcc_lo
	s_cbranch_execz .LBB4_3593
; %bb.3582:                             ;   in Loop: Header=BB4_3576 Depth=1
	v_mov_b32_e32 v17, 0
	s_mov_b32 s20, 0
                                        ; implicit-def: $sgpr21
	s_branch .LBB4_3586
.LBB4_3583:                             ;   in Loop: Header=BB4_3586 Depth=2
	s_or_b32 exec_lo, exec_lo, s25
	v_mov_b32_e32 v18, 0
	s_or_not1_b32 s24, s24, exec_lo
.LBB4_3584:                             ;   in Loop: Header=BB4_3586 Depth=2
	s_or_b32 exec_lo, exec_lo, s23
	s_delay_alu instid0(VALU_DEP_1) | instskip(SKIP_2) | instid1(SALU_CYCLE_1)
	v_mov_b32_e32 v17, v18
	s_and_not1_b32 s21, s21, exec_lo
	s_and_b32 s23, s24, exec_lo
	s_or_b32 s21, s21, s23
.LBB4_3585:                             ;   in Loop: Header=BB4_3586 Depth=2
	s_or_b32 exec_lo, exec_lo, s22
	s_waitcnt vmcnt(0) lgkmcnt(0)
	v_add_co_u32 v66, vcc_lo, v36, 8
	v_add_co_ci_u32_e32 v67, vcc_lo, 0, v37, vcc_lo
	s_xor_b32 s22, s21, -1
	s_delay_alu instid0(VALU_DEP_1) | instskip(SKIP_1) | instid1(SALU_CYCLE_1)
	v_cmp_ge_u64_e32 vcc_lo, v[66:67], v[15:16]
	s_or_b32 s22, s22, vcc_lo
	s_and_b32 s22, exec_lo, s22
	s_delay_alu instid0(SALU_CYCLE_1) | instskip(NEXT) | instid1(SALU_CYCLE_1)
	s_or_b32 s20, s22, s20
	s_and_not1_b32 exec_lo, exec_lo, s20
	s_cbranch_execz .LBB4_3592
.LBB4_3586:                             ;   Parent Loop BB4_3576 Depth=1
                                        ; =>  This Inner Loop Header: Depth=2
	s_sleep 1
	flat_load_b64 v[36:37], v[32:33] glc
	v_and_b32_e32 v18, 64, v30
	s_and_not1_b32 s21, s21, exec_lo
	s_mov_b32 s22, exec_lo
	s_delay_alu instid0(VALU_DEP_1)
	v_cmpx_eq_u32_e32 0, v18
	s_cbranch_execz .LBB4_3585
; %bb.3587:                             ;   in Loop: Header=BB4_3586 Depth=2
	v_add_nc_u32_e32 v18, 1, v17
	s_mov_b32 s24, -1
	s_mov_b32 s23, exec_lo
	v_cmpx_lt_i32_e32 0x270e, v17
	s_cbranch_execz .LBB4_3584
; %bb.3588:                             ;   in Loop: Header=BB4_3586 Depth=2
	s_cbranch_execnz .LBB4_3846
; %bb.3589:                             ;   in Loop: Header=BB4_3586 Depth=2
	ds_load_b64 v[17:18], v0
	s_mov_b32 s25, exec_lo
	s_waitcnt vmcnt(0) lgkmcnt(0)
	s_waitcnt_vscnt null, 0x0
	flat_load_b32 v17, v[17:18] glc
	s_waitcnt vmcnt(0) lgkmcnt(0)
	buffer_gl1_inv
	buffer_gl0_inv
	v_cmpx_ne_u32_e32 0, v17
	s_cbranch_execz .LBB4_3583
; %bb.3590:                             ;   in Loop: Header=BB4_3586 Depth=2
	ds_store_b32 v0, v17
	s_cbranch_execnz .LBB4_3889
; %bb.3591:                             ;   in Loop: Header=BB4_3586 Depth=2
	v_or_b32_e32 v30, 64, v30
	s_xor_b32 s24, exec_lo, -1
	s_branch .LBB4_3583
.LBB4_3592:                             ;   in Loop: Header=BB4_3576 Depth=1
	s_or_b32 exec_lo, exec_lo, s20
	v_and_b32_e32 v17, 8, v30
.LBB4_3593:                             ;   in Loop: Header=BB4_3576 Depth=1
	s_or_b32 exec_lo, exec_lo, s11
	s_delay_alu instid0(VALU_DEP_1)
	v_cmp_eq_u32_e32 vcc_lo, 0, v17
	;;#ASMSTART
	s_wakeup
	;;#ASMEND
	s_or_not1_b32 s11, vcc_lo, exec_lo
.LBB4_3594:                             ;   in Loop: Header=BB4_3576 Depth=1
	s_or_b32 exec_lo, exec_lo, s10
	v_min_u32_e32 v10, v10, v14
	s_xor_b32 s10, s11, -1
	s_delay_alu instid0(SALU_CYCLE_1)
	s_and_saveexec_b32 s11, s10
	s_cbranch_execz .LBB4_3604
; %bb.3595:                             ;   in Loop: Header=BB4_3576 Depth=1
	v_and_b32_e32 v15, 0x100, v30
	v_and_b32_e32 v66, 7, v8
	s_mov_b32 s10, -1
	s_delay_alu instid0(VALU_DEP_2)
	v_cmp_ne_u32_e32 vcc_lo, 0, v15
                                        ; implicit-def: $vgpr15_vgpr16
	s_and_saveexec_b32 s20, vcc_lo
	s_cbranch_execz .LBB4_3599
; %bb.3596:                             ;   in Loop: Header=BB4_3576 Depth=1
	v_mad_u64_u32 v[17:18], null, v66, 24, v[6:7]
	flat_load_b32 v15, v[17:18]
	flat_store_b64 v[17:18], v[10:11] offset:8
	s_waitcnt vmcnt(0) lgkmcnt(1)
	v_cmp_ne_u32_e32 vcc_lo, 1, v15
	v_cmp_eq_u32_e64 s10, 1, v15
                                        ; implicit-def: $vgpr15_vgpr16
	s_delay_alu instid0(VALU_DEP_1)
	s_and_saveexec_b32 s21, s10
	s_cbranch_execz .LBB4_3598
; %bb.3597:                             ;   in Loop: Header=BB4_3576 Depth=1
	flat_load_b32 v15, v[17:18] offset:4 glc
	s_waitcnt vmcnt(0) lgkmcnt(0)
	v_ashrrev_i32_e32 v16, 31, v15
.LBB4_3598:                             ;   in Loop: Header=BB4_3576 Depth=1
	s_or_b32 exec_lo, exec_lo, s21
	s_delay_alu instid0(SALU_CYCLE_1)
	s_or_not1_b32 s10, vcc_lo, exec_lo
.LBB4_3599:                             ;   in Loop: Header=BB4_3576 Depth=1
	s_or_b32 exec_lo, exec_lo, s20
	s_and_saveexec_b32 s20, s10
; %bb.3600:                             ;   in Loop: Header=BB4_3576 Depth=1
	v_mad_i64_i32 v[15:16], null, v66, v81, 0
; %bb.3601:                             ;   in Loop: Header=BB4_3576 Depth=1
	s_or_b32 exec_lo, exec_lo, s20
	s_delay_alu instid0(VALU_DEP_1) | instskip(SKIP_1) | instid1(VALU_DEP_3)
	v_add_co_u32 v15, vcc_lo, v34, v15
	v_and_b32_e32 v17, 0x2000, v30
	v_add_co_ci_u32_e32 v16, vcc_lo, v35, v16, vcc_lo
	s_mov_b32 s10, exec_lo
	ds_store_b64 v0, v[15:16] offset:784
	v_cmpx_ne_u32_e32 0, v17
	s_cbranch_execz .LBB4_3603
; %bb.3602:                             ;   in Loop: Header=BB4_3576 Depth=1
	ds_load_b64 v[15:16], v0 offset:584
	s_waitcnt lgkmcnt(0)
	v_add_co_u32 v15, vcc_lo, v15, 1
	v_add_co_ci_u32_e32 v16, vcc_lo, 0, v16, vcc_lo
	ds_store_b64 v0, v[15:16] offset:584
.LBB4_3603:                             ;   in Loop: Header=BB4_3576 Depth=1
	s_or_b32 exec_lo, exec_lo, s10
	v_add_co_u32 v8, vcc_lo, v8, 1
	v_add_co_ci_u32_e32 v9, vcc_lo, 0, v9, vcc_lo
.LBB4_3604:                             ;   in Loop: Header=BB4_3576 Depth=1
	s_or_b32 exec_lo, exec_lo, s11
	s_and_saveexec_b32 s10, s2
	s_cbranch_execz .LBB4_3626
; %bb.3605:                             ;   in Loop: Header=BB4_3576 Depth=1
	s_and_saveexec_b32 s11, s3
	s_delay_alu instid0(SALU_CYCLE_1)
	s_xor_b32 s11, exec_lo, s11
	s_cbranch_execz .LBB4_3623
; %bb.3606:                             ;   in Loop: Header=BB4_3576 Depth=1
	s_and_saveexec_b32 s20, s4
	s_cbranch_execz .LBB4_3622
; %bb.3607:                             ;   in Loop: Header=BB4_3576 Depth=1
	s_mov_b32 s22, exec_lo
	s_mov_b32 s21, exec_lo
	v_mbcnt_lo_u32_b32 v15, s22, 0
	s_waitcnt lgkmcnt(0)
	s_waitcnt_vscnt null, 0x0
	buffer_gl1_inv
	buffer_gl0_inv
	v_cmpx_eq_u32_e32 0, v15
	s_cbranch_execz .LBB4_3609
; %bb.3608:                             ;   in Loop: Header=BB4_3576 Depth=1
	s_bcnt1_i32_b32 s22, s22
	s_delay_alu instid0(SALU_CYCLE_1)
	v_dual_mov_b32 v16, v11 :: v_dual_mov_b32 v15, s22
	ds_add_u64 v0, v[15:16]
	s_cbranch_execnz .LBB4_3901
.LBB4_3609:                             ;   in Loop: Header=BB4_3576 Depth=1
	s_or_b32 exec_lo, exec_lo, s21
	s_cbranch_execnz .LBB4_3891
; %bb.3610:                             ;   in Loop: Header=BB4_3576 Depth=1
	ds_load_b64 v[15:16], v0
	v_add_co_u32 v38, vcc_lo, v38, v19
	v_add_co_ci_u32_e32 v39, vcc_lo, 0, v39, vcc_lo
	s_mov_b32 s21, exec_lo
	s_waitcnt lgkmcnt(0)
	s_delay_alu instid0(VALU_DEP_1)
	v_cmpx_lt_u64_e64 v[15:16], v[38:39]
	s_cbranch_execz .LBB4_3621
; %bb.3611:                             ;   in Loop: Header=BB4_3576 Depth=1
	s_mov_b32 s22, 0
	s_mov_b32 s25, 0
                                        ; implicit-def: $sgpr23
                                        ; implicit-def: $sgpr24
	s_branch .LBB4_3613
.LBB4_3612:                             ;   in Loop: Header=BB4_3613 Depth=2
	s_or_b32 exec_lo, exec_lo, s28
	s_delay_alu instid0(SALU_CYCLE_1) | instskip(NEXT) | instid1(SALU_CYCLE_1)
	s_and_b32 s26, exec_lo, s27
	s_or_b32 s22, s26, s22
	s_and_not1_b32 s23, s23, exec_lo
	s_and_b32 s26, s24, exec_lo
	s_delay_alu instid0(SALU_CYCLE_1)
	s_or_b32 s23, s23, s26
	s_and_not1_b32 exec_lo, exec_lo, s22
	s_cbranch_execz .LBB4_3619
.LBB4_3613:                             ;   Parent Loop BB4_3576 Depth=1
                                        ; =>  This Inner Loop Header: Depth=2
	s_add_i32 s25, s25, 1
                                        ; implicit-def: $sgpr27
	s_delay_alu instid0(SALU_CYCLE_1) | instskip(SKIP_1) | instid1(SALU_CYCLE_1)
	s_cmpk_lg_i32 s25, 0x2710
	s_cselect_b32 s26, -1, 0
	s_and_b32 vcc_lo, exec_lo, s26
	s_cbranch_vccz .LBB4_3617
.LBB4_3614:                             ;   in Loop: Header=BB4_3613 Depth=2
	s_and_not1_b32 s24, s24, exec_lo
	s_and_b32 s28, s27, exec_lo
	s_mov_b32 s27, -1
	s_or_b32 s24, s24, s28
	s_and_saveexec_b32 s28, s26
	s_cbranch_execz .LBB4_3612
; %bb.3615:                             ;   in Loop: Header=BB4_3613 Depth=2
	s_sleep 1
	s_cbranch_execnz .LBB4_3929
; %bb.3616:                             ;   in Loop: Header=BB4_3613 Depth=2
	ds_load_b64 v[15:16], v0
	s_and_not1_b32 s24, s24, exec_lo
	s_waitcnt lgkmcnt(0)
	v_cmp_ge_u64_e32 vcc_lo, v[15:16], v[38:39]
	s_or_not1_b32 s27, vcc_lo, exec_lo
	s_branch .LBB4_3612
.LBB4_3617:                             ;   in Loop: Header=BB4_3613 Depth=2
	s_cbranch_execnz .LBB4_3939
; %bb.3618:                             ;   in Loop: Header=BB4_3613 Depth=2
	ds_load_b64 v[15:16], v0
	s_and_not1_b32 s26, s26, exec_lo
	s_mov_b32 s25, 0
	s_mov_b32 s27, -1
	s_waitcnt lgkmcnt(0)
	flat_load_b32 v15, v[15:16] glc
	s_waitcnt vmcnt(0) lgkmcnt(0)
	buffer_gl1_inv
	buffer_gl0_inv
	v_cmp_eq_u32_e32 vcc_lo, 0, v15
	s_and_b32 s28, vcc_lo, exec_lo
	s_delay_alu instid0(SALU_CYCLE_1)
	s_or_b32 s26, s26, s28
	s_branch .LBB4_3614
.LBB4_3619:                             ;   in Loop: Header=BB4_3576 Depth=1
	s_or_b32 exec_lo, exec_lo, s22
	s_and_saveexec_b32 s22, s23
	s_delay_alu instid0(SALU_CYCLE_1)
	s_xor_b32 s22, exec_lo, s22
	s_cbranch_execz .LBB4_3621
; %bb.3620:                             ;   in Loop: Header=BB4_3576 Depth=1
	ds_store_b32 v0, v65
	s_cbranch_execnz .LBB4_4037
.LBB4_3621:                             ;   in Loop: Header=BB4_3576 Depth=1
	s_or_b32 exec_lo, exec_lo, s21
	;;#ASMSTART
	s_wakeup
	;;#ASMEND
.LBB4_3622:                             ;   in Loop: Header=BB4_3576 Depth=1
	s_or_b32 exec_lo, exec_lo, s20
.LBB4_3623:                             ;   in Loop: Header=BB4_3576 Depth=1
	s_and_not1_saveexec_b32 s11, s11
	s_cbranch_execz .LBB4_3625
; %bb.3624:                             ;   in Loop: Header=BB4_3576 Depth=1
	s_waitcnt lgkmcnt(0)
	s_waitcnt_vscnt null, 0x0
	buffer_gl1_inv
	buffer_gl0_inv
	s_barrier
.LBB4_3625:                             ;   in Loop: Header=BB4_3576 Depth=1
	s_or_b32 exec_lo, exec_lo, s11
.LBB4_3626:                             ;   in Loop: Header=BB4_3576 Depth=1
	s_delay_alu instid0(SALU_CYCLE_1)
	s_or_b32 exec_lo, exec_lo, s10
	s_cbranch_execnz .LBB4_3838
; %bb.3627:                             ;   in Loop: Header=BB4_3576 Depth=1
	ds_load_b32 v15, v0
	v_and_b32_e32 v16, 0x4000, v30
	s_delay_alu instid0(VALU_DEP_1) | instskip(SKIP_1) | instid1(SALU_CYCLE_1)
	v_cmp_ne_u32_e32 vcc_lo, 0, v16
	s_and_b32 s11, s17, vcc_lo
	s_and_saveexec_b32 s10, s11
	s_cbranch_execz .LBB4_3649
; %bb.3628:                             ;   in Loop: Header=BB4_3576 Depth=1
	s_and_saveexec_b32 s11, s3
	s_delay_alu instid0(SALU_CYCLE_1)
	s_xor_b32 s11, exec_lo, s11
	s_cbranch_execz .LBB4_3646
; %bb.3629:                             ;   in Loop: Header=BB4_3576 Depth=1
	s_and_saveexec_b32 s20, s4
	s_cbranch_execz .LBB4_3645
; %bb.3630:                             ;   in Loop: Header=BB4_3576 Depth=1
	s_mov_b32 s22, exec_lo
	s_mov_b32 s21, exec_lo
	v_mbcnt_lo_u32_b32 v16, s22, 0
	s_waitcnt lgkmcnt(0)
	s_waitcnt_vscnt null, 0x0
	buffer_gl1_inv
	buffer_gl0_inv
	v_cmpx_eq_u32_e32 0, v16
	s_cbranch_execz .LBB4_3632
; %bb.3631:                             ;   in Loop: Header=BB4_3576 Depth=1
	s_bcnt1_i32_b32 s22, s22
	s_delay_alu instid0(SALU_CYCLE_1)
	v_dual_mov_b32 v17, v11 :: v_dual_mov_b32 v16, s22
	ds_add_u64 v0, v[16:17]
	s_cbranch_execnz .LBB4_3927
.LBB4_3632:                             ;   in Loop: Header=BB4_3576 Depth=1
	s_or_b32 exec_lo, exec_lo, s21
	s_cbranch_execnz .LBB4_3915
; %bb.3633:                             ;   in Loop: Header=BB4_3576 Depth=1
	ds_load_b64 v[16:17], v0
	v_add_co_u32 v38, vcc_lo, v38, v19
	v_add_co_ci_u32_e32 v39, vcc_lo, 0, v39, vcc_lo
	s_mov_b32 s21, exec_lo
	s_waitcnt lgkmcnt(0)
	s_delay_alu instid0(VALU_DEP_1)
	v_cmpx_lt_u64_e64 v[16:17], v[38:39]
	s_cbranch_execz .LBB4_3644
; %bb.3634:                             ;   in Loop: Header=BB4_3576 Depth=1
	s_mov_b32 s22, 0
	s_mov_b32 s25, 0
                                        ; implicit-def: $sgpr23
                                        ; implicit-def: $sgpr24
	s_branch .LBB4_3636
.LBB4_3635:                             ;   in Loop: Header=BB4_3636 Depth=2
	s_or_b32 exec_lo, exec_lo, s28
	s_delay_alu instid0(SALU_CYCLE_1) | instskip(NEXT) | instid1(SALU_CYCLE_1)
	s_and_b32 s26, exec_lo, s27
	s_or_b32 s22, s26, s22
	s_and_not1_b32 s23, s23, exec_lo
	s_and_b32 s26, s24, exec_lo
	s_delay_alu instid0(SALU_CYCLE_1)
	s_or_b32 s23, s23, s26
	s_and_not1_b32 exec_lo, exec_lo, s22
	s_cbranch_execz .LBB4_3642
.LBB4_3636:                             ;   Parent Loop BB4_3576 Depth=1
                                        ; =>  This Inner Loop Header: Depth=2
	s_add_i32 s25, s25, 1
                                        ; implicit-def: $sgpr27
	s_delay_alu instid0(SALU_CYCLE_1) | instskip(SKIP_1) | instid1(SALU_CYCLE_1)
	s_cmpk_lg_i32 s25, 0x2710
	s_cselect_b32 s26, -1, 0
	s_and_b32 vcc_lo, exec_lo, s26
	s_cbranch_vccz .LBB4_3640
.LBB4_3637:                             ;   in Loop: Header=BB4_3636 Depth=2
	s_and_not1_b32 s24, s24, exec_lo
	s_and_b32 s28, s27, exec_lo
	s_mov_b32 s27, -1
	s_or_b32 s24, s24, s28
	s_and_saveexec_b32 s28, s26
	s_cbranch_execz .LBB4_3635
; %bb.3638:                             ;   in Loop: Header=BB4_3636 Depth=2
	s_sleep 1
	s_cbranch_execnz .LBB4_3959
; %bb.3639:                             ;   in Loop: Header=BB4_3636 Depth=2
	ds_load_b64 v[16:17], v0
	s_and_not1_b32 s24, s24, exec_lo
	s_waitcnt lgkmcnt(0)
	v_cmp_ge_u64_e32 vcc_lo, v[16:17], v[38:39]
	s_or_not1_b32 s27, vcc_lo, exec_lo
	s_branch .LBB4_3635
.LBB4_3640:                             ;   in Loop: Header=BB4_3636 Depth=2
	s_cbranch_execnz .LBB4_3973
; %bb.3641:                             ;   in Loop: Header=BB4_3636 Depth=2
	ds_load_b64 v[16:17], v0
	s_and_not1_b32 s26, s26, exec_lo
	s_mov_b32 s25, 0
	s_mov_b32 s27, -1
	s_waitcnt lgkmcnt(0)
	flat_load_b32 v16, v[16:17] glc
	s_waitcnt vmcnt(0) lgkmcnt(0)
	buffer_gl1_inv
	buffer_gl0_inv
	v_cmp_eq_u32_e32 vcc_lo, 0, v16
	s_and_b32 s28, vcc_lo, exec_lo
	s_delay_alu instid0(SALU_CYCLE_1)
	s_or_b32 s26, s26, s28
	s_branch .LBB4_3637
.LBB4_3642:                             ;   in Loop: Header=BB4_3576 Depth=1
	s_or_b32 exec_lo, exec_lo, s22
	s_and_saveexec_b32 s22, s23
	s_delay_alu instid0(SALU_CYCLE_1)
	s_xor_b32 s22, exec_lo, s22
	s_cbranch_execz .LBB4_3644
; %bb.3643:                             ;   in Loop: Header=BB4_3576 Depth=1
	ds_store_b32 v0, v65
	s_cbranch_execnz .LBB4_4045
.LBB4_3644:                             ;   in Loop: Header=BB4_3576 Depth=1
	s_or_b32 exec_lo, exec_lo, s21
	;;#ASMSTART
	s_wakeup
	;;#ASMEND
.LBB4_3645:                             ;   in Loop: Header=BB4_3576 Depth=1
	s_or_b32 exec_lo, exec_lo, s20
.LBB4_3646:                             ;   in Loop: Header=BB4_3576 Depth=1
	s_and_not1_saveexec_b32 s11, s11
	s_cbranch_execz .LBB4_3648
; %bb.3647:                             ;   in Loop: Header=BB4_3576 Depth=1
	s_waitcnt lgkmcnt(0)
	s_waitcnt_vscnt null, 0x0
	buffer_gl1_inv
	buffer_gl0_inv
	s_barrier
.LBB4_3648:                             ;   in Loop: Header=BB4_3576 Depth=1
	s_or_b32 exec_lo, exec_lo, s11
.LBB4_3649:                             ;   in Loop: Header=BB4_3576 Depth=1
	s_delay_alu instid0(SALU_CYCLE_1)
	s_or_b32 exec_lo, exec_lo, s10
	s_cbranch_execnz .LBB4_3854
; %bb.3650:                             ;   in Loop: Header=BB4_3576 Depth=1
	ds_load_b64 v[16:17], v0
	s_waitcnt lgkmcnt(0)
	v_cmp_eq_u64_e32 vcc_lo, 0, v[16:17]
	s_or_b32 s10, vcc_lo, vcc_lo
	s_delay_alu instid0(SALU_CYCLE_1)
	s_and_b32 vcc_lo, exec_lo, s10
	s_mov_b32 s10, 0
	s_cbranch_vccnz .LBB4_3683
; %bb.3651:                             ;   in Loop: Header=BB4_3576 Depth=1
	s_mov_b32 s10, -1
	s_and_saveexec_b32 s11, s5
	s_cbranch_execz .LBB4_3653
; %bb.3652:                             ;   in Loop: Header=BB4_3576 Depth=1
	ds_load_b32 v16, v0 offset:720
	s_waitcnt lgkmcnt(0)
	v_and_b32_e32 v16, 15, v16
	s_delay_alu instid0(VALU_DEP_1)
	v_cmp_eq_u32_e32 vcc_lo, 0, v16
	s_or_not1_b32 s10, vcc_lo, exec_lo
.LBB4_3653:                             ;   in Loop: Header=BB4_3576 Depth=1
	s_or_b32 exec_lo, exec_lo, s11
	s_and_saveexec_b32 s11, s6
	s_cbranch_execz .LBB4_3655
; %bb.3654:                             ;   in Loop: Header=BB4_3576 Depth=1
	ds_load_b32 v16, v0 offset:784
	s_waitcnt lgkmcnt(0)
	v_and_b32_e32 v16, 15, v16
	s_delay_alu instid0(VALU_DEP_1) | instskip(SKIP_3) | instid1(SALU_CYCLE_1)
	v_cmp_eq_u32_e32 vcc_lo, 0, v16
	s_and_b32 s20, s10, vcc_lo
	s_and_not1_b32 s10, s10, exec_lo
	s_and_b32 s20, s20, exec_lo
	s_or_b32 s10, s10, s20
.LBB4_3655:                             ;   in Loop: Header=BB4_3576 Depth=1
	s_or_b32 exec_lo, exec_lo, s11
	v_cmp_eq_u32_e32 vcc_lo, 0, v15
	s_xor_b32 s10, s10, -1
	v_mov_b32_e32 v82, v21
	v_cndmask_b32_e64 v16, 0, 1, s10
	;;#ASMSTART
	;;#ASMEND
	v_dual_cndmask_b32 v66, 0, v10 :: v_dual_mov_b32 v69, v0
	s_delay_alu instid0(VALU_DEP_2) | instskip(SKIP_2) | instid1(VALU_DEP_3)
	v_cmp_ne_u32_e32 vcc_lo, 0, v16
	v_mov_b32_e32 v68, 0
	s_mov_b32 s10, -1
	v_mov_b32_e32 v67, v66
	s_cbranch_vccnz .LBB4_3671
; %bb.3656:                             ;   in Loop: Header=BB4_3576 Depth=1
	v_lshrrev_b32_e32 v15, 11, v66
	s_mov_b32 s11, exec_lo
	s_delay_alu instid0(VALU_DEP_1) | instskip(NEXT) | instid1(VALU_DEP_1)
	v_sub_nc_u32_e32 v70, v15, v21
	v_cmpx_lt_i32_e32 0, v70
	s_cbranch_execz .LBB4_3661
; %bb.3657:                             ;   in Loop: Header=BB4_3576 Depth=1
	s_cbranch_execnz .LBB4_3943
; %bb.3658:                             ;   in Loop: Header=BB4_3576 Depth=1
	ds_load_b64 v[15:16], v0
	s_mov_b32 s20, 0
	s_waitcnt lgkmcnt(0)
	v_dual_mov_b32 v18, v16 :: v_dual_mov_b32 v17, v15
	s_set_inst_prefetch_distance 0x1
.LBB4_3659:                             ;   Parent Loop BB4_3576 Depth=1
                                        ; =>  This Inner Loop Header: Depth=2
	s_delay_alu instid0(VALU_DEP_1) | instskip(NEXT) | instid1(VALU_DEP_2)
	v_add_co_u32 v67, vcc_lo, v24, v17
	v_add_co_ci_u32_e32 v68, vcc_lo, v53, v18, vcc_lo
	v_sub_nc_u32_e32 v70, v70, v19
	s_clause 0x3
	global_load_b128 v[82:85], v[67:68], off slc dlc
	global_load_b128 v[96:99], v[67:68], off offset:512 slc dlc
	global_load_b128 v[100:103], v[67:68], off offset:1024 slc dlc
	;; [unrolled: 1-line block ×3, first 2 shown]
	v_add_co_u32 v67, vcc_lo, v24, v15
	v_add_co_ci_u32_e32 v68, vcc_lo, v53, v16, vcc_lo
	v_add_co_u32 v17, vcc_lo, v17, v25
	v_add_co_ci_u32_e32 v18, vcc_lo, v18, v52, vcc_lo
	v_add_co_u32 v15, vcc_lo, v15, v25
	v_cmp_gt_i32_e64 s10, 1, v70
	v_add_co_ci_u32_e32 v16, vcc_lo, v16, v52, vcc_lo
	s_waitcnt vmcnt(3)
	global_store_b128 v[67:68], v[82:85], off glc slc dlc
	s_waitcnt vmcnt(2)
	global_store_b128 v[67:68], v[96:99], off offset:512 glc slc dlc
	s_waitcnt vmcnt(1)
	global_store_b128 v[67:68], v[100:103], off offset:1024 glc slc dlc
	;; [unrolled: 2-line block ×3, first 2 shown]
	s_or_b32 s20, s10, s20
	s_delay_alu instid0(SALU_CYCLE_1)
	s_and_not1_b32 exec_lo, exec_lo, s20
	s_cbranch_execnz .LBB4_3659
; %bb.3660:                             ;   in Loop: Header=BB4_3576 Depth=1
	s_set_inst_prefetch_distance 0x2
	s_or_b32 exec_lo, exec_lo, s20
.LBB4_3661:                             ;   in Loop: Header=BB4_3576 Depth=1
	s_delay_alu instid0(SALU_CYCLE_1) | instskip(SKIP_3) | instid1(VALU_DEP_1)
	s_or_b32 exec_lo, exec_lo, s11
	v_dual_mov_b32 v68, 0 :: v_dual_and_b32 v71, 0x3ffff800, v66
	s_mov_b32 s10, 0
	s_mov_b32 s20, exec_lo
                                        ; implicit-def: $vgpr67
                                        ; implicit-def: $vgpr69
                                        ; implicit-def: $vgpr82
	v_cmpx_ne_u32_e64 v71, v66
	s_cbranch_execz .LBB4_3670
; %bb.3662:                             ;   in Loop: Header=BB4_3576 Depth=1
	v_lshlrev_b32_e32 v15, 5, v70
	v_and_b32_e32 v18, 0x600, v66
	v_bfe_u32 v69, v66, 9, 2
	s_mov_b32 s21, exec_lo
	s_delay_alu instid0(VALU_DEP_3) | instskip(NEXT) | instid1(VALU_DEP_1)
	v_sub_nc_u32_e32 v15, v23, v15
	v_ashrrev_i32_e32 v16, 31, v15
	s_delay_alu instid0(VALU_DEP_1) | instskip(NEXT) | instid1(VALU_DEP_1)
	v_lshrrev_b32_e32 v16, 27, v16
	v_add_nc_u32_e32 v16, v15, v16
	s_delay_alu instid0(VALU_DEP_1) | instskip(SKIP_1) | instid1(VALU_DEP_2)
	v_and_b32_e32 v17, 0xffffffe0, v16
	v_ashrrev_i32_e32 v16, 5, v16
	v_sub_nc_u32_e32 v17, v15, v17
	v_and_b32_e32 v15, 0x7ff, v66
	s_delay_alu instid0(VALU_DEP_2) | instskip(NEXT) | instid1(VALU_DEP_2)
	v_lshlrev_b32_e32 v67, 4, v17
	v_sub_nc_u32_e32 v18, v15, v18
	s_delay_alu instid0(VALU_DEP_2) | instskip(NEXT) | instid1(VALU_DEP_2)
	v_lshl_add_u32 v68, v16, 9, v67
	v_cmp_lt_i32_e32 vcc_lo, 15, v18
	s_delay_alu instid0(VALU_DEP_2) | instskip(SKIP_1) | instid1(VALU_DEP_1)
	v_sub_nc_u32_e32 v67, v15, v68
	v_add_co_ci_u32_e64 v69, s10, 0, v69, vcc_lo
	v_sub_nc_u32_e32 v70, v69, v16
	s_delay_alu instid0(VALU_DEP_3)
	v_cmpx_lt_i32_e32 15, v67
	s_cbranch_execz .LBB4_3667
; %bb.3663:                             ;   in Loop: Header=BB4_3576 Depth=1
	s_cbranch_execnz .LBB4_3997
; %bb.3664:                             ;   in Loop: Header=BB4_3576 Depth=1
	ds_load_b64 v[15:16], v0
	v_add_nc_u32_e32 v68, v68, v71
	s_mov_b32 s22, 0
	s_delay_alu instid0(VALU_DEP_1)
	v_ashrrev_i32_e32 v69, 31, v68
.LBB4_3665:                             ;   Parent Loop BB4_3576 Depth=1
                                        ; =>  This Inner Loop Header: Depth=2
	s_waitcnt lgkmcnt(0)
	v_add_co_u32 v86, s10, v15, v68
	s_delay_alu instid0(VALU_DEP_1)
	v_add_co_ci_u32_e64 v87, s10, v16, v69, s10
	v_sub_nc_u32_e32 v67, v67, v22
	v_add_co_u32 v68, s11, v68, v54
	global_load_b128 v[82:85], v[86:87], off slc dlc
	v_sub_nc_u32_e32 v70, v70, v19
	v_cmp_gt_i32_e64 s10, 16, v67
	v_add_co_ci_u32_e64 v69, s11, v69, v55, s11
	s_delay_alu instid0(VALU_DEP_2)
	s_or_b32 s22, s10, s22
	s_waitcnt vmcnt(0)
	global_store_b128 v[86:87], v[82:85], off glc slc dlc
	s_and_not1_b32 exec_lo, exec_lo, s22
	s_cbranch_execnz .LBB4_3665
; %bb.3666:                             ;   in Loop: Header=BB4_3576 Depth=1
	s_or_b32 exec_lo, exec_lo, s22
.LBB4_3667:                             ;   in Loop: Header=BB4_3576 Depth=1
	s_delay_alu instid0(SALU_CYCLE_1) | instskip(SKIP_3) | instid1(VALU_DEP_1)
	s_or_b32 exec_lo, exec_lo, s21
	v_dual_mov_b32 v68, 0 :: v_dual_and_b32 v15, 15, v66
	s_mov_b32 s11, 0
	s_mov_b32 s21, exec_lo
                                        ; implicit-def: $vgpr69
                                        ; implicit-def: $vgpr82
	v_cndmask_b32_e32 v67, v18, v15, vcc_lo
	s_delay_alu instid0(VALU_DEP_1)
	v_cmpx_ne_u32_e32 0, v67
	s_cbranch_execz .LBB4_3669
; %bb.3668:                             ;   in Loop: Header=BB4_3576 Depth=1
	v_cmp_lt_i32_e64 s10, 0, v70
	v_sub_nc_u32_e32 v15, v18, v15
	s_mov_b32 s11, exec_lo
	s_delay_alu instid0(VALU_DEP_2) | instskip(NEXT) | instid1(VALU_DEP_1)
	v_cndmask_b32_e64 v16, 0, v19, s10
	v_sub_nc_u32_e32 v16, v16, v70
	s_delay_alu instid0(VALU_DEP_1) | instskip(SKIP_1) | instid1(VALU_DEP_2)
	v_lshl_add_u32 v69, v16, 5, v17
	v_and_b32_e32 v17, 0x3ffffe00, v66
	v_ashrrev_i32_e32 v16, 31, v69
	s_delay_alu instid0(VALU_DEP_1) | instskip(NEXT) | instid1(VALU_DEP_1)
	v_lshrrev_b32_e32 v16, 27, v16
	v_dual_cndmask_b32 v15, 0, v15 :: v_dual_add_nc_u32 v16, v69, v16
	s_delay_alu instid0(VALU_DEP_1) | instskip(NEXT) | instid1(VALU_DEP_2)
	v_add_nc_u32_e32 v68, v15, v17
	v_ashrrev_i32_e32 v82, 5, v16
.LBB4_3669:                             ;   in Loop: Header=BB4_3576 Depth=1
	s_or_b32 exec_lo, exec_lo, s21
	s_delay_alu instid0(SALU_CYCLE_1)
	s_and_b32 s10, s11, exec_lo
.LBB4_3670:                             ;   in Loop: Header=BB4_3576 Depth=1
	s_or_b32 exec_lo, exec_lo, s20
.LBB4_3671:                             ;   in Loop: Header=BB4_3576 Depth=1
	s_and_saveexec_b32 s11, s10
	s_cbranch_execz .LBB4_3682
; %bb.3672:                             ;   in Loop: Header=BB4_3576 Depth=1
	s_delay_alu instid0(VALU_DEP_1) | instskip(SKIP_1) | instid1(VALU_DEP_1)
	v_ashrrev_i32_e32 v15, 31, v67
	s_mov_b32 s10, exec_lo
	v_lshrrev_b32_e32 v15, 23, v15
	s_delay_alu instid0(VALU_DEP_1) | instskip(NEXT) | instid1(VALU_DEP_1)
	v_add_nc_u32_e32 v15, v67, v15
	v_ashrrev_i32_e32 v71, 9, v15
	s_delay_alu instid0(VALU_DEP_1) | instskip(NEXT) | instid1(VALU_DEP_1)
	v_sub_nc_u32_e32 v70, v71, v82
	v_cmpx_lt_i32_e32 0, v70
	s_cbranch_execz .LBB4_3677
; %bb.3673:                             ;   in Loop: Header=BB4_3576 Depth=1
	s_cbranch_execnz .LBB4_3931
; %bb.3674:                             ;   in Loop: Header=BB4_3576 Depth=1
	v_ashrrev_i32_e32 v15, 31, v69
	s_mov_b32 s20, 0
	s_delay_alu instid0(VALU_DEP_1) | instskip(NEXT) | instid1(VALU_DEP_1)
	v_lshrrev_b32_e32 v15, 27, v15
	v_add_nc_u32_e32 v17, v69, v15
	ds_load_b64 v[15:16], v0
	v_lshlrev_b32_e32 v18, 9, v82
	v_and_b32_e32 v17, 0xffffffe0, v17
	s_delay_alu instid0(VALU_DEP_1) | instskip(NEXT) | instid1(VALU_DEP_1)
	v_sub_nc_u32_e32 v17, v69, v17
	v_add3_u32 v82, v68, v17, v18
	s_delay_alu instid0(VALU_DEP_1)
	v_ashrrev_i32_e32 v83, 31, v82
	s_waitcnt lgkmcnt(0)
	v_dual_mov_b32 v18, v16 :: v_dual_mov_b32 v17, v15
.LBB4_3675:                             ;   Parent Loop BB4_3576 Depth=1
                                        ; =>  This Inner Loop Header: Depth=2
	s_delay_alu instid0(VALU_DEP_1) | instskip(NEXT) | instid1(VALU_DEP_2)
	v_add_co_u32 v84, vcc_lo, v82, v17
	v_add_co_ci_u32_e32 v85, vcc_lo, v83, v18, vcc_lo
	v_sub_nc_u32_e32 v70, v70, v19
	s_clause 0xf
	flat_load_u8 v86, v[84:85] slc dlc
	flat_load_u8 v87, v[84:85] offset:32 slc dlc
	flat_load_u8 v96, v[84:85] offset:64 slc dlc
	;; [unrolled: 1-line block ×15, first 2 shown]
	v_add_co_u32 v84, vcc_lo, v82, v15
	v_add_co_ci_u32_e32 v85, vcc_lo, v83, v16, vcc_lo
	v_add_co_u32 v17, vcc_lo, v17, v54
	v_add_co_ci_u32_e32 v18, vcc_lo, v18, v55, vcc_lo
	;; [unrolled: 2-line block ×3, first 2 shown]
	v_cmp_gt_i32_e32 vcc_lo, 1, v70
	s_waitcnt vmcnt(15) lgkmcnt(15)
	flat_store_b8 v[84:85], v86 glc slc dlc
	s_waitcnt vmcnt(14) lgkmcnt(15)
	flat_store_b8 v[84:85], v87 offset:32 glc slc dlc
	s_waitcnt vmcnt(13) lgkmcnt(15)
	flat_store_b8 v[84:85], v96 offset:64 glc slc dlc
	;; [unrolled: 2-line block ×15, first 2 shown]
	s_or_b32 s20, vcc_lo, s20
	s_delay_alu instid0(SALU_CYCLE_1)
	s_and_not1_b32 exec_lo, exec_lo, s20
	s_cbranch_execnz .LBB4_3675
; %bb.3676:                             ;   in Loop: Header=BB4_3576 Depth=1
	s_or_b32 exec_lo, exec_lo, s20
.LBB4_3677:                             ;   in Loop: Header=BB4_3576 Depth=1
	s_delay_alu instid0(SALU_CYCLE_1) | instskip(SKIP_1) | instid1(VALU_DEP_1)
	s_or_b32 exec_lo, exec_lo, s10
	v_lshlrev_b32_e32 v15, 9, v71
	v_cmp_ne_u32_e32 vcc_lo, v67, v15
	s_and_b32 exec_lo, exec_lo, vcc_lo
	s_cbranch_execz .LBB4_3682
; %bb.3678:                             ;   in Loop: Header=BB4_3576 Depth=1
	v_ashrrev_i32_e32 v16, 31, v69
	v_lshlrev_b32_e32 v17, 5, v70
	s_delay_alu instid0(VALU_DEP_2) | instskip(NEXT) | instid1(VALU_DEP_1)
	v_lshrrev_b32_e32 v16, 27, v16
	v_add_nc_u32_e32 v16, v69, v16
	s_delay_alu instid0(VALU_DEP_1) | instskip(NEXT) | instid1(VALU_DEP_1)
	v_and_b32_e32 v16, 0xffffffe0, v16
	v_sub_nc_u32_e32 v16, v69, v16
	s_delay_alu instid0(VALU_DEP_1) | instskip(NEXT) | instid1(VALU_DEP_1)
	v_sub_nc_u32_e32 v16, v16, v17
	v_add_nc_u32_e32 v18, v15, v16
	s_delay_alu instid0(VALU_DEP_1) | instskip(NEXT) | instid1(VALU_DEP_1)
	v_sub_nc_u32_e32 v17, v67, v18
	v_cmp_lt_i32_e32 vcc_lo, 0, v17
	s_and_b32 exec_lo, exec_lo, vcc_lo
	s_cbranch_execz .LBB4_3682
; %bb.3679:                             ;   in Loop: Header=BB4_3576 Depth=1
	s_cbranch_execnz .LBB4_3979
; %bb.3680:                             ;   in Loop: Header=BB4_3576 Depth=1
	ds_load_b64 v[15:16], v0
	v_add_nc_u32_e32 v18, v18, v68
	s_mov_b32 s20, 0
	s_delay_alu instid0(VALU_DEP_1)
	v_ashrrev_i32_e32 v67, 31, v18
.LBB4_3681:                             ;   Parent Loop BB4_3576 Depth=1
                                        ; =>  This Inner Loop Header: Depth=2
	s_waitcnt lgkmcnt(0)
	v_add_co_u32 v68, vcc_lo, v15, v18
	s_delay_alu instid0(VALU_DEP_2)
	v_add_co_ci_u32_e32 v69, vcc_lo, v16, v67, vcc_lo
	v_sub_nc_u32_e32 v17, v17, v20
	v_add_co_u32 v18, s10, v18, v20
	flat_load_u8 v70, v[68:69] slc dlc
	v_add_co_ci_u32_e64 v67, s10, v67, v64, s10
	v_cmp_gt_i32_e32 vcc_lo, 1, v17
	s_or_b32 s20, vcc_lo, s20
	s_waitcnt vmcnt(0) lgkmcnt(0)
	flat_store_b8 v[68:69], v70 glc slc dlc
	s_and_not1_b32 exec_lo, exec_lo, s20
	s_cbranch_execnz .LBB4_3681
.LBB4_3682:                             ;   in Loop: Header=BB4_3576 Depth=1
	s_or_b32 exec_lo, exec_lo, s11
	v_cmp_ne_u32_e64 s10, 0, v66
.LBB4_3683:                             ;   in Loop: Header=BB4_3576 Depth=1
	s_and_saveexec_b32 s11, s2
	s_cbranch_execz .LBB4_3705
; %bb.3684:                             ;   in Loop: Header=BB4_3576 Depth=1
	s_and_saveexec_b32 s20, s3
	s_delay_alu instid0(SALU_CYCLE_1)
	s_xor_b32 s20, exec_lo, s20
	s_cbranch_execz .LBB4_3702
; %bb.3685:                             ;   in Loop: Header=BB4_3576 Depth=1
	s_and_saveexec_b32 s21, s4
	s_cbranch_execz .LBB4_3701
; %bb.3686:                             ;   in Loop: Header=BB4_3576 Depth=1
	s_mov_b32 s23, exec_lo
	s_mov_b32 s22, exec_lo
	v_mbcnt_lo_u32_b32 v15, s23, 0
	s_waitcnt lgkmcnt(0)
	s_waitcnt_vscnt null, 0x0
	buffer_gl1_inv
	buffer_gl0_inv
	v_cmpx_eq_u32_e32 0, v15
	s_cbranch_execz .LBB4_3688
; %bb.3687:                             ;   in Loop: Header=BB4_3576 Depth=1
	s_bcnt1_i32_b32 s23, s23
	s_delay_alu instid0(SALU_CYCLE_1)
	v_dual_mov_b32 v16, v11 :: v_dual_mov_b32 v15, s23
	ds_add_u64 v0, v[15:16]
	s_cbranch_execnz .LBB4_3961
.LBB4_3688:                             ;   in Loop: Header=BB4_3576 Depth=1
	s_or_b32 exec_lo, exec_lo, s22
	s_cbranch_execnz .LBB4_3947
; %bb.3689:                             ;   in Loop: Header=BB4_3576 Depth=1
	ds_load_b64 v[15:16], v0
	v_add_co_u32 v38, vcc_lo, v38, v19
	v_add_co_ci_u32_e32 v39, vcc_lo, 0, v39, vcc_lo
	s_mov_b32 s22, exec_lo
	s_waitcnt lgkmcnt(0)
	s_delay_alu instid0(VALU_DEP_1)
	v_cmpx_lt_u64_e64 v[15:16], v[38:39]
	s_cbranch_execz .LBB4_3700
; %bb.3690:                             ;   in Loop: Header=BB4_3576 Depth=1
	s_mov_b32 s23, 0
	s_mov_b32 s26, 0
                                        ; implicit-def: $sgpr24
                                        ; implicit-def: $sgpr25
	s_branch .LBB4_3692
.LBB4_3691:                             ;   in Loop: Header=BB4_3692 Depth=2
	s_or_b32 exec_lo, exec_lo, s29
	s_delay_alu instid0(SALU_CYCLE_1) | instskip(NEXT) | instid1(SALU_CYCLE_1)
	s_and_b32 s27, exec_lo, s28
	s_or_b32 s23, s27, s23
	s_and_not1_b32 s24, s24, exec_lo
	s_and_b32 s27, s25, exec_lo
	s_delay_alu instid0(SALU_CYCLE_1)
	s_or_b32 s24, s24, s27
	s_and_not1_b32 exec_lo, exec_lo, s23
	s_cbranch_execz .LBB4_3698
.LBB4_3692:                             ;   Parent Loop BB4_3576 Depth=1
                                        ; =>  This Inner Loop Header: Depth=2
	s_add_i32 s26, s26, 1
                                        ; implicit-def: $sgpr28
	s_delay_alu instid0(SALU_CYCLE_1) | instskip(SKIP_1) | instid1(SALU_CYCLE_1)
	s_cmpk_lg_i32 s26, 0x2710
	s_cselect_b32 s27, -1, 0
	s_and_b32 vcc_lo, exec_lo, s27
	s_cbranch_vccz .LBB4_3696
.LBB4_3693:                             ;   in Loop: Header=BB4_3692 Depth=2
	s_and_not1_b32 s25, s25, exec_lo
	s_and_b32 s29, s28, exec_lo
	s_mov_b32 s28, -1
	s_or_b32 s25, s25, s29
	s_and_saveexec_b32 s29, s27
	s_cbranch_execz .LBB4_3691
; %bb.3694:                             ;   in Loop: Header=BB4_3692 Depth=2
	s_sleep 1
	s_cbranch_execnz .LBB4_4011
; %bb.3695:                             ;   in Loop: Header=BB4_3692 Depth=2
	ds_load_b64 v[15:16], v0
	s_and_not1_b32 s25, s25, exec_lo
	s_waitcnt lgkmcnt(0)
	v_cmp_ge_u64_e32 vcc_lo, v[15:16], v[38:39]
	s_or_not1_b32 s28, vcc_lo, exec_lo
	s_branch .LBB4_3691
.LBB4_3696:                             ;   in Loop: Header=BB4_3692 Depth=2
	s_cbranch_execnz .LBB4_4021
; %bb.3697:                             ;   in Loop: Header=BB4_3692 Depth=2
	ds_load_b64 v[15:16], v0
	s_and_not1_b32 s27, s27, exec_lo
	s_mov_b32 s26, 0
	s_mov_b32 s28, -1
	s_waitcnt lgkmcnt(0)
	flat_load_b32 v15, v[15:16] glc
	s_waitcnt vmcnt(0) lgkmcnt(0)
	buffer_gl1_inv
	buffer_gl0_inv
	v_cmp_eq_u32_e32 vcc_lo, 0, v15
	s_and_b32 s29, vcc_lo, exec_lo
	s_delay_alu instid0(SALU_CYCLE_1)
	s_or_b32 s27, s27, s29
	s_branch .LBB4_3693
.LBB4_3698:                             ;   in Loop: Header=BB4_3576 Depth=1
	s_or_b32 exec_lo, exec_lo, s23
	s_and_saveexec_b32 s23, s24
	s_delay_alu instid0(SALU_CYCLE_1)
	s_xor_b32 s23, exec_lo, s23
	s_cbranch_execz .LBB4_3700
; %bb.3699:                             ;   in Loop: Header=BB4_3576 Depth=1
	ds_store_b32 v0, v65
	s_cbranch_execnz .LBB4_4055
.LBB4_3700:                             ;   in Loop: Header=BB4_3576 Depth=1
	s_or_b32 exec_lo, exec_lo, s22
	;;#ASMSTART
	s_wakeup
	;;#ASMEND
.LBB4_3701:                             ;   in Loop: Header=BB4_3576 Depth=1
	s_or_b32 exec_lo, exec_lo, s21
.LBB4_3702:                             ;   in Loop: Header=BB4_3576 Depth=1
	s_and_not1_saveexec_b32 s20, s20
	s_cbranch_execz .LBB4_3704
; %bb.3703:                             ;   in Loop: Header=BB4_3576 Depth=1
	s_waitcnt lgkmcnt(0)
	s_waitcnt_vscnt null, 0x0
	buffer_gl1_inv
	buffer_gl0_inv
	s_barrier
.LBB4_3704:                             ;   in Loop: Header=BB4_3576 Depth=1
	s_or_b32 exec_lo, exec_lo, s20
.LBB4_3705:                             ;   in Loop: Header=BB4_3576 Depth=1
	s_delay_alu instid0(SALU_CYCLE_1) | instskip(SKIP_1) | instid1(VALU_DEP_1)
	s_or_b32 exec_lo, exec_lo, s11
	v_and_b32_e32 v15, 16, v30
	v_cmp_ne_u32_e32 vcc_lo, 0, v15
	s_and_b32 s11, vcc_lo, s10
	s_delay_alu instid0(SALU_CYCLE_1)
	s_and_saveexec_b32 s10, s11
	s_cbranch_execz .LBB4_3707
; %bb.3706:                             ;   in Loop: Header=BB4_3576 Depth=1
	s_waitcnt lgkmcnt(0)
	s_waitcnt_vscnt null, 0x0
	buffer_gl1_inv
	buffer_gl0_inv
.LBB4_3707:                             ;   in Loop: Header=BB4_3576 Depth=1
	s_or_b32 exec_lo, exec_lo, s10
	s_delay_alu instid0(SALU_CYCLE_1)
	s_mov_b32 s10, exec_lo
	v_cmpx_ne_u32_e32 0, v15
	s_cbranch_execz .LBB4_3711
; %bb.3708:                             ;   in Loop: Header=BB4_3576 Depth=1
	s_and_saveexec_b32 s11, s7
	s_cbranch_execz .LBB4_3710
; %bb.3709:                             ;   in Loop: Header=BB4_3576 Depth=1
	s_waitcnt lgkmcnt(0)
	s_waitcnt_vscnt null, 0x0
	flat_store_b32 v[50:51], v65
.LBB4_3710:                             ;   in Loop: Header=BB4_3576 Depth=1
	s_or_b32 exec_lo, exec_lo, s11
	v_add_co_u32 v8, vcc_lo, v8, 1
	v_add_co_ci_u32_e32 v9, vcc_lo, 0, v9, vcc_lo
	s_waitcnt lgkmcnt(0)
	s_waitcnt_vscnt null, 0x0
	flat_store_b64 v[32:33], v[8:9]
.LBB4_3711:                             ;   in Loop: Header=BB4_3576 Depth=1
	s_or_b32 exec_lo, exec_lo, s10
	v_mov_b32_e32 v17, v10
.LBB4_3712:                             ;   in Loop: Header=BB4_3576 Depth=1
	s_or_b32 exec_lo, exec_lo, s19
	s_and_saveexec_b32 s11, s18
	s_cbranch_execz .LBB4_3767
; %bb.3713:                             ;   in Loop: Header=BB4_3576 Depth=1
	v_and_b32_e32 v15, 8, v30
	s_mov_b32 s18, -1
	s_mov_b32 s10, exec_lo
	s_delay_alu instid0(VALU_DEP_1)
	v_cmpx_ne_u32_e32 0, v15
	s_cbranch_execz .LBB4_3727
; %bb.3714:                             ;   in Loop: Header=BB4_3576 Depth=1
	v_add_co_u32 v66, vcc_lo, v36, 8
	v_add_co_ci_u32_e32 v67, vcc_lo, 0, v37, vcc_lo
	v_add_co_u32 v15, vcc_lo, v8, 1
	v_add_co_ci_u32_e32 v16, vcc_lo, 0, v9, vcc_lo
	v_mov_b32_e32 v18, 1
	s_mov_b32 s18, exec_lo
	s_delay_alu instid0(VALU_DEP_2)
	v_cmpx_lt_u64_e64 v[66:67], v[15:16]
	s_cbranch_execz .LBB4_3726
; %bb.3715:                             ;   in Loop: Header=BB4_3576 Depth=1
	v_mov_b32_e32 v18, 0
	s_mov_b32 s19, 0
                                        ; implicit-def: $sgpr20
	s_branch .LBB4_3719
.LBB4_3716:                             ;   in Loop: Header=BB4_3719 Depth=2
	s_or_b32 exec_lo, exec_lo, s24
	v_mov_b32_e32 v66, 0
	s_or_not1_b32 s23, s23, exec_lo
.LBB4_3717:                             ;   in Loop: Header=BB4_3719 Depth=2
	s_or_b32 exec_lo, exec_lo, s22
	s_delay_alu instid0(VALU_DEP_1) | instskip(SKIP_2) | instid1(SALU_CYCLE_1)
	v_mov_b32_e32 v18, v66
	s_and_not1_b32 s20, s20, exec_lo
	s_and_b32 s22, s23, exec_lo
	s_or_b32 s20, s20, s22
.LBB4_3718:                             ;   in Loop: Header=BB4_3719 Depth=2
	s_or_b32 exec_lo, exec_lo, s21
	s_waitcnt vmcnt(0) lgkmcnt(0)
	v_add_co_u32 v66, vcc_lo, v36, 8
	v_add_co_ci_u32_e32 v67, vcc_lo, 0, v37, vcc_lo
	s_xor_b32 s21, s20, -1
	s_delay_alu instid0(VALU_DEP_1) | instskip(SKIP_1) | instid1(SALU_CYCLE_1)
	v_cmp_ge_u64_e32 vcc_lo, v[66:67], v[15:16]
	s_or_b32 s21, s21, vcc_lo
	s_and_b32 s21, exec_lo, s21
	s_delay_alu instid0(SALU_CYCLE_1) | instskip(NEXT) | instid1(SALU_CYCLE_1)
	s_or_b32 s19, s21, s19
	s_and_not1_b32 exec_lo, exec_lo, s19
	s_cbranch_execz .LBB4_3725
.LBB4_3719:                             ;   Parent Loop BB4_3576 Depth=1
                                        ; =>  This Inner Loop Header: Depth=2
	s_sleep 1
	flat_load_b64 v[36:37], v[32:33] glc
	v_and_b32_e32 v66, 64, v30
	s_and_not1_b32 s20, s20, exec_lo
	s_mov_b32 s21, exec_lo
	s_delay_alu instid0(VALU_DEP_1)
	v_cmpx_eq_u32_e32 0, v66
	s_cbranch_execz .LBB4_3718
; %bb.3720:                             ;   in Loop: Header=BB4_3719 Depth=2
	v_add_nc_u32_e32 v66, 1, v18
	s_mov_b32 s23, -1
	s_mov_b32 s22, exec_lo
	v_cmpx_lt_i32_e32 0x270e, v18
	s_cbranch_execz .LBB4_3717
; %bb.3721:                             ;   in Loop: Header=BB4_3719 Depth=2
	s_cbranch_execnz .LBB4_3856
; %bb.3722:                             ;   in Loop: Header=BB4_3719 Depth=2
	ds_load_b64 v[66:67], v0
	s_mov_b32 s24, exec_lo
	s_waitcnt vmcnt(0) lgkmcnt(0)
	s_waitcnt_vscnt null, 0x0
	flat_load_b32 v18, v[66:67] glc
	s_waitcnt vmcnt(0) lgkmcnt(0)
	buffer_gl1_inv
	buffer_gl0_inv
	v_cmpx_ne_u32_e32 0, v18
	s_cbranch_execz .LBB4_3716
; %bb.3723:                             ;   in Loop: Header=BB4_3719 Depth=2
	ds_store_b32 v0, v18
	s_cbranch_execnz .LBB4_3893
; %bb.3724:                             ;   in Loop: Header=BB4_3719 Depth=2
	v_or_b32_e32 v30, 64, v30
	s_xor_b32 s23, exec_lo, -1
	s_branch .LBB4_3716
.LBB4_3725:                             ;   in Loop: Header=BB4_3576 Depth=1
	s_or_b32 exec_lo, exec_lo, s19
	v_and_b32_e32 v18, 8, v30
.LBB4_3726:                             ;   in Loop: Header=BB4_3576 Depth=1
	s_or_b32 exec_lo, exec_lo, s18
	s_delay_alu instid0(VALU_DEP_1)
	v_cmp_eq_u32_e32 vcc_lo, 0, v18
	;;#ASMSTART
	s_wakeup
	;;#ASMEND
	s_or_not1_b32 s18, vcc_lo, exec_lo
.LBB4_3727:                             ;   in Loop: Header=BB4_3576 Depth=1
	s_or_b32 exec_lo, exec_lo, s10
	v_sub_nc_u32_e32 v14, v14, v17
	s_xor_b32 s10, s18, -1
	s_delay_alu instid0(VALU_DEP_1)
	v_min_i32_e32 v14, v10, v14
	s_and_saveexec_b32 s18, s10
	s_cbranch_execz .LBB4_3737
; %bb.3728:                             ;   in Loop: Header=BB4_3576 Depth=1
	v_and_b32_e32 v10, 0x100, v30
	s_mov_b32 s10, -1
                                        ; implicit-def: $vgpr15_vgpr16
	s_delay_alu instid0(VALU_DEP_1)
	v_cmp_ne_u32_e32 vcc_lo, 0, v10
	v_and_b32_e32 v10, 7, v8
	s_and_saveexec_b32 s19, vcc_lo
	s_cbranch_execz .LBB4_3732
; %bb.3729:                             ;   in Loop: Header=BB4_3576 Depth=1
	s_delay_alu instid0(VALU_DEP_1)
	v_mad_u64_u32 v[17:18], null, v10, 24, v[6:7]
	v_ashrrev_i32_e32 v15, 31, v14
	flat_load_b32 v16, v[17:18]
	flat_store_b64 v[17:18], v[14:15] offset:8
	s_waitcnt vmcnt(0) lgkmcnt(1)
	v_cmp_ne_u32_e32 vcc_lo, 1, v16
	v_cmp_eq_u32_e64 s10, 1, v16
                                        ; implicit-def: $vgpr15_vgpr16
	s_delay_alu instid0(VALU_DEP_1)
	s_and_saveexec_b32 s20, s10
	s_cbranch_execz .LBB4_3731
; %bb.3730:                             ;   in Loop: Header=BB4_3576 Depth=1
	flat_load_b32 v15, v[17:18] offset:4 glc
	s_waitcnt vmcnt(0) lgkmcnt(0)
	v_ashrrev_i32_e32 v16, 31, v15
.LBB4_3731:                             ;   in Loop: Header=BB4_3576 Depth=1
	s_or_b32 exec_lo, exec_lo, s20
	s_delay_alu instid0(SALU_CYCLE_1)
	s_or_not1_b32 s10, vcc_lo, exec_lo
.LBB4_3732:                             ;   in Loop: Header=BB4_3576 Depth=1
	s_or_b32 exec_lo, exec_lo, s19
	s_and_saveexec_b32 s19, s10
; %bb.3733:                             ;   in Loop: Header=BB4_3576 Depth=1
	v_mad_i64_i32 v[15:16], null, v10, v81, 0
; %bb.3734:                             ;   in Loop: Header=BB4_3576 Depth=1
	s_or_b32 exec_lo, exec_lo, s19
	s_delay_alu instid0(VALU_DEP_1) | instskip(SKIP_1) | instid1(VALU_DEP_3)
	v_add_co_u32 v15, vcc_lo, v34, v15
	v_and_b32_e32 v10, 0x2000, v30
	v_add_co_ci_u32_e32 v16, vcc_lo, v35, v16, vcc_lo
	s_mov_b32 s10, exec_lo
	ds_store_b64 v0, v[15:16] offset:784
	v_cmpx_ne_u32_e32 0, v10
	s_cbranch_execz .LBB4_3736
; %bb.3735:                             ;   in Loop: Header=BB4_3576 Depth=1
	ds_load_b64 v[15:16], v0 offset:584
	s_waitcnt lgkmcnt(0)
	v_add_co_u32 v15, vcc_lo, v15, 1
	v_add_co_ci_u32_e32 v16, vcc_lo, 0, v16, vcc_lo
	ds_store_b64 v0, v[15:16] offset:584
.LBB4_3736:                             ;   in Loop: Header=BB4_3576 Depth=1
	s_or_b32 exec_lo, exec_lo, s10
	v_add_co_u32 v8, vcc_lo, v8, 1
	v_add_co_ci_u32_e32 v9, vcc_lo, 0, v9, vcc_lo
.LBB4_3737:                             ;   in Loop: Header=BB4_3576 Depth=1
	s_or_b32 exec_lo, exec_lo, s18
	s_and_saveexec_b32 s10, s2
	s_cbranch_execz .LBB4_3759
; %bb.3738:                             ;   in Loop: Header=BB4_3576 Depth=1
	s_and_saveexec_b32 s18, s3
	s_delay_alu instid0(SALU_CYCLE_1)
	s_xor_b32 s18, exec_lo, s18
	s_cbranch_execz .LBB4_3756
; %bb.3739:                             ;   in Loop: Header=BB4_3576 Depth=1
	s_and_saveexec_b32 s19, s4
	s_cbranch_execz .LBB4_3755
; %bb.3740:                             ;   in Loop: Header=BB4_3576 Depth=1
	s_mov_b32 s21, exec_lo
	s_mov_b32 s20, exec_lo
	v_mbcnt_lo_u32_b32 v10, s21, 0
	s_waitcnt lgkmcnt(0)
	s_waitcnt_vscnt null, 0x0
	buffer_gl1_inv
	buffer_gl0_inv
	v_cmpx_eq_u32_e32 0, v10
	s_cbranch_execz .LBB4_3742
; %bb.3741:                             ;   in Loop: Header=BB4_3576 Depth=1
	s_bcnt1_i32_b32 s21, s21
	s_delay_alu instid0(SALU_CYCLE_1)
	v_mov_b32_e32 v10, s21
	ds_add_u64 v0, v[10:11]
	s_cbranch_execnz .LBB4_3909
.LBB4_3742:                             ;   in Loop: Header=BB4_3576 Depth=1
	s_or_b32 exec_lo, exec_lo, s20
	s_cbranch_execnz .LBB4_3897
; %bb.3743:                             ;   in Loop: Header=BB4_3576 Depth=1
	ds_load_b64 v[15:16], v0
	v_add_co_u32 v38, vcc_lo, v38, v19
	v_add_co_ci_u32_e32 v39, vcc_lo, 0, v39, vcc_lo
	s_mov_b32 s20, exec_lo
	s_waitcnt lgkmcnt(0)
	s_delay_alu instid0(VALU_DEP_1)
	v_cmpx_lt_u64_e64 v[15:16], v[38:39]
	s_cbranch_execz .LBB4_3754
; %bb.3744:                             ;   in Loop: Header=BB4_3576 Depth=1
	s_mov_b32 s21, 0
	s_mov_b32 s24, 0
                                        ; implicit-def: $sgpr22
                                        ; implicit-def: $sgpr23
	s_branch .LBB4_3746
.LBB4_3745:                             ;   in Loop: Header=BB4_3746 Depth=2
	s_or_b32 exec_lo, exec_lo, s27
	s_delay_alu instid0(SALU_CYCLE_1) | instskip(NEXT) | instid1(SALU_CYCLE_1)
	s_and_b32 s25, exec_lo, s26
	s_or_b32 s21, s25, s21
	s_and_not1_b32 s22, s22, exec_lo
	s_and_b32 s25, s23, exec_lo
	s_delay_alu instid0(SALU_CYCLE_1)
	s_or_b32 s22, s22, s25
	s_and_not1_b32 exec_lo, exec_lo, s21
	s_cbranch_execz .LBB4_3752
.LBB4_3746:                             ;   Parent Loop BB4_3576 Depth=1
                                        ; =>  This Inner Loop Header: Depth=2
	s_add_i32 s24, s24, 1
                                        ; implicit-def: $sgpr26
	s_delay_alu instid0(SALU_CYCLE_1) | instskip(SKIP_1) | instid1(SALU_CYCLE_1)
	s_cmpk_lg_i32 s24, 0x2710
	s_cselect_b32 s25, -1, 0
	s_and_b32 vcc_lo, exec_lo, s25
	s_cbranch_vccz .LBB4_3750
.LBB4_3747:                             ;   in Loop: Header=BB4_3746 Depth=2
	s_and_not1_b32 s23, s23, exec_lo
	s_and_b32 s27, s26, exec_lo
	s_mov_b32 s26, -1
	s_or_b32 s23, s23, s27
	s_and_saveexec_b32 s27, s25
	s_cbranch_execz .LBB4_3745
; %bb.3748:                             ;   in Loop: Header=BB4_3746 Depth=2
	s_sleep 1
	s_cbranch_execnz .LBB4_3945
; %bb.3749:                             ;   in Loop: Header=BB4_3746 Depth=2
	ds_load_b64 v[15:16], v0
	s_and_not1_b32 s23, s23, exec_lo
	s_waitcnt lgkmcnt(0)
	v_cmp_ge_u64_e32 vcc_lo, v[15:16], v[38:39]
	s_or_not1_b32 s26, vcc_lo, exec_lo
	s_branch .LBB4_3745
.LBB4_3750:                             ;   in Loop: Header=BB4_3746 Depth=2
	s_cbranch_execnz .LBB4_3949
; %bb.3751:                             ;   in Loop: Header=BB4_3746 Depth=2
	ds_load_b64 v[15:16], v0
	s_and_not1_b32 s25, s25, exec_lo
	s_mov_b32 s24, 0
	s_mov_b32 s26, -1
	s_waitcnt lgkmcnt(0)
	flat_load_b32 v10, v[15:16] glc
	s_waitcnt vmcnt(0) lgkmcnt(0)
	buffer_gl1_inv
	buffer_gl0_inv
	v_cmp_eq_u32_e32 vcc_lo, 0, v10
	s_and_b32 s27, vcc_lo, exec_lo
	s_delay_alu instid0(SALU_CYCLE_1)
	s_or_b32 s25, s25, s27
	s_branch .LBB4_3747
.LBB4_3752:                             ;   in Loop: Header=BB4_3576 Depth=1
	s_or_b32 exec_lo, exec_lo, s21
	s_and_saveexec_b32 s21, s22
	s_delay_alu instid0(SALU_CYCLE_1)
	s_xor_b32 s21, exec_lo, s21
	s_cbranch_execz .LBB4_3754
; %bb.3753:                             ;   in Loop: Header=BB4_3576 Depth=1
	ds_store_b32 v0, v65
	s_cbranch_execnz .LBB4_4039
.LBB4_3754:                             ;   in Loop: Header=BB4_3576 Depth=1
	s_or_b32 exec_lo, exec_lo, s20
	;;#ASMSTART
	s_wakeup
	;;#ASMEND
.LBB4_3755:                             ;   in Loop: Header=BB4_3576 Depth=1
	s_or_b32 exec_lo, exec_lo, s19
.LBB4_3756:                             ;   in Loop: Header=BB4_3576 Depth=1
	s_and_not1_saveexec_b32 s18, s18
	s_cbranch_execz .LBB4_3758
; %bb.3757:                             ;   in Loop: Header=BB4_3576 Depth=1
	s_waitcnt lgkmcnt(0)
	s_waitcnt_vscnt null, 0x0
	buffer_gl1_inv
	buffer_gl0_inv
	s_barrier
.LBB4_3758:                             ;   in Loop: Header=BB4_3576 Depth=1
	s_or_b32 exec_lo, exec_lo, s18
.LBB4_3759:                             ;   in Loop: Header=BB4_3576 Depth=1
	s_delay_alu instid0(SALU_CYCLE_1)
	s_or_b32 exec_lo, exec_lo, s10
	s_cbranch_execnz .LBB4_3842
; %bb.3760:                             ;   in Loop: Header=BB4_3576 Depth=1
	ds_load_b32 v10, v0
	v_cmp_lt_i32_e32 vcc_lo, 0, v14
	s_waitcnt lgkmcnt(0)
	v_readfirstlane_b32 s10, v10
	v_and_b32_e32 v10, 16, v30
	s_delay_alu instid0(VALU_DEP_2) | instskip(NEXT) | instid1(VALU_DEP_1)
	s_cmp_eq_u32 s10, 0
	v_cmp_ne_u32_e64 s10, 0, v10
	s_cselect_b32 s18, -1, 0
	s_delay_alu instid0(SALU_CYCLE_1)
	s_and_b32 s18, vcc_lo, s18
	s_delay_alu instid0(VALU_DEP_1) | instid1(SALU_CYCLE_1)
	s_and_b32 s18, s10, s18
	s_delay_alu instid0(SALU_CYCLE_1)
	s_and_saveexec_b32 s10, s18
	s_cbranch_execz .LBB4_3762
; %bb.3761:                             ;   in Loop: Header=BB4_3576 Depth=1
	s_waitcnt_vscnt null, 0x0
	buffer_gl1_inv
	buffer_gl0_inv
.LBB4_3762:                             ;   in Loop: Header=BB4_3576 Depth=1
	s_or_b32 exec_lo, exec_lo, s10
	s_delay_alu instid0(SALU_CYCLE_1)
	s_mov_b32 s10, exec_lo
	v_cmpx_ne_u32_e32 0, v10
	s_cbranch_execz .LBB4_3766
; %bb.3763:                             ;   in Loop: Header=BB4_3576 Depth=1
	s_and_saveexec_b32 s18, s7
	s_cbranch_execz .LBB4_3765
; %bb.3764:                             ;   in Loop: Header=BB4_3576 Depth=1
	s_waitcnt_vscnt null, 0x0
	flat_store_b32 v[50:51], v65
.LBB4_3765:                             ;   in Loop: Header=BB4_3576 Depth=1
	s_or_b32 exec_lo, exec_lo, s18
	v_add_co_u32 v8, vcc_lo, v8, 1
	v_add_co_ci_u32_e32 v9, vcc_lo, 0, v9, vcc_lo
	s_waitcnt lgkmcnt(0)
	s_waitcnt_vscnt null, 0x0
	flat_store_b64 v[32:33], v[8:9]
.LBB4_3766:                             ;   in Loop: Header=BB4_3576 Depth=1
	s_or_b32 exec_lo, exec_lo, s10
.LBB4_3767:                             ;   in Loop: Header=BB4_3576 Depth=1
	s_delay_alu instid0(SALU_CYCLE_1) | instskip(SKIP_2) | instid1(VALU_DEP_1)
	s_or_b32 exec_lo, exec_lo, s11
	v_add_co_u32 v12, vcc_lo, v12, v48
	v_add_co_ci_u32_e32 v13, vcc_lo, 0, v13, vcc_lo
	v_cmp_ge_u64_e32 vcc_lo, v[12:13], v[4:5]
	s_or_b32 s14, vcc_lo, s14
	s_delay_alu instid0(SALU_CYCLE_1)
	s_and_not1_b32 exec_lo, exec_lo, s14
	s_cbranch_execnz .LBB4_3576
; %bb.3768:
	s_or_b32 exec_lo, exec_lo, s14
.LBB4_3769:
	s_delay_alu instid0(SALU_CYCLE_1)
	s_or_b32 exec_lo, exec_lo, s15
.LBB4_3770:
	s_delay_alu instid0(SALU_CYCLE_1) | instskip(SKIP_2) | instid1(VALU_DEP_1)
	s_or_b32 exec_lo, exec_lo, s12
	v_and_b32_e32 v0, 0x800, v30
	s_mov_b32 s0, exec_lo
	v_cmpx_eq_u32_e32 0, v0
	s_cbranch_execz .LBB4_3993
; %bb.3771:
	v_and_b32_e32 v0, 48, v30
	s_mov_b32 s1, exec_lo
	s_delay_alu instid0(VALU_DEP_1)
	v_cmpx_ne_u32_e32 0, v0
	s_cbranch_execz .LBB4_3773
; %bb.3772:
	s_waitcnt lgkmcnt(0)
	flat_store_b64 v[28:29], v[8:9] offset:104
.LBB4_3773:
	s_or_b32 exec_lo, exec_lo, s1
	v_and_b32_e32 v0, 0x88, v30
	s_mov_b32 s1, exec_lo
	s_delay_alu instid0(VALU_DEP_1)
	v_cmpx_eq_u32_e32 0x88, v0
	s_cbranch_execz .LBB4_3823
; %bb.3774:
	s_waitcnt lgkmcnt(0)
	v_add_nc_u32_e32 v0, -1, v8
	s_mov_b32 s2, 0
                                        ; implicit-def: $sgpr3
	s_delay_alu instid0(VALU_DEP_1) | instskip(NEXT) | instid1(VALU_DEP_1)
	v_and_b32_e32 v0, 7, v0
	v_mad_u64_u32 v[4:5], null, v0, 24, v[6:7]
	v_mov_b32_e32 v0, 0
	s_delay_alu instid0(VALU_DEP_2) | instskip(NEXT) | instid1(VALU_DEP_3)
	v_add_co_u32 v4, vcc_lo, v4, 8
	v_add_co_ci_u32_e32 v5, vcc_lo, 0, v5, vcc_lo
	s_branch .LBB4_3807
.LBB4_3775:
	s_trap 2
	s_sendmsg_rtn_b32 s0, sendmsg(MSG_RTN_GET_DOORBELL)
	s_mov_b32 ttmp2, m0
	s_waitcnt lgkmcnt(0)
	s_and_b32 s0, s0, 0x3ff
	s_delay_alu instid0(SALU_CYCLE_1) | instskip(NEXT) | instid1(SALU_CYCLE_1)
	s_bitset1_b32 s0, 10
	s_mov_b32 m0, s0
	s_sendmsg sendmsg(MSG_INTERRUPT)
	s_mov_b32 m0, ttmp2
.LBB4_3776:                             ; =>This Inner Loop Header: Depth=1
	s_sethalt 5
	s_branch .LBB4_3776
.LBB4_3777:
	v_bfe_u32 v10, v6, 8, 8
	v_not_b32_e32 v8, v8
	s_mov_b32 s1, exec_lo
                                        ; implicit-def: $vgpr17_vgpr18
                                        ; implicit-def: $vgpr4_vgpr5
                                        ; implicit-def: $vgpr26_vgpr27
	s_delay_alu instid0(VALU_DEP_2)
	v_cmpx_ne_u32_e64 v10, v9
	s_xor_b32 s1, exec_lo, s1
	s_cbranch_execz .LBB4_3779
; %bb.3778:
	s_clause 0x1
	flat_load_b128 v[4:7], v[2:3] offset:72
	flat_load_b64 v[10:11], v[2:3] offset:96
	v_add_nc_u32_e32 v8, v9, v8
	s_delay_alu instid0(VALU_DEP_1) | instskip(SKIP_1) | instid1(VALU_DEP_1)
	v_ashrrev_i32_e32 v9, 31, v8
	s_waitcnt vmcnt(1) lgkmcnt(1)
	v_mul_lo_u32 v9, v6, v9
	v_mad_u64_u32 v[26:27], null, v6, v8, v[4:5]
	v_mul_lo_u32 v4, v7, v8
	s_waitcnt vmcnt(0) lgkmcnt(0)
	v_lshrrev_b64 v[17:18], 12, v[10:11]
                                        ; implicit-def: $vgpr10
                                        ; implicit-def: $vgpr8
	s_delay_alu instid0(VALU_DEP_2)
	v_add3_u32 v27, v4, v27, v9
	v_dual_mov_b32 v4, v6 :: v_dual_mov_b32 v5, v7
.LBB4_3779:
	s_and_not1_saveexec_b32 s1, s1
	s_cbranch_execz .LBB4_3781
; %bb.3780:
	s_clause 0x1
	flat_load_b128 v[17:20], v[2:3] offset:72
	flat_load_b128 v[4:7], v[2:3] offset:88
	s_waitcnt vmcnt(0) lgkmcnt(0)
	v_add_nc_u32_e32 v6, v10, v8
	s_delay_alu instid0(VALU_DEP_1) | instskip(NEXT) | instid1(VALU_DEP_1)
	v_ashrrev_i32_e32 v8, 31, v6
	v_mul_lo_u32 v8, v19, v8
	v_mad_u64_u32 v[26:27], null, v19, v6, v[17:18]
	v_mul_lo_u32 v6, v20, v6
	v_lshrrev_b32_e32 v17, 1, v7
	s_delay_alu instid0(VALU_DEP_2)
	v_add3_u32 v27, v6, v27, v8
.LBB4_3781:
	s_or_b32 exec_lo, exec_lo, s1
	s_and_not1_saveexec_b32 s0, s0
	s_cbranch_execnz .LBB4_3782
; %bb.4129:
	s_getpc_b64 s[34:35]
.Lpost_getpc34:
	s_add_u32 s34, s34, (.LBB4_3-.Lpost_getpc34)&4294967295
	s_addc_u32 s35, s35, (.LBB4_3-.Lpost_getpc34)>>32
	s_setpc_b64 s[34:35]
.LBB4_3782:
	s_clause 0x1
	flat_load_b64 v[6:7], v[2:3] offset:96
	flat_load_b64 v[4:5], v[2:3] offset:72
	v_mov_b32_e32 v26, 0
	v_mov_b32_e32 v27, 0
	s_waitcnt vmcnt(1) lgkmcnt(1)
	v_lshlrev_b64 v[17:18], 9, v[6:7]
	s_or_b32 exec_lo, exec_lo, s0
	s_cbranch_execnz .LBB4_3783
; %bb.4131:
	s_getpc_b64 s[34:35]
.Lpost_getpc35:
	s_add_u32 s34, s34, (.LBB4_4-.Lpost_getpc35)&4294967295
	s_addc_u32 s35, s35, (.LBB4_4-.Lpost_getpc35)>>32
	s_setpc_b64 s[34:35]
.LBB4_3783:
	s_trap 2
	s_sendmsg_rtn_b32 s0, sendmsg(MSG_RTN_GET_DOORBELL)
	s_mov_b32 ttmp2, m0
	s_waitcnt lgkmcnt(0)
	s_and_b32 s0, s0, 0x3ff
	s_delay_alu instid0(SALU_CYCLE_1) | instskip(NEXT) | instid1(SALU_CYCLE_1)
	s_bitset1_b32 s0, 10
	s_mov_b32 m0, s0
	s_sendmsg sendmsg(MSG_INTERRUPT)
	s_mov_b32 m0, ttmp2
.LBB4_3784:                             ; =>This Inner Loop Header: Depth=1
	s_sethalt 5
	s_branch .LBB4_3784
.LBB4_3785:
	s_trap 2
	s_sendmsg_rtn_b32 s0, sendmsg(MSG_RTN_GET_DOORBELL)
	s_mov_b32 ttmp2, m0
	s_waitcnt lgkmcnt(0)
	s_and_b32 s0, s0, 0x3ff
	s_delay_alu instid0(SALU_CYCLE_1) | instskip(NEXT) | instid1(SALU_CYCLE_1)
	s_bitset1_b32 s0, 10
	s_mov_b32 m0, s0
	s_sendmsg sendmsg(MSG_INTERRUPT)
	s_mov_b32 m0, ttmp2
.LBB4_3786:                             ; =>This Inner Loop Header: Depth=1
	s_sethalt 5
	s_branch .LBB4_3786
.LBB4_3787:
	s_trap 2
	s_sendmsg_rtn_b32 s0, sendmsg(MSG_RTN_GET_DOORBELL)
	s_mov_b32 ttmp2, m0
	s_waitcnt lgkmcnt(0)
	s_and_b32 s0, s0, 0x3ff
	s_delay_alu instid0(SALU_CYCLE_1) | instskip(NEXT) | instid1(SALU_CYCLE_1)
	s_bitset1_b32 s0, 10
	s_mov_b32 m0, s0
	s_sendmsg sendmsg(MSG_INTERRUPT)
	s_mov_b32 m0, ttmp2
.LBB4_3788:                             ; =>This Inner Loop Header: Depth=1
	s_sethalt 5
	s_branch .LBB4_3788
.LBB4_3789:
	s_trap 2
	s_sendmsg_rtn_b32 s0, sendmsg(MSG_RTN_GET_DOORBELL)
	s_mov_b32 ttmp2, m0
	s_waitcnt lgkmcnt(0)
	s_and_b32 s0, s0, 0x3ff
	s_delay_alu instid0(SALU_CYCLE_1) | instskip(NEXT) | instid1(SALU_CYCLE_1)
	s_bitset1_b32 s0, 10
	s_mov_b32 m0, s0
	s_sendmsg sendmsg(MSG_INTERRUPT)
	s_mov_b32 m0, ttmp2
.LBB4_3790:                             ; =>This Inner Loop Header: Depth=1
	s_sethalt 5
	s_branch .LBB4_3790
.LBB4_3791:
	s_trap 2
	s_sendmsg_rtn_b32 s0, sendmsg(MSG_RTN_GET_DOORBELL)
	s_mov_b32 ttmp2, m0
	s_waitcnt lgkmcnt(0)
	s_and_b32 s0, s0, 0x3ff
	s_delay_alu instid0(SALU_CYCLE_1) | instskip(NEXT) | instid1(SALU_CYCLE_1)
	s_bitset1_b32 s0, 10
	s_mov_b32 m0, s0
	s_sendmsg sendmsg(MSG_INTERRUPT)
	s_mov_b32 m0, ttmp2
.LBB4_3792:                             ; =>This Inner Loop Header: Depth=1
	s_sethalt 5
	s_branch .LBB4_3792
.LBB4_3793:
	s_trap 2
	s_sendmsg_rtn_b32 s0, sendmsg(MSG_RTN_GET_DOORBELL)
	s_mov_b32 ttmp2, m0
	s_waitcnt lgkmcnt(0)
	s_and_b32 s0, s0, 0x3ff
	s_delay_alu instid0(SALU_CYCLE_1) | instskip(NEXT) | instid1(SALU_CYCLE_1)
	s_bitset1_b32 s0, 10
	s_mov_b32 m0, s0
	s_sendmsg sendmsg(MSG_INTERRUPT)
	s_mov_b32 m0, ttmp2
.LBB4_3794:                             ; =>This Inner Loop Header: Depth=1
	s_sethalt 5
	s_branch .LBB4_3794
.LBB4_3795:
	s_trap 2
	s_sendmsg_rtn_b32 s0, sendmsg(MSG_RTN_GET_DOORBELL)
	s_mov_b32 ttmp2, m0
	s_waitcnt lgkmcnt(0)
	s_and_b32 s0, s0, 0x3ff
	s_delay_alu instid0(SALU_CYCLE_1) | instskip(NEXT) | instid1(SALU_CYCLE_1)
	s_bitset1_b32 s0, 10
	s_mov_b32 m0, s0
	s_sendmsg sendmsg(MSG_INTERRUPT)
	s_mov_b32 m0, ttmp2
.LBB4_3796:                             ; =>This Inner Loop Header: Depth=1
	s_sethalt 5
	s_branch .LBB4_3796
.LBB4_3797:
	s_trap 2
	s_sendmsg_rtn_b32 s0, sendmsg(MSG_RTN_GET_DOORBELL)
	s_mov_b32 ttmp2, m0
	s_waitcnt lgkmcnt(0)
	s_and_b32 s0, s0, 0x3ff
	s_delay_alu instid0(SALU_CYCLE_1) | instskip(NEXT) | instid1(SALU_CYCLE_1)
	s_bitset1_b32 s0, 10
	s_mov_b32 m0, s0
	s_sendmsg sendmsg(MSG_INTERRUPT)
	s_mov_b32 m0, ttmp2
.LBB4_3798:                             ; =>This Inner Loop Header: Depth=1
	s_sethalt 5
	s_branch .LBB4_3798
.LBB4_3799:
	s_trap 2
	s_sendmsg_rtn_b32 s0, sendmsg(MSG_RTN_GET_DOORBELL)
	s_mov_b32 ttmp2, m0
	s_waitcnt lgkmcnt(0)
	s_and_b32 s0, s0, 0x3ff
	s_delay_alu instid0(SALU_CYCLE_1) | instskip(NEXT) | instid1(SALU_CYCLE_1)
	s_bitset1_b32 s0, 10
	s_mov_b32 m0, s0
	s_sendmsg sendmsg(MSG_INTERRUPT)
	s_mov_b32 m0, ttmp2
.LBB4_3800:                             ; =>This Inner Loop Header: Depth=1
	s_sethalt 5
	s_branch .LBB4_3800
.LBB4_3801:
	s_trap 2
	s_sendmsg_rtn_b32 s0, sendmsg(MSG_RTN_GET_DOORBELL)
	s_mov_b32 ttmp2, m0
	s_waitcnt lgkmcnt(0)
	s_and_b32 s0, s0, 0x3ff
	s_delay_alu instid0(SALU_CYCLE_1) | instskip(NEXT) | instid1(SALU_CYCLE_1)
	s_bitset1_b32 s0, 10
	s_mov_b32 m0, s0
	s_sendmsg sendmsg(MSG_INTERRUPT)
	s_mov_b32 m0, ttmp2
.LBB4_3802:                             ; =>This Inner Loop Header: Depth=1
	s_sethalt 5
	s_branch .LBB4_3802
.LBB4_3803:                             ;   in Loop: Header=BB4_3807 Depth=1
	s_or_b32 exec_lo, exec_lo, s10
	v_mov_b32_e32 v6, 0
	s_or_not1_b32 s7, s7, exec_lo
.LBB4_3804:                             ;   in Loop: Header=BB4_3807 Depth=1
	s_or_b32 exec_lo, exec_lo, s6
	s_delay_alu instid0(VALU_DEP_1)
	v_mov_b32_e32 v0, v6
	s_and_b32 s6, s7, exec_lo
.LBB4_3805:                             ;   in Loop: Header=BB4_3807 Depth=1
	s_or_b32 exec_lo, exec_lo, s5
	s_xor_b32 s5, s6, -1
	s_and_not1_b32 s3, s3, exec_lo
	s_and_b32 s5, s5, exec_lo
	s_delay_alu instid0(SALU_CYCLE_1)
	s_or_b32 s3, s3, s5
.LBB4_3806:                             ;   in Loop: Header=BB4_3807 Depth=1
	s_or_b32 exec_lo, exec_lo, s4
	s_delay_alu instid0(SALU_CYCLE_1) | instskip(NEXT) | instid1(SALU_CYCLE_1)
	s_and_b32 s4, exec_lo, s3
	s_or_b32 s2, s4, s2
	s_delay_alu instid0(SALU_CYCLE_1)
	s_and_not1_b32 exec_lo, exec_lo, s2
	s_cbranch_execz .LBB4_3822
.LBB4_3807:                             ; =>This Inner Loop Header: Depth=1
	flat_load_b64 v[6:7], v[4:5] glc dlc
	s_waitcnt vmcnt(0)
	s_or_b32 s3, s3, exec_lo
	s_mov_b32 s4, exec_lo
	s_waitcnt lgkmcnt(0)
	v_cmpx_ne_u64_e32 -1, v[6:7]
	s_cbranch_execz .LBB4_3806
; %bb.3808:                             ;   in Loop: Header=BB4_3807 Depth=1
	v_and_b32_e32 v6, 64, v30
	s_mov_b32 s6, 0
	s_mov_b32 s5, exec_lo
	s_delay_alu instid0(VALU_DEP_1)
	v_cmpx_eq_u32_e32 0, v6
	s_cbranch_execz .LBB4_3805
; %bb.3809:                             ;   in Loop: Header=BB4_3807 Depth=1
	v_add_nc_u32_e32 v6, 1, v0
	s_mov_b32 s7, -1
	s_mov_b32 s6, exec_lo
	v_cmpx_lt_i32_e32 0x270e, v0
	s_cbranch_execz .LBB4_3804
; %bb.3810:                             ;   in Loop: Header=BB4_3807 Depth=1
	s_cbranch_execnz .LBB4_3814
; %bb.3811:                             ;   in Loop: Header=BB4_3807 Depth=1
	ds_load_b64 v[6:7], v0
	s_mov_b32 s10, exec_lo
	s_waitcnt lgkmcnt(0)
	s_waitcnt_vscnt null, 0x0
	flat_load_b32 v0, v[6:7] glc
	s_waitcnt vmcnt(0) lgkmcnt(0)
	buffer_gl1_inv
	buffer_gl0_inv
	v_cmpx_ne_u32_e32 0, v0
	s_cbranch_execz .LBB4_3803
; %bb.3812:                             ;   in Loop: Header=BB4_3807 Depth=1
	ds_store_b32 v0, v0
	s_cbranch_execnz .LBB4_3836
; %bb.3813:                             ;   in Loop: Header=BB4_3807 Depth=1
	v_or_b32_e32 v30, 64, v30
	s_xor_b32 s7, exec_lo, -1
	s_branch .LBB4_3803
.LBB4_3814:
	s_trap 2
	s_sendmsg_rtn_b32 s0, sendmsg(MSG_RTN_GET_DOORBELL)
	s_mov_b32 ttmp2, m0
	s_waitcnt lgkmcnt(0)
	s_and_b32 s0, s0, 0x3ff
	s_delay_alu instid0(SALU_CYCLE_1) | instskip(NEXT) | instid1(SALU_CYCLE_1)
	s_bitset1_b32 s0, 10
	s_mov_b32 m0, s0
	s_sendmsg sendmsg(MSG_INTERRUPT)
	s_mov_b32 m0, ttmp2
.LBB4_3815:                             ; =>This Inner Loop Header: Depth=1
	s_sethalt 5
	s_branch .LBB4_3815
.LBB4_3816:
	s_trap 2
	s_sendmsg_rtn_b32 s0, sendmsg(MSG_RTN_GET_DOORBELL)
	s_mov_b32 ttmp2, m0
	s_waitcnt lgkmcnt(0)
	s_and_b32 s0, s0, 0x3ff
	s_delay_alu instid0(SALU_CYCLE_1) | instskip(NEXT) | instid1(SALU_CYCLE_1)
	s_bitset1_b32 s0, 10
	s_mov_b32 m0, s0
	s_sendmsg sendmsg(MSG_INTERRUPT)
	s_mov_b32 m0, ttmp2
.LBB4_3817:                             ; =>This Inner Loop Header: Depth=1
	s_sethalt 5
	s_branch .LBB4_3817
.LBB4_3818:
	s_trap 2
	s_sendmsg_rtn_b32 s0, sendmsg(MSG_RTN_GET_DOORBELL)
	s_mov_b32 ttmp2, m0
	s_waitcnt lgkmcnt(0)
	s_and_b32 s0, s0, 0x3ff
	s_delay_alu instid0(SALU_CYCLE_1) | instskip(NEXT) | instid1(SALU_CYCLE_1)
	s_bitset1_b32 s0, 10
	s_mov_b32 m0, s0
	s_sendmsg sendmsg(MSG_INTERRUPT)
	s_mov_b32 m0, ttmp2
.LBB4_3819:                             ; =>This Inner Loop Header: Depth=1
	s_sethalt 5
	s_branch .LBB4_3819
.LBB4_3820:
	s_trap 2
	s_sendmsg_rtn_b32 s0, sendmsg(MSG_RTN_GET_DOORBELL)
	s_mov_b32 ttmp2, m0
	s_waitcnt lgkmcnt(0)
	s_and_b32 s0, s0, 0x3ff
	s_delay_alu instid0(SALU_CYCLE_1) | instskip(NEXT) | instid1(SALU_CYCLE_1)
	s_bitset1_b32 s0, 10
	s_mov_b32 m0, s0
	s_sendmsg sendmsg(MSG_INTERRUPT)
	s_mov_b32 m0, ttmp2
.LBB4_3821:                             ; =>This Inner Loop Header: Depth=1
	s_sethalt 5
	s_branch .LBB4_3821
.LBB4_3822:
	s_or_b32 exec_lo, exec_lo, s2
.LBB4_3823:
	s_delay_alu instid0(SALU_CYCLE_1) | instskip(SKIP_2) | instid1(VALU_DEP_1)
	s_or_b32 exec_lo, exec_lo, s1
	v_and_b32_e32 v0, 0x2000, v30
	s_mov_b32 s1, exec_lo
	v_cmpx_ne_u32_e32 0, v0
	s_cbranch_execz .LBB4_3826
; %bb.3824:
	s_cbranch_execnz .LBB4_3834
; %bb.3825:
	ds_load_b64 v[4:5], v0
	s_waitcnt lgkmcnt(0)
	flat_store_b64 v[2:3], v[4:5] offset:16
.LBB4_3826:
	s_or_b32 exec_lo, exec_lo, s1
	v_cmp_ne_u32_e32 vcc_lo, 32, v1
	s_and_b32 exec_lo, exec_lo, vcc_lo
	s_cbranch_execz .LBB4_3993
; %bb.3827:
	s_mov_b32 s1, exec_lo
	v_cmpx_ne_u32_e64 v80, v1
	s_xor_b32 s1, exec_lo, s1
	s_cbranch_execz .LBB4_3991
; %bb.3828:
	v_and_b32_e32 v0, 31, v31
	s_mov_b32 s2, exec_lo
	s_delay_alu instid0(VALU_DEP_1)
	v_cmpx_eq_u32_e32 0, v0
	s_cbranch_execz .LBB4_3990
; %bb.3829:
	s_mov_b32 s4, exec_lo
	s_mov_b32 s3, exec_lo
	v_mbcnt_lo_u32_b32 v0, s4, 0
	s_waitcnt lgkmcnt(0)
	s_waitcnt_vscnt null, 0x0
	buffer_gl1_inv
	buffer_gl0_inv
	v_cmpx_eq_u32_e32 0, v0
	s_cbranch_execz .LBB4_3831
; %bb.3830:
	s_bcnt1_i32_b32 s4, s4
	s_delay_alu instid0(SALU_CYCLE_1)
	v_dual_mov_b32 v3, 0 :: v_dual_mov_b32 v2, s4
	ds_add_u64 v0, v[2:3]
	s_cbranch_execnz .LBB4_3879
.LBB4_3831:
	s_or_b32 exec_lo, exec_lo, s3
	s_cbranch_execnz .LBB4_3864
; %bb.3832:
	v_ashrrev_i32_e32 v0, 31, v1
	s_mov_b32 s3, exec_lo
	s_delay_alu instid0(VALU_DEP_1) | instskip(NEXT) | instid1(VALU_DEP_1)
	v_lshrrev_b32_e32 v0, 27, v0
	v_add_nc_u32_e32 v0, v1, v0
	ds_load_b64 v[2:3], v0
	v_ashrrev_i32_e32 v0, 5, v0
	s_delay_alu instid0(VALU_DEP_1) | instskip(SKIP_1) | instid1(VALU_DEP_2)
	v_ashrrev_i32_e32 v1, 31, v0
	v_add_co_u32 v0, vcc_lo, v38, v0
	v_add_co_ci_u32_e32 v1, vcc_lo, v39, v1, vcc_lo
	s_waitcnt lgkmcnt(0)
	s_delay_alu instid0(VALU_DEP_1)
	v_cmpx_lt_u64_e64 v[2:3], v[0:1]
	s_cbranch_execz .LBB4_3989
; %bb.3833:
	s_mov_b32 s4, 0
	s_mov_b32 s7, 0
                                        ; implicit-def: $sgpr5
                                        ; implicit-def: $sgpr6
	s_branch .LBB4_3869
.LBB4_3834:
	s_trap 2
	s_sendmsg_rtn_b32 s0, sendmsg(MSG_RTN_GET_DOORBELL)
	s_mov_b32 ttmp2, m0
	s_waitcnt lgkmcnt(0)
	s_and_b32 s0, s0, 0x3ff
	s_delay_alu instid0(SALU_CYCLE_1) | instskip(NEXT) | instid1(SALU_CYCLE_1)
	s_bitset1_b32 s0, 10
	s_mov_b32 m0, s0
	s_sendmsg sendmsg(MSG_INTERRUPT)
	s_mov_b32 m0, ttmp2
.LBB4_3835:                             ; =>This Inner Loop Header: Depth=1
	s_sethalt 5
	s_branch .LBB4_3835
.LBB4_3836:
	s_trap 2
	s_sendmsg_rtn_b32 s0, sendmsg(MSG_RTN_GET_DOORBELL)
	s_mov_b32 ttmp2, m0
	s_waitcnt lgkmcnt(0)
	s_and_b32 s0, s0, 0x3ff
	s_delay_alu instid0(SALU_CYCLE_1) | instskip(NEXT) | instid1(SALU_CYCLE_1)
	s_bitset1_b32 s0, 10
	s_mov_b32 m0, s0
	s_sendmsg sendmsg(MSG_INTERRUPT)
	s_mov_b32 m0, ttmp2
.LBB4_3837:                             ; =>This Inner Loop Header: Depth=1
	s_sethalt 5
	s_branch .LBB4_3837
.LBB4_3838:
	s_trap 2
	s_sendmsg_rtn_b32 s0, sendmsg(MSG_RTN_GET_DOORBELL)
	s_mov_b32 ttmp2, m0
	s_waitcnt lgkmcnt(0)
	s_and_b32 s0, s0, 0x3ff
	s_delay_alu instid0(SALU_CYCLE_1) | instskip(NEXT) | instid1(SALU_CYCLE_1)
	s_bitset1_b32 s0, 10
	s_mov_b32 m0, s0
	s_sendmsg sendmsg(MSG_INTERRUPT)
	s_mov_b32 m0, ttmp2
.LBB4_3839:                             ; =>This Inner Loop Header: Depth=1
	s_sethalt 5
	s_branch .LBB4_3839
.LBB4_3840:
	s_trap 2
	s_sendmsg_rtn_b32 s0, sendmsg(MSG_RTN_GET_DOORBELL)
	s_mov_b32 ttmp2, m0
	s_waitcnt lgkmcnt(0)
	s_and_b32 s0, s0, 0x3ff
	s_delay_alu instid0(SALU_CYCLE_1) | instskip(NEXT) | instid1(SALU_CYCLE_1)
	s_bitset1_b32 s0, 10
	s_mov_b32 m0, s0
	s_sendmsg sendmsg(MSG_INTERRUPT)
	s_mov_b32 m0, ttmp2
.LBB4_3841:                             ; =>This Inner Loop Header: Depth=1
	s_sethalt 5
	s_branch .LBB4_3841
.LBB4_3842:
	s_trap 2
	s_sendmsg_rtn_b32 s0, sendmsg(MSG_RTN_GET_DOORBELL)
	s_mov_b32 ttmp2, m0
	s_waitcnt lgkmcnt(0)
	s_and_b32 s0, s0, 0x3ff
	s_delay_alu instid0(SALU_CYCLE_1) | instskip(NEXT) | instid1(SALU_CYCLE_1)
	s_bitset1_b32 s0, 10
	s_mov_b32 m0, s0
	s_sendmsg sendmsg(MSG_INTERRUPT)
	s_mov_b32 m0, ttmp2
.LBB4_3843:                             ; =>This Inner Loop Header: Depth=1
	s_sethalt 5
	s_branch .LBB4_3843
.LBB4_3844:
	s_trap 2
	s_sendmsg_rtn_b32 s0, sendmsg(MSG_RTN_GET_DOORBELL)
	s_mov_b32 ttmp2, m0
	s_waitcnt lgkmcnt(0)
	s_and_b32 s0, s0, 0x3ff
	s_delay_alu instid0(SALU_CYCLE_1) | instskip(NEXT) | instid1(SALU_CYCLE_1)
	s_bitset1_b32 s0, 10
	s_mov_b32 m0, s0
	s_sendmsg sendmsg(MSG_INTERRUPT)
	s_mov_b32 m0, ttmp2
.LBB4_3845:                             ; =>This Inner Loop Header: Depth=1
	s_sethalt 5
	s_branch .LBB4_3845
.LBB4_3846:
	s_trap 2
	s_sendmsg_rtn_b32 s0, sendmsg(MSG_RTN_GET_DOORBELL)
	s_mov_b32 ttmp2, m0
	s_waitcnt lgkmcnt(0)
	s_and_b32 s0, s0, 0x3ff
	s_delay_alu instid0(SALU_CYCLE_1) | instskip(NEXT) | instid1(SALU_CYCLE_1)
	s_bitset1_b32 s0, 10
	s_mov_b32 m0, s0
	s_sendmsg sendmsg(MSG_INTERRUPT)
	s_mov_b32 m0, ttmp2
.LBB4_3847:                             ; =>This Inner Loop Header: Depth=1
	s_sethalt 5
	s_branch .LBB4_3847
.LBB4_3848:
	s_trap 2
	s_sendmsg_rtn_b32 s0, sendmsg(MSG_RTN_GET_DOORBELL)
	s_mov_b32 ttmp2, m0
	s_waitcnt lgkmcnt(0)
	s_and_b32 s0, s0, 0x3ff
	s_delay_alu instid0(SALU_CYCLE_1) | instskip(NEXT) | instid1(SALU_CYCLE_1)
	s_bitset1_b32 s0, 10
	s_mov_b32 m0, s0
	s_sendmsg sendmsg(MSG_INTERRUPT)
	s_mov_b32 m0, ttmp2
.LBB4_3849:                             ; =>This Inner Loop Header: Depth=1
	s_sethalt 5
	s_branch .LBB4_3849
.LBB4_3850:
	s_trap 2
	s_sendmsg_rtn_b32 s0, sendmsg(MSG_RTN_GET_DOORBELL)
	s_mov_b32 ttmp2, m0
	s_waitcnt lgkmcnt(0)
	s_and_b32 s0, s0, 0x3ff
	s_delay_alu instid0(SALU_CYCLE_1) | instskip(NEXT) | instid1(SALU_CYCLE_1)
	s_bitset1_b32 s0, 10
	s_mov_b32 m0, s0
	s_sendmsg sendmsg(MSG_INTERRUPT)
	s_mov_b32 m0, ttmp2
.LBB4_3851:                             ; =>This Inner Loop Header: Depth=1
	s_sethalt 5
	s_branch .LBB4_3851
.LBB4_3852:
	s_trap 2
	s_sendmsg_rtn_b32 s0, sendmsg(MSG_RTN_GET_DOORBELL)
	s_mov_b32 ttmp2, m0
	s_waitcnt lgkmcnt(0)
	s_and_b32 s0, s0, 0x3ff
	s_delay_alu instid0(SALU_CYCLE_1) | instskip(NEXT) | instid1(SALU_CYCLE_1)
	s_bitset1_b32 s0, 10
	s_mov_b32 m0, s0
	s_sendmsg sendmsg(MSG_INTERRUPT)
	s_mov_b32 m0, ttmp2
.LBB4_3853:                             ; =>This Inner Loop Header: Depth=1
	s_sethalt 5
	s_branch .LBB4_3853
.LBB4_3854:
	s_trap 2
	s_sendmsg_rtn_b32 s0, sendmsg(MSG_RTN_GET_DOORBELL)
	s_mov_b32 ttmp2, m0
	s_waitcnt lgkmcnt(0)
	s_and_b32 s0, s0, 0x3ff
	s_delay_alu instid0(SALU_CYCLE_1) | instskip(NEXT) | instid1(SALU_CYCLE_1)
	s_bitset1_b32 s0, 10
	s_mov_b32 m0, s0
	s_sendmsg sendmsg(MSG_INTERRUPT)
	s_mov_b32 m0, ttmp2
.LBB4_3855:                             ; =>This Inner Loop Header: Depth=1
	s_sethalt 5
	s_branch .LBB4_3855
.LBB4_3856:
	s_trap 2
	s_sendmsg_rtn_b32 s0, sendmsg(MSG_RTN_GET_DOORBELL)
	s_mov_b32 ttmp2, m0
	s_waitcnt lgkmcnt(0)
	s_and_b32 s0, s0, 0x3ff
	s_delay_alu instid0(SALU_CYCLE_1) | instskip(NEXT) | instid1(SALU_CYCLE_1)
	s_bitset1_b32 s0, 10
	s_mov_b32 m0, s0
	s_sendmsg sendmsg(MSG_INTERRUPT)
	s_mov_b32 m0, ttmp2
.LBB4_3857:                             ; =>This Inner Loop Header: Depth=1
	s_sethalt 5
	s_branch .LBB4_3857
.LBB4_3858:
	s_trap 2
	s_sendmsg_rtn_b32 s0, sendmsg(MSG_RTN_GET_DOORBELL)
	s_mov_b32 ttmp2, m0
	s_waitcnt lgkmcnt(0)
	s_and_b32 s0, s0, 0x3ff
	s_delay_alu instid0(SALU_CYCLE_1) | instskip(NEXT) | instid1(SALU_CYCLE_1)
	s_bitset1_b32 s0, 10
	s_mov_b32 m0, s0
	s_sendmsg sendmsg(MSG_INTERRUPT)
	s_mov_b32 m0, ttmp2
.LBB4_3859:                             ; =>This Inner Loop Header: Depth=1
	s_sethalt 5
	s_branch .LBB4_3859
.LBB4_3860:
	s_trap 2
	s_sendmsg_rtn_b32 s0, sendmsg(MSG_RTN_GET_DOORBELL)
	s_mov_b32 ttmp2, m0
	s_waitcnt lgkmcnt(0)
	s_and_b32 s0, s0, 0x3ff
	s_delay_alu instid0(SALU_CYCLE_1) | instskip(NEXT) | instid1(SALU_CYCLE_1)
	s_bitset1_b32 s0, 10
	s_mov_b32 m0, s0
	s_sendmsg sendmsg(MSG_INTERRUPT)
	s_mov_b32 m0, ttmp2
.LBB4_3861:                             ; =>This Inner Loop Header: Depth=1
	s_sethalt 5
	s_branch .LBB4_3861
.LBB4_3862:
	s_trap 2
	s_sendmsg_rtn_b32 s0, sendmsg(MSG_RTN_GET_DOORBELL)
	s_mov_b32 ttmp2, m0
	s_waitcnt lgkmcnt(0)
	s_and_b32 s0, s0, 0x3ff
	s_delay_alu instid0(SALU_CYCLE_1) | instskip(NEXT) | instid1(SALU_CYCLE_1)
	s_bitset1_b32 s0, 10
	s_mov_b32 m0, s0
	s_sendmsg sendmsg(MSG_INTERRUPT)
	s_mov_b32 m0, ttmp2
.LBB4_3863:                             ; =>This Inner Loop Header: Depth=1
	s_sethalt 5
	s_branch .LBB4_3863
.LBB4_3864:
	s_trap 2
	s_sendmsg_rtn_b32 s0, sendmsg(MSG_RTN_GET_DOORBELL)
	s_mov_b32 ttmp2, m0
	s_waitcnt lgkmcnt(0)
	s_and_b32 s0, s0, 0x3ff
	s_delay_alu instid0(SALU_CYCLE_1) | instskip(NEXT) | instid1(SALU_CYCLE_1)
	s_bitset1_b32 s0, 10
	s_mov_b32 m0, s0
	s_sendmsg sendmsg(MSG_INTERRUPT)
	s_mov_b32 m0, ttmp2
.LBB4_3865:                             ; =>This Inner Loop Header: Depth=1
	s_sethalt 5
	s_branch .LBB4_3865
.LBB4_3866:
	s_trap 2
	s_sendmsg_rtn_b32 s0, sendmsg(MSG_RTN_GET_DOORBELL)
	s_mov_b32 ttmp2, m0
	s_waitcnt lgkmcnt(0)
	s_and_b32 s0, s0, 0x3ff
	s_delay_alu instid0(SALU_CYCLE_1) | instskip(NEXT) | instid1(SALU_CYCLE_1)
	s_bitset1_b32 s0, 10
	s_mov_b32 m0, s0
	s_sendmsg sendmsg(MSG_INTERRUPT)
	s_mov_b32 m0, ttmp2
.LBB4_3867:                             ; =>This Inner Loop Header: Depth=1
	s_sethalt 5
	s_branch .LBB4_3867
.LBB4_3868:                             ;   in Loop: Header=BB4_3869 Depth=1
	s_or_b32 exec_lo, exec_lo, s12
	s_delay_alu instid0(SALU_CYCLE_1) | instskip(NEXT) | instid1(SALU_CYCLE_1)
	s_and_b32 s10, exec_lo, s11
	s_or_b32 s4, s10, s4
	s_and_not1_b32 s5, s5, exec_lo
	s_and_b32 s10, s6, exec_lo
	s_delay_alu instid0(SALU_CYCLE_1)
	s_or_b32 s5, s5, s10
	s_and_not1_b32 exec_lo, exec_lo, s4
	s_cbranch_execz .LBB4_3987
.LBB4_3869:                             ; =>This Inner Loop Header: Depth=1
	s_add_i32 s7, s7, 1
                                        ; implicit-def: $sgpr11
	s_delay_alu instid0(SALU_CYCLE_1) | instskip(SKIP_1) | instid1(SALU_CYCLE_1)
	s_cmpk_lg_i32 s7, 0x2710
	s_cselect_b32 s10, -1, 0
	s_and_b32 vcc_lo, exec_lo, s10
	s_cbranch_vccz .LBB4_3873
.LBB4_3870:                             ;   in Loop: Header=BB4_3869 Depth=1
	s_and_not1_b32 s6, s6, exec_lo
	s_and_b32 s12, s11, exec_lo
	s_mov_b32 s11, -1
	s_or_b32 s6, s6, s12
	s_and_saveexec_b32 s12, s10
	s_cbranch_execz .LBB4_3868
; %bb.3871:                             ;   in Loop: Header=BB4_3869 Depth=1
	s_sleep 1
	s_cbranch_execnz .LBB4_3895
; %bb.3872:                             ;   in Loop: Header=BB4_3869 Depth=1
	ds_load_b64 v[2:3], v0
	s_and_not1_b32 s6, s6, exec_lo
	s_waitcnt lgkmcnt(0)
	v_cmp_ge_u64_e32 vcc_lo, v[2:3], v[0:1]
	s_or_not1_b32 s11, vcc_lo, exec_lo
	s_branch .LBB4_3868
.LBB4_3873:                             ;   in Loop: Header=BB4_3869 Depth=1
	s_cbranch_execnz .LBB4_3903
; %bb.3874:                             ;   in Loop: Header=BB4_3869 Depth=1
	ds_load_b64 v[2:3], v0
	s_and_not1_b32 s10, s10, exec_lo
	s_mov_b32 s7, 0
	s_mov_b32 s11, -1
	s_waitcnt lgkmcnt(0)
	flat_load_b32 v2, v[2:3] glc
	s_waitcnt vmcnt(0) lgkmcnt(0)
	buffer_gl1_inv
	buffer_gl0_inv
	v_cmp_eq_u32_e32 vcc_lo, 0, v2
	s_and_b32 s12, vcc_lo, exec_lo
	s_delay_alu instid0(SALU_CYCLE_1)
	s_or_b32 s10, s10, s12
	s_branch .LBB4_3870
.LBB4_3875:
	s_trap 2
	s_sendmsg_rtn_b32 s0, sendmsg(MSG_RTN_GET_DOORBELL)
	s_mov_b32 ttmp2, m0
	s_waitcnt lgkmcnt(0)
	s_and_b32 s0, s0, 0x3ff
	s_delay_alu instid0(SALU_CYCLE_1) | instskip(NEXT) | instid1(SALU_CYCLE_1)
	s_bitset1_b32 s0, 10
	s_mov_b32 m0, s0
	s_sendmsg sendmsg(MSG_INTERRUPT)
	s_mov_b32 m0, ttmp2
.LBB4_3876:                             ; =>This Inner Loop Header: Depth=1
	s_sethalt 5
	s_branch .LBB4_3876
.LBB4_3877:
	s_trap 2
	s_sendmsg_rtn_b32 s0, sendmsg(MSG_RTN_GET_DOORBELL)
	s_mov_b32 ttmp2, m0
	s_waitcnt lgkmcnt(0)
	s_and_b32 s0, s0, 0x3ff
	s_delay_alu instid0(SALU_CYCLE_1) | instskip(NEXT) | instid1(SALU_CYCLE_1)
	s_bitset1_b32 s0, 10
	s_mov_b32 m0, s0
	s_sendmsg sendmsg(MSG_INTERRUPT)
	s_mov_b32 m0, ttmp2
.LBB4_3878:                             ; =>This Inner Loop Header: Depth=1
	s_sethalt 5
	s_branch .LBB4_3878
.LBB4_3879:
	s_trap 2
	s_sendmsg_rtn_b32 s0, sendmsg(MSG_RTN_GET_DOORBELL)
	s_mov_b32 ttmp2, m0
	s_waitcnt lgkmcnt(0)
	s_and_b32 s0, s0, 0x3ff
	s_delay_alu instid0(SALU_CYCLE_1) | instskip(NEXT) | instid1(SALU_CYCLE_1)
	s_bitset1_b32 s0, 10
	s_mov_b32 m0, s0
	s_sendmsg sendmsg(MSG_INTERRUPT)
	s_mov_b32 m0, ttmp2
.LBB4_3880:                             ; =>This Inner Loop Header: Depth=1
	s_sethalt 5
	s_branch .LBB4_3880
.LBB4_3881:
	s_trap 2
	s_sendmsg_rtn_b32 s0, sendmsg(MSG_RTN_GET_DOORBELL)
	s_mov_b32 ttmp2, m0
	s_waitcnt lgkmcnt(0)
	s_and_b32 s0, s0, 0x3ff
	s_delay_alu instid0(SALU_CYCLE_1) | instskip(NEXT) | instid1(SALU_CYCLE_1)
	s_bitset1_b32 s0, 10
	s_mov_b32 m0, s0
	s_sendmsg sendmsg(MSG_INTERRUPT)
	s_mov_b32 m0, ttmp2
.LBB4_3882:                             ; =>This Inner Loop Header: Depth=1
	s_sethalt 5
	s_branch .LBB4_3882
.LBB4_3883:
	s_trap 2
	s_sendmsg_rtn_b32 s0, sendmsg(MSG_RTN_GET_DOORBELL)
	s_mov_b32 ttmp2, m0
	s_waitcnt lgkmcnt(0)
	s_and_b32 s0, s0, 0x3ff
	s_delay_alu instid0(SALU_CYCLE_1) | instskip(NEXT) | instid1(SALU_CYCLE_1)
	s_bitset1_b32 s0, 10
	s_mov_b32 m0, s0
	s_sendmsg sendmsg(MSG_INTERRUPT)
	s_mov_b32 m0, ttmp2
.LBB4_3884:                             ; =>This Inner Loop Header: Depth=1
	s_sethalt 5
	s_branch .LBB4_3884
.LBB4_3885:
	s_trap 2
	s_sendmsg_rtn_b32 s0, sendmsg(MSG_RTN_GET_DOORBELL)
	s_mov_b32 ttmp2, m0
	s_waitcnt lgkmcnt(0)
	s_and_b32 s0, s0, 0x3ff
	s_delay_alu instid0(SALU_CYCLE_1) | instskip(NEXT) | instid1(SALU_CYCLE_1)
	s_bitset1_b32 s0, 10
	s_mov_b32 m0, s0
	s_sendmsg sendmsg(MSG_INTERRUPT)
	s_mov_b32 m0, ttmp2
.LBB4_3886:                             ; =>This Inner Loop Header: Depth=1
	s_sethalt 5
	s_branch .LBB4_3886
.LBB4_3887:
	s_trap 2
	s_sendmsg_rtn_b32 s0, sendmsg(MSG_RTN_GET_DOORBELL)
	s_mov_b32 ttmp2, m0
	s_waitcnt lgkmcnt(0)
	s_and_b32 s0, s0, 0x3ff
	s_delay_alu instid0(SALU_CYCLE_1) | instskip(NEXT) | instid1(SALU_CYCLE_1)
	s_bitset1_b32 s0, 10
	s_mov_b32 m0, s0
	s_sendmsg sendmsg(MSG_INTERRUPT)
	s_mov_b32 m0, ttmp2
.LBB4_3888:                             ; =>This Inner Loop Header: Depth=1
	s_sethalt 5
	s_branch .LBB4_3888
.LBB4_3889:
	s_trap 2
	s_sendmsg_rtn_b32 s0, sendmsg(MSG_RTN_GET_DOORBELL)
	s_mov_b32 ttmp2, m0
	s_waitcnt lgkmcnt(0)
	s_and_b32 s0, s0, 0x3ff
	s_delay_alu instid0(SALU_CYCLE_1) | instskip(NEXT) | instid1(SALU_CYCLE_1)
	s_bitset1_b32 s0, 10
	s_mov_b32 m0, s0
	s_sendmsg sendmsg(MSG_INTERRUPT)
	s_mov_b32 m0, ttmp2
.LBB4_3890:                             ; =>This Inner Loop Header: Depth=1
	s_sethalt 5
	s_branch .LBB4_3890
.LBB4_3891:
	s_trap 2
	s_sendmsg_rtn_b32 s0, sendmsg(MSG_RTN_GET_DOORBELL)
	s_mov_b32 ttmp2, m0
	s_waitcnt lgkmcnt(0)
	s_and_b32 s0, s0, 0x3ff
	s_delay_alu instid0(SALU_CYCLE_1) | instskip(NEXT) | instid1(SALU_CYCLE_1)
	s_bitset1_b32 s0, 10
	s_mov_b32 m0, s0
	s_sendmsg sendmsg(MSG_INTERRUPT)
	s_mov_b32 m0, ttmp2
.LBB4_3892:                             ; =>This Inner Loop Header: Depth=1
	s_sethalt 5
	s_branch .LBB4_3892
.LBB4_3893:
	s_trap 2
	s_sendmsg_rtn_b32 s0, sendmsg(MSG_RTN_GET_DOORBELL)
	s_mov_b32 ttmp2, m0
	s_waitcnt lgkmcnt(0)
	s_and_b32 s0, s0, 0x3ff
	s_delay_alu instid0(SALU_CYCLE_1) | instskip(NEXT) | instid1(SALU_CYCLE_1)
	s_bitset1_b32 s0, 10
	s_mov_b32 m0, s0
	s_sendmsg sendmsg(MSG_INTERRUPT)
	s_mov_b32 m0, ttmp2
.LBB4_3894:                             ; =>This Inner Loop Header: Depth=1
	s_sethalt 5
	s_branch .LBB4_3894
.LBB4_3895:
	s_trap 2
	s_sendmsg_rtn_b32 s0, sendmsg(MSG_RTN_GET_DOORBELL)
	s_mov_b32 ttmp2, m0
	s_waitcnt lgkmcnt(0)
	s_and_b32 s0, s0, 0x3ff
	s_delay_alu instid0(SALU_CYCLE_1) | instskip(NEXT) | instid1(SALU_CYCLE_1)
	s_bitset1_b32 s0, 10
	s_mov_b32 m0, s0
	s_sendmsg sendmsg(MSG_INTERRUPT)
	s_mov_b32 m0, ttmp2
.LBB4_3896:                             ; =>This Inner Loop Header: Depth=1
	s_sethalt 5
	s_branch .LBB4_3896
.LBB4_3897:
	s_trap 2
	s_sendmsg_rtn_b32 s0, sendmsg(MSG_RTN_GET_DOORBELL)
	s_mov_b32 ttmp2, m0
	s_waitcnt lgkmcnt(0)
	s_and_b32 s0, s0, 0x3ff
	s_delay_alu instid0(SALU_CYCLE_1) | instskip(NEXT) | instid1(SALU_CYCLE_1)
	s_bitset1_b32 s0, 10
	s_mov_b32 m0, s0
	s_sendmsg sendmsg(MSG_INTERRUPT)
	s_mov_b32 m0, ttmp2
.LBB4_3898:                             ; =>This Inner Loop Header: Depth=1
	s_sethalt 5
	s_branch .LBB4_3898
.LBB4_3899:
	s_trap 2
	s_sendmsg_rtn_b32 s0, sendmsg(MSG_RTN_GET_DOORBELL)
	s_mov_b32 ttmp2, m0
	s_waitcnt lgkmcnt(0)
	s_and_b32 s0, s0, 0x3ff
	s_delay_alu instid0(SALU_CYCLE_1) | instskip(NEXT) | instid1(SALU_CYCLE_1)
	s_bitset1_b32 s0, 10
	s_mov_b32 m0, s0
	s_sendmsg sendmsg(MSG_INTERRUPT)
	s_mov_b32 m0, ttmp2
.LBB4_3900:                             ; =>This Inner Loop Header: Depth=1
	s_sethalt 5
	s_branch .LBB4_3900
.LBB4_3901:
	s_trap 2
	s_sendmsg_rtn_b32 s0, sendmsg(MSG_RTN_GET_DOORBELL)
	s_mov_b32 ttmp2, m0
	s_waitcnt lgkmcnt(0)
	s_and_b32 s0, s0, 0x3ff
	s_delay_alu instid0(SALU_CYCLE_1) | instskip(NEXT) | instid1(SALU_CYCLE_1)
	s_bitset1_b32 s0, 10
	s_mov_b32 m0, s0
	s_sendmsg sendmsg(MSG_INTERRUPT)
	s_mov_b32 m0, ttmp2
.LBB4_3902:                             ; =>This Inner Loop Header: Depth=1
	s_sethalt 5
	s_branch .LBB4_3902
.LBB4_3903:
	s_trap 2
	s_sendmsg_rtn_b32 s0, sendmsg(MSG_RTN_GET_DOORBELL)
	s_mov_b32 ttmp2, m0
	s_waitcnt lgkmcnt(0)
	s_and_b32 s0, s0, 0x3ff
	s_delay_alu instid0(SALU_CYCLE_1) | instskip(NEXT) | instid1(SALU_CYCLE_1)
	s_bitset1_b32 s0, 10
	s_mov_b32 m0, s0
	s_sendmsg sendmsg(MSG_INTERRUPT)
	s_mov_b32 m0, ttmp2
.LBB4_3904:                             ; =>This Inner Loop Header: Depth=1
	s_sethalt 5
	s_branch .LBB4_3904
.LBB4_3905:
	s_trap 2
	s_sendmsg_rtn_b32 s0, sendmsg(MSG_RTN_GET_DOORBELL)
	s_mov_b32 ttmp2, m0
	s_waitcnt lgkmcnt(0)
	s_and_b32 s0, s0, 0x3ff
	s_delay_alu instid0(SALU_CYCLE_1) | instskip(NEXT) | instid1(SALU_CYCLE_1)
	s_bitset1_b32 s0, 10
	s_mov_b32 m0, s0
	s_sendmsg sendmsg(MSG_INTERRUPT)
	s_mov_b32 m0, ttmp2
.LBB4_3906:                             ; =>This Inner Loop Header: Depth=1
	s_sethalt 5
	s_branch .LBB4_3906
.LBB4_3907:
	s_trap 2
	s_sendmsg_rtn_b32 s0, sendmsg(MSG_RTN_GET_DOORBELL)
	s_mov_b32 ttmp2, m0
	s_waitcnt lgkmcnt(0)
	s_and_b32 s0, s0, 0x3ff
	s_delay_alu instid0(SALU_CYCLE_1) | instskip(NEXT) | instid1(SALU_CYCLE_1)
	s_bitset1_b32 s0, 10
	s_mov_b32 m0, s0
	s_sendmsg sendmsg(MSG_INTERRUPT)
	s_mov_b32 m0, ttmp2
.LBB4_3908:                             ; =>This Inner Loop Header: Depth=1
	s_sethalt 5
	s_branch .LBB4_3908
.LBB4_3909:
	s_trap 2
	s_sendmsg_rtn_b32 s0, sendmsg(MSG_RTN_GET_DOORBELL)
	s_mov_b32 ttmp2, m0
	s_waitcnt lgkmcnt(0)
	s_and_b32 s0, s0, 0x3ff
	s_delay_alu instid0(SALU_CYCLE_1) | instskip(NEXT) | instid1(SALU_CYCLE_1)
	s_bitset1_b32 s0, 10
	s_mov_b32 m0, s0
	s_sendmsg sendmsg(MSG_INTERRUPT)
	s_mov_b32 m0, ttmp2
.LBB4_3910:                             ; =>This Inner Loop Header: Depth=1
	s_sethalt 5
	s_branch .LBB4_3910
.LBB4_3911:
	s_trap 2
	s_sendmsg_rtn_b32 s0, sendmsg(MSG_RTN_GET_DOORBELL)
	s_mov_b32 ttmp2, m0
	s_waitcnt lgkmcnt(0)
	s_and_b32 s0, s0, 0x3ff
	s_delay_alu instid0(SALU_CYCLE_1) | instskip(NEXT) | instid1(SALU_CYCLE_1)
	s_bitset1_b32 s0, 10
	s_mov_b32 m0, s0
	s_sendmsg sendmsg(MSG_INTERRUPT)
	s_mov_b32 m0, ttmp2
.LBB4_3912:                             ; =>This Inner Loop Header: Depth=1
	s_sethalt 5
	s_branch .LBB4_3912
.LBB4_3913:
	s_trap 2
	s_sendmsg_rtn_b32 s0, sendmsg(MSG_RTN_GET_DOORBELL)
	s_mov_b32 ttmp2, m0
	s_waitcnt lgkmcnt(0)
	s_and_b32 s0, s0, 0x3ff
	s_delay_alu instid0(SALU_CYCLE_1) | instskip(NEXT) | instid1(SALU_CYCLE_1)
	s_bitset1_b32 s0, 10
	s_mov_b32 m0, s0
	s_sendmsg sendmsg(MSG_INTERRUPT)
	s_mov_b32 m0, ttmp2
.LBB4_3914:                             ; =>This Inner Loop Header: Depth=1
	s_sethalt 5
	s_branch .LBB4_3914
.LBB4_3915:
	s_trap 2
	s_sendmsg_rtn_b32 s0, sendmsg(MSG_RTN_GET_DOORBELL)
	s_mov_b32 ttmp2, m0
	s_waitcnt lgkmcnt(0)
	s_and_b32 s0, s0, 0x3ff
	s_delay_alu instid0(SALU_CYCLE_1) | instskip(NEXT) | instid1(SALU_CYCLE_1)
	s_bitset1_b32 s0, 10
	s_mov_b32 m0, s0
	s_sendmsg sendmsg(MSG_INTERRUPT)
	s_mov_b32 m0, ttmp2
.LBB4_3916:                             ; =>This Inner Loop Header: Depth=1
	s_sethalt 5
	s_branch .LBB4_3916
.LBB4_3917:
	s_trap 2
	s_sendmsg_rtn_b32 s0, sendmsg(MSG_RTN_GET_DOORBELL)
	s_mov_b32 ttmp2, m0
	s_waitcnt lgkmcnt(0)
	s_and_b32 s0, s0, 0x3ff
	s_delay_alu instid0(SALU_CYCLE_1) | instskip(NEXT) | instid1(SALU_CYCLE_1)
	s_bitset1_b32 s0, 10
	s_mov_b32 m0, s0
	s_sendmsg sendmsg(MSG_INTERRUPT)
	s_mov_b32 m0, ttmp2
.LBB4_3918:                             ; =>This Inner Loop Header: Depth=1
	s_sethalt 5
	s_branch .LBB4_3918
.LBB4_3919:
	s_trap 2
	s_sendmsg_rtn_b32 s0, sendmsg(MSG_RTN_GET_DOORBELL)
	s_mov_b32 ttmp2, m0
	s_waitcnt lgkmcnt(0)
	s_and_b32 s0, s0, 0x3ff
	s_delay_alu instid0(SALU_CYCLE_1) | instskip(NEXT) | instid1(SALU_CYCLE_1)
	s_bitset1_b32 s0, 10
	s_mov_b32 m0, s0
	s_sendmsg sendmsg(MSG_INTERRUPT)
	s_mov_b32 m0, ttmp2
.LBB4_3920:                             ; =>This Inner Loop Header: Depth=1
	s_sethalt 5
	s_branch .LBB4_3920
.LBB4_3921:
	s_trap 2
	s_sendmsg_rtn_b32 s0, sendmsg(MSG_RTN_GET_DOORBELL)
	s_mov_b32 ttmp2, m0
	s_waitcnt lgkmcnt(0)
	s_and_b32 s0, s0, 0x3ff
	s_delay_alu instid0(SALU_CYCLE_1) | instskip(NEXT) | instid1(SALU_CYCLE_1)
	s_bitset1_b32 s0, 10
	s_mov_b32 m0, s0
	s_sendmsg sendmsg(MSG_INTERRUPT)
	s_mov_b32 m0, ttmp2
.LBB4_3922:                             ; =>This Inner Loop Header: Depth=1
	s_sethalt 5
	s_branch .LBB4_3922
.LBB4_3923:
	s_trap 2
	s_sendmsg_rtn_b32 s0, sendmsg(MSG_RTN_GET_DOORBELL)
	s_mov_b32 ttmp2, m0
	s_waitcnt lgkmcnt(0)
	s_and_b32 s0, s0, 0x3ff
	s_delay_alu instid0(SALU_CYCLE_1) | instskip(NEXT) | instid1(SALU_CYCLE_1)
	s_bitset1_b32 s0, 10
	s_mov_b32 m0, s0
	s_sendmsg sendmsg(MSG_INTERRUPT)
	s_mov_b32 m0, ttmp2
.LBB4_3924:                             ; =>This Inner Loop Header: Depth=1
	s_sethalt 5
	s_branch .LBB4_3924
.LBB4_3925:
	s_trap 2
	s_sendmsg_rtn_b32 s0, sendmsg(MSG_RTN_GET_DOORBELL)
	s_mov_b32 ttmp2, m0
	s_waitcnt lgkmcnt(0)
	s_and_b32 s0, s0, 0x3ff
	s_delay_alu instid0(SALU_CYCLE_1) | instskip(NEXT) | instid1(SALU_CYCLE_1)
	s_bitset1_b32 s0, 10
	s_mov_b32 m0, s0
	s_sendmsg sendmsg(MSG_INTERRUPT)
	s_mov_b32 m0, ttmp2
.LBB4_3926:                             ; =>This Inner Loop Header: Depth=1
	s_sethalt 5
	s_branch .LBB4_3926
.LBB4_3927:
	s_trap 2
	s_sendmsg_rtn_b32 s0, sendmsg(MSG_RTN_GET_DOORBELL)
	s_mov_b32 ttmp2, m0
	s_waitcnt lgkmcnt(0)
	s_and_b32 s0, s0, 0x3ff
	s_delay_alu instid0(SALU_CYCLE_1) | instskip(NEXT) | instid1(SALU_CYCLE_1)
	s_bitset1_b32 s0, 10
	s_mov_b32 m0, s0
	s_sendmsg sendmsg(MSG_INTERRUPT)
	s_mov_b32 m0, ttmp2
.LBB4_3928:                             ; =>This Inner Loop Header: Depth=1
	s_sethalt 5
	s_branch .LBB4_3928
.LBB4_3929:
	s_trap 2
	s_sendmsg_rtn_b32 s0, sendmsg(MSG_RTN_GET_DOORBELL)
	s_mov_b32 ttmp2, m0
	s_waitcnt lgkmcnt(0)
	s_and_b32 s0, s0, 0x3ff
	s_delay_alu instid0(SALU_CYCLE_1) | instskip(NEXT) | instid1(SALU_CYCLE_1)
	s_bitset1_b32 s0, 10
	s_mov_b32 m0, s0
	s_sendmsg sendmsg(MSG_INTERRUPT)
	s_mov_b32 m0, ttmp2
.LBB4_3930:                             ; =>This Inner Loop Header: Depth=1
	s_sethalt 5
	s_branch .LBB4_3930
.LBB4_3931:
	s_trap 2
	s_sendmsg_rtn_b32 s0, sendmsg(MSG_RTN_GET_DOORBELL)
	s_mov_b32 ttmp2, m0
	s_waitcnt lgkmcnt(0)
	s_and_b32 s0, s0, 0x3ff
	s_delay_alu instid0(SALU_CYCLE_1) | instskip(NEXT) | instid1(SALU_CYCLE_1)
	s_bitset1_b32 s0, 10
	s_mov_b32 m0, s0
	s_sendmsg sendmsg(MSG_INTERRUPT)
	s_mov_b32 m0, ttmp2
.LBB4_3932:                             ; =>This Inner Loop Header: Depth=1
	s_sethalt 5
	s_branch .LBB4_3932
.LBB4_3933:
	s_trap 2
	s_sendmsg_rtn_b32 s0, sendmsg(MSG_RTN_GET_DOORBELL)
	s_mov_b32 ttmp2, m0
	s_waitcnt lgkmcnt(0)
	s_and_b32 s0, s0, 0x3ff
	s_delay_alu instid0(SALU_CYCLE_1) | instskip(NEXT) | instid1(SALU_CYCLE_1)
	s_bitset1_b32 s0, 10
	s_mov_b32 m0, s0
	s_sendmsg sendmsg(MSG_INTERRUPT)
	s_mov_b32 m0, ttmp2
.LBB4_3934:                             ; =>This Inner Loop Header: Depth=1
	s_sethalt 5
	s_branch .LBB4_3934
.LBB4_3935:
	s_trap 2
	s_sendmsg_rtn_b32 s0, sendmsg(MSG_RTN_GET_DOORBELL)
	s_mov_b32 ttmp2, m0
	s_waitcnt lgkmcnt(0)
	s_and_b32 s0, s0, 0x3ff
	s_delay_alu instid0(SALU_CYCLE_1) | instskip(NEXT) | instid1(SALU_CYCLE_1)
	s_bitset1_b32 s0, 10
	s_mov_b32 m0, s0
	s_sendmsg sendmsg(MSG_INTERRUPT)
	s_mov_b32 m0, ttmp2
.LBB4_3936:                             ; =>This Inner Loop Header: Depth=1
	s_sethalt 5
	s_branch .LBB4_3936
.LBB4_3937:
	s_trap 2
	s_sendmsg_rtn_b32 s0, sendmsg(MSG_RTN_GET_DOORBELL)
	s_mov_b32 ttmp2, m0
	s_waitcnt lgkmcnt(0)
	s_and_b32 s0, s0, 0x3ff
	s_delay_alu instid0(SALU_CYCLE_1) | instskip(NEXT) | instid1(SALU_CYCLE_1)
	s_bitset1_b32 s0, 10
	s_mov_b32 m0, s0
	s_sendmsg sendmsg(MSG_INTERRUPT)
	s_mov_b32 m0, ttmp2
.LBB4_3938:                             ; =>This Inner Loop Header: Depth=1
	s_sethalt 5
	s_branch .LBB4_3938
.LBB4_3939:
	s_trap 2
	s_sendmsg_rtn_b32 s0, sendmsg(MSG_RTN_GET_DOORBELL)
	s_mov_b32 ttmp2, m0
	s_waitcnt lgkmcnt(0)
	s_and_b32 s0, s0, 0x3ff
	s_delay_alu instid0(SALU_CYCLE_1) | instskip(NEXT) | instid1(SALU_CYCLE_1)
	s_bitset1_b32 s0, 10
	s_mov_b32 m0, s0
	s_sendmsg sendmsg(MSG_INTERRUPT)
	s_mov_b32 m0, ttmp2
.LBB4_3940:                             ; =>This Inner Loop Header: Depth=1
	s_sethalt 5
	s_branch .LBB4_3940
.LBB4_3941:
	s_trap 2
	s_sendmsg_rtn_b32 s0, sendmsg(MSG_RTN_GET_DOORBELL)
	s_mov_b32 ttmp2, m0
	s_waitcnt lgkmcnt(0)
	s_and_b32 s0, s0, 0x3ff
	s_delay_alu instid0(SALU_CYCLE_1) | instskip(NEXT) | instid1(SALU_CYCLE_1)
	s_bitset1_b32 s0, 10
	s_mov_b32 m0, s0
	s_sendmsg sendmsg(MSG_INTERRUPT)
	s_mov_b32 m0, ttmp2
.LBB4_3942:                             ; =>This Inner Loop Header: Depth=1
	s_sethalt 5
	s_branch .LBB4_3942
.LBB4_3943:
	s_trap 2
	s_sendmsg_rtn_b32 s0, sendmsg(MSG_RTN_GET_DOORBELL)
	s_mov_b32 ttmp2, m0
	s_waitcnt lgkmcnt(0)
	s_and_b32 s0, s0, 0x3ff
	s_delay_alu instid0(SALU_CYCLE_1) | instskip(NEXT) | instid1(SALU_CYCLE_1)
	s_bitset1_b32 s0, 10
	s_mov_b32 m0, s0
	s_sendmsg sendmsg(MSG_INTERRUPT)
	s_mov_b32 m0, ttmp2
.LBB4_3944:                             ; =>This Inner Loop Header: Depth=1
	s_sethalt 5
	s_branch .LBB4_3944
.LBB4_3945:
	s_trap 2
	s_sendmsg_rtn_b32 s0, sendmsg(MSG_RTN_GET_DOORBELL)
	s_mov_b32 ttmp2, m0
	s_waitcnt lgkmcnt(0)
	s_and_b32 s0, s0, 0x3ff
	s_delay_alu instid0(SALU_CYCLE_1) | instskip(NEXT) | instid1(SALU_CYCLE_1)
	s_bitset1_b32 s0, 10
	s_mov_b32 m0, s0
	s_sendmsg sendmsg(MSG_INTERRUPT)
	s_mov_b32 m0, ttmp2
.LBB4_3946:                             ; =>This Inner Loop Header: Depth=1
	s_sethalt 5
	s_branch .LBB4_3946
.LBB4_3947:
	s_trap 2
	s_sendmsg_rtn_b32 s0, sendmsg(MSG_RTN_GET_DOORBELL)
	s_mov_b32 ttmp2, m0
	s_waitcnt lgkmcnt(0)
	s_and_b32 s0, s0, 0x3ff
	s_delay_alu instid0(SALU_CYCLE_1) | instskip(NEXT) | instid1(SALU_CYCLE_1)
	s_bitset1_b32 s0, 10
	s_mov_b32 m0, s0
	s_sendmsg sendmsg(MSG_INTERRUPT)
	s_mov_b32 m0, ttmp2
.LBB4_3948:                             ; =>This Inner Loop Header: Depth=1
	s_sethalt 5
	s_branch .LBB4_3948
.LBB4_3949:
	s_trap 2
	s_sendmsg_rtn_b32 s0, sendmsg(MSG_RTN_GET_DOORBELL)
	s_mov_b32 ttmp2, m0
	s_waitcnt lgkmcnt(0)
	s_and_b32 s0, s0, 0x3ff
	s_delay_alu instid0(SALU_CYCLE_1) | instskip(NEXT) | instid1(SALU_CYCLE_1)
	s_bitset1_b32 s0, 10
	s_mov_b32 m0, s0
	s_sendmsg sendmsg(MSG_INTERRUPT)
	s_mov_b32 m0, ttmp2
.LBB4_3950:                             ; =>This Inner Loop Header: Depth=1
	s_sethalt 5
	s_branch .LBB4_3950
.LBB4_3951:
	s_trap 2
	s_sendmsg_rtn_b32 s0, sendmsg(MSG_RTN_GET_DOORBELL)
	s_mov_b32 ttmp2, m0
	s_waitcnt lgkmcnt(0)
	s_and_b32 s0, s0, 0x3ff
	s_delay_alu instid0(SALU_CYCLE_1) | instskip(NEXT) | instid1(SALU_CYCLE_1)
	s_bitset1_b32 s0, 10
	s_mov_b32 m0, s0
	s_sendmsg sendmsg(MSG_INTERRUPT)
	s_mov_b32 m0, ttmp2
.LBB4_3952:                             ; =>This Inner Loop Header: Depth=1
	s_sethalt 5
	s_branch .LBB4_3952
.LBB4_3953:
	s_trap 2
	s_sendmsg_rtn_b32 s0, sendmsg(MSG_RTN_GET_DOORBELL)
	s_mov_b32 ttmp2, m0
	s_waitcnt lgkmcnt(0)
	s_and_b32 s0, s0, 0x3ff
	s_delay_alu instid0(SALU_CYCLE_1) | instskip(NEXT) | instid1(SALU_CYCLE_1)
	s_bitset1_b32 s0, 10
	s_mov_b32 m0, s0
	s_sendmsg sendmsg(MSG_INTERRUPT)
	s_mov_b32 m0, ttmp2
.LBB4_3954:                             ; =>This Inner Loop Header: Depth=1
	s_sethalt 5
	s_branch .LBB4_3954
.LBB4_3955:
	s_trap 2
	s_sendmsg_rtn_b32 s0, sendmsg(MSG_RTN_GET_DOORBELL)
	s_mov_b32 ttmp2, m0
	s_waitcnt lgkmcnt(0)
	s_and_b32 s0, s0, 0x3ff
	s_delay_alu instid0(SALU_CYCLE_1) | instskip(NEXT) | instid1(SALU_CYCLE_1)
	s_bitset1_b32 s0, 10
	s_mov_b32 m0, s0
	s_sendmsg sendmsg(MSG_INTERRUPT)
	s_mov_b32 m0, ttmp2
.LBB4_3956:                             ; =>This Inner Loop Header: Depth=1
	s_sethalt 5
	s_branch .LBB4_3956
.LBB4_3957:
	s_trap 2
	s_sendmsg_rtn_b32 s0, sendmsg(MSG_RTN_GET_DOORBELL)
	s_mov_b32 ttmp2, m0
	s_waitcnt lgkmcnt(0)
	s_and_b32 s0, s0, 0x3ff
	s_delay_alu instid0(SALU_CYCLE_1) | instskip(NEXT) | instid1(SALU_CYCLE_1)
	s_bitset1_b32 s0, 10
	s_mov_b32 m0, s0
	s_sendmsg sendmsg(MSG_INTERRUPT)
	s_mov_b32 m0, ttmp2
.LBB4_3958:                             ; =>This Inner Loop Header: Depth=1
	s_sethalt 5
	s_branch .LBB4_3958
.LBB4_3959:
	s_trap 2
	s_sendmsg_rtn_b32 s0, sendmsg(MSG_RTN_GET_DOORBELL)
	s_mov_b32 ttmp2, m0
	s_waitcnt lgkmcnt(0)
	s_and_b32 s0, s0, 0x3ff
	s_delay_alu instid0(SALU_CYCLE_1) | instskip(NEXT) | instid1(SALU_CYCLE_1)
	s_bitset1_b32 s0, 10
	s_mov_b32 m0, s0
	s_sendmsg sendmsg(MSG_INTERRUPT)
	s_mov_b32 m0, ttmp2
.LBB4_3960:                             ; =>This Inner Loop Header: Depth=1
	s_sethalt 5
	s_branch .LBB4_3960
.LBB4_3961:
	s_trap 2
	s_sendmsg_rtn_b32 s0, sendmsg(MSG_RTN_GET_DOORBELL)
	s_mov_b32 ttmp2, m0
	s_waitcnt lgkmcnt(0)
	s_and_b32 s0, s0, 0x3ff
	s_delay_alu instid0(SALU_CYCLE_1) | instskip(NEXT) | instid1(SALU_CYCLE_1)
	s_bitset1_b32 s0, 10
	s_mov_b32 m0, s0
	s_sendmsg sendmsg(MSG_INTERRUPT)
	s_mov_b32 m0, ttmp2
.LBB4_3962:                             ; =>This Inner Loop Header: Depth=1
	s_sethalt 5
	s_branch .LBB4_3962
.LBB4_3963:
	s_trap 2
	s_sendmsg_rtn_b32 s0, sendmsg(MSG_RTN_GET_DOORBELL)
	s_mov_b32 ttmp2, m0
	s_waitcnt lgkmcnt(0)
	s_and_b32 s0, s0, 0x3ff
	s_delay_alu instid0(SALU_CYCLE_1) | instskip(NEXT) | instid1(SALU_CYCLE_1)
	s_bitset1_b32 s0, 10
	s_mov_b32 m0, s0
	s_sendmsg sendmsg(MSG_INTERRUPT)
	s_mov_b32 m0, ttmp2
.LBB4_3964:                             ; =>This Inner Loop Header: Depth=1
	s_sethalt 5
	s_branch .LBB4_3964
.LBB4_3965:
	s_trap 2
	s_sendmsg_rtn_b32 s0, sendmsg(MSG_RTN_GET_DOORBELL)
	s_mov_b32 ttmp2, m0
	s_waitcnt lgkmcnt(0)
	s_and_b32 s0, s0, 0x3ff
	s_delay_alu instid0(SALU_CYCLE_1) | instskip(NEXT) | instid1(SALU_CYCLE_1)
	s_bitset1_b32 s0, 10
	s_mov_b32 m0, s0
	s_sendmsg sendmsg(MSG_INTERRUPT)
	s_mov_b32 m0, ttmp2
.LBB4_3966:                             ; =>This Inner Loop Header: Depth=1
	s_sethalt 5
	s_branch .LBB4_3966
.LBB4_3967:
	s_trap 2
	s_sendmsg_rtn_b32 s0, sendmsg(MSG_RTN_GET_DOORBELL)
	s_mov_b32 ttmp2, m0
	s_waitcnt lgkmcnt(0)
	s_and_b32 s0, s0, 0x3ff
	s_delay_alu instid0(SALU_CYCLE_1) | instskip(NEXT) | instid1(SALU_CYCLE_1)
	s_bitset1_b32 s0, 10
	s_mov_b32 m0, s0
	s_sendmsg sendmsg(MSG_INTERRUPT)
	s_mov_b32 m0, ttmp2
.LBB4_3968:                             ; =>This Inner Loop Header: Depth=1
	s_sethalt 5
	s_branch .LBB4_3968
.LBB4_3969:
	s_trap 2
	s_sendmsg_rtn_b32 s0, sendmsg(MSG_RTN_GET_DOORBELL)
	s_mov_b32 ttmp2, m0
	s_waitcnt lgkmcnt(0)
	s_and_b32 s0, s0, 0x3ff
	s_delay_alu instid0(SALU_CYCLE_1) | instskip(NEXT) | instid1(SALU_CYCLE_1)
	s_bitset1_b32 s0, 10
	s_mov_b32 m0, s0
	s_sendmsg sendmsg(MSG_INTERRUPT)
	s_mov_b32 m0, ttmp2
.LBB4_3970:                             ; =>This Inner Loop Header: Depth=1
	s_sethalt 5
	s_branch .LBB4_3970
.LBB4_3971:
	s_trap 2
	s_sendmsg_rtn_b32 s0, sendmsg(MSG_RTN_GET_DOORBELL)
	s_mov_b32 ttmp2, m0
	s_waitcnt lgkmcnt(0)
	s_and_b32 s0, s0, 0x3ff
	s_delay_alu instid0(SALU_CYCLE_1) | instskip(NEXT) | instid1(SALU_CYCLE_1)
	s_bitset1_b32 s0, 10
	s_mov_b32 m0, s0
	s_sendmsg sendmsg(MSG_INTERRUPT)
	s_mov_b32 m0, ttmp2
.LBB4_3972:                             ; =>This Inner Loop Header: Depth=1
	s_sethalt 5
	s_branch .LBB4_3972
.LBB4_3973:
	s_trap 2
	s_sendmsg_rtn_b32 s0, sendmsg(MSG_RTN_GET_DOORBELL)
	s_mov_b32 ttmp2, m0
	s_waitcnt lgkmcnt(0)
	s_and_b32 s0, s0, 0x3ff
	s_delay_alu instid0(SALU_CYCLE_1) | instskip(NEXT) | instid1(SALU_CYCLE_1)
	s_bitset1_b32 s0, 10
	s_mov_b32 m0, s0
	s_sendmsg sendmsg(MSG_INTERRUPT)
	s_mov_b32 m0, ttmp2
.LBB4_3974:                             ; =>This Inner Loop Header: Depth=1
	s_sethalt 5
	s_branch .LBB4_3974
.LBB4_3975:
	s_trap 2
	s_sendmsg_rtn_b32 s0, sendmsg(MSG_RTN_GET_DOORBELL)
	s_mov_b32 ttmp2, m0
	s_waitcnt lgkmcnt(0)
	s_and_b32 s0, s0, 0x3ff
	s_delay_alu instid0(SALU_CYCLE_1) | instskip(NEXT) | instid1(SALU_CYCLE_1)
	s_bitset1_b32 s0, 10
	s_mov_b32 m0, s0
	s_sendmsg sendmsg(MSG_INTERRUPT)
	s_mov_b32 m0, ttmp2
.LBB4_3976:                             ; =>This Inner Loop Header: Depth=1
	s_sethalt 5
	s_branch .LBB4_3976
.LBB4_3977:
	s_trap 2
	s_sendmsg_rtn_b32 s0, sendmsg(MSG_RTN_GET_DOORBELL)
	s_mov_b32 ttmp2, m0
	s_waitcnt lgkmcnt(0)
	s_and_b32 s0, s0, 0x3ff
	s_delay_alu instid0(SALU_CYCLE_1) | instskip(NEXT) | instid1(SALU_CYCLE_1)
	s_bitset1_b32 s0, 10
	s_mov_b32 m0, s0
	s_sendmsg sendmsg(MSG_INTERRUPT)
	s_mov_b32 m0, ttmp2
.LBB4_3978:                             ; =>This Inner Loop Header: Depth=1
	s_sethalt 5
	s_branch .LBB4_3978
.LBB4_3979:
	s_trap 2
	s_sendmsg_rtn_b32 s0, sendmsg(MSG_RTN_GET_DOORBELL)
	s_mov_b32 ttmp2, m0
	s_waitcnt lgkmcnt(0)
	s_and_b32 s0, s0, 0x3ff
	s_delay_alu instid0(SALU_CYCLE_1) | instskip(NEXT) | instid1(SALU_CYCLE_1)
	s_bitset1_b32 s0, 10
	s_mov_b32 m0, s0
	s_sendmsg sendmsg(MSG_INTERRUPT)
	s_mov_b32 m0, ttmp2
.LBB4_3980:                             ; =>This Inner Loop Header: Depth=1
	s_sethalt 5
	s_branch .LBB4_3980
.LBB4_3981:
	s_trap 2
	s_sendmsg_rtn_b32 s0, sendmsg(MSG_RTN_GET_DOORBELL)
	s_mov_b32 ttmp2, m0
	s_waitcnt lgkmcnt(0)
	s_and_b32 s0, s0, 0x3ff
	s_delay_alu instid0(SALU_CYCLE_1) | instskip(NEXT) | instid1(SALU_CYCLE_1)
	s_bitset1_b32 s0, 10
	s_mov_b32 m0, s0
	s_sendmsg sendmsg(MSG_INTERRUPT)
	s_mov_b32 m0, ttmp2
.LBB4_3982:                             ; =>This Inner Loop Header: Depth=1
	s_sethalt 5
	s_branch .LBB4_3982
.LBB4_3983:
	s_trap 2
	s_sendmsg_rtn_b32 s0, sendmsg(MSG_RTN_GET_DOORBELL)
	s_mov_b32 ttmp2, m0
	s_waitcnt lgkmcnt(0)
	s_and_b32 s0, s0, 0x3ff
	s_delay_alu instid0(SALU_CYCLE_1) | instskip(NEXT) | instid1(SALU_CYCLE_1)
	s_bitset1_b32 s0, 10
	s_mov_b32 m0, s0
	s_sendmsg sendmsg(MSG_INTERRUPT)
	s_mov_b32 m0, ttmp2
.LBB4_3984:                             ; =>This Inner Loop Header: Depth=1
	s_sethalt 5
	s_branch .LBB4_3984
.LBB4_3985:
	s_trap 2
	s_sendmsg_rtn_b32 s0, sendmsg(MSG_RTN_GET_DOORBELL)
	s_mov_b32 ttmp2, m0
	s_waitcnt lgkmcnt(0)
	s_and_b32 s0, s0, 0x3ff
	s_delay_alu instid0(SALU_CYCLE_1) | instskip(NEXT) | instid1(SALU_CYCLE_1)
	s_bitset1_b32 s0, 10
	s_mov_b32 m0, s0
	s_sendmsg sendmsg(MSG_INTERRUPT)
	s_mov_b32 m0, ttmp2
.LBB4_3986:                             ; =>This Inner Loop Header: Depth=1
	s_sethalt 5
	s_branch .LBB4_3986
.LBB4_3987:
	s_or_b32 exec_lo, exec_lo, s4
	s_and_saveexec_b32 s4, s5
	s_delay_alu instid0(SALU_CYCLE_1)
	s_xor_b32 s4, exec_lo, s4
	s_cbranch_execz .LBB4_3989
; %bb.3988:
	v_mov_b32_e32 v0, 1
	ds_store_b32 v0, v0
	s_cbranch_execnz .LBB4_4031
.LBB4_3989:
	s_or_b32 exec_lo, exec_lo, s3
	;;#ASMSTART
	s_wakeup
	;;#ASMEND
.LBB4_3990:
	s_or_b32 exec_lo, exec_lo, s2
.LBB4_3991:
	s_and_not1_saveexec_b32 s1, s1
	s_cbranch_execz .LBB4_3993
; %bb.3992:
	s_waitcnt lgkmcnt(0)
	s_waitcnt_vscnt null, 0x0
	buffer_gl1_inv
	buffer_gl0_inv
	s_barrier
.LBB4_3993:
	s_or_b32 exec_lo, exec_lo, s0
.LBB4_3994:
	s_and_not1_saveexec_b32 s21, s13
	s_cbranch_execz .LBB4_3996
; %bb.3995:
	s_getpc_b64 s[0:1]
	s_add_u32 s0, s0, __PRETTY_FUNCTION__._ZN10PrimitivesI12rccl_bfloat88FuncProdIS0_E12FanSymmetricILi1EELi0E11ProtoSimpleILi1ELi1ELi0ELi2ELi0ELi0EELi0ELb0ELi0ELi0ELi0EEC2EiiPKiS9_PKvPvmhhhP15ncclDevWorkCollP14ncclDevWorkP2pii@rel32@lo+4
	s_addc_u32 s1, s1, __PRETTY_FUNCTION__._ZN10PrimitivesI12rccl_bfloat88FuncProdIS0_E12FanSymmetricILi1EELi0E11ProtoSimpleILi1ELi1ELi0ELi2ELi0ELi0EELi0ELb0ELi0ELi0ELi0EEC2EiiPKiS9_PKvPvmhhhP15ncclDevWorkCollP14ncclDevWorkP2pii@rel32@hi+12
	s_delay_alu instid0(SALU_CYCLE_1) | instskip(SKIP_3) | instid1(SALU_CYCLE_1)
	v_dual_mov_b32 v0, s0 :: v_dual_mov_b32 v1, s1
	s_getpc_b64 s[2:3]
	s_add_u32 s2, s2, __assert_fail@rel32@lo+4
	s_addc_u32 s3, s3, __assert_fail@rel32@hi+12
	s_swappc_b64 s[30:31], s[2:3]
	; divergent unreachable
.LBB4_3996:
	s_or_b32 exec_lo, exec_lo, s21
	scratch_load_b32 v40, off, s33          ; 4-byte Folded Reload
	v_readlane_b32 s30, v41, 0
	v_readlane_b32 s31, v41, 1
	;; [unrolled: 1-line block ×3, first 2 shown]
	s_or_saveexec_b32 s1, -1
	scratch_load_b32 v41, off, s33 offset:4 ; 4-byte Folded Reload
	s_mov_b32 exec_lo, s1
	s_add_i32 s32, s32, -16
	s_mov_b32 s33, s0
	s_waitcnt vmcnt(0) lgkmcnt(0)
	s_setpc_b64 s[30:31]
.LBB4_3997:
	s_trap 2
	s_sendmsg_rtn_b32 s0, sendmsg(MSG_RTN_GET_DOORBELL)
	s_mov_b32 ttmp2, m0
	s_waitcnt lgkmcnt(0)
	s_and_b32 s0, s0, 0x3ff
	s_delay_alu instid0(SALU_CYCLE_1) | instskip(NEXT) | instid1(SALU_CYCLE_1)
	s_bitset1_b32 s0, 10
	s_mov_b32 m0, s0
	s_sendmsg sendmsg(MSG_INTERRUPT)
	s_mov_b32 m0, ttmp2
.LBB4_3998:                             ; =>This Inner Loop Header: Depth=1
	s_sethalt 5
	s_branch .LBB4_3998
.LBB4_3999:
	s_trap 2
	s_sendmsg_rtn_b32 s0, sendmsg(MSG_RTN_GET_DOORBELL)
	s_mov_b32 ttmp2, m0
	s_waitcnt lgkmcnt(0)
	s_and_b32 s0, s0, 0x3ff
	s_delay_alu instid0(SALU_CYCLE_1) | instskip(NEXT) | instid1(SALU_CYCLE_1)
	s_bitset1_b32 s0, 10
	s_mov_b32 m0, s0
	s_sendmsg sendmsg(MSG_INTERRUPT)
	s_mov_b32 m0, ttmp2
.LBB4_4000:                             ; =>This Inner Loop Header: Depth=1
	s_sethalt 5
	s_branch .LBB4_4000
.LBB4_4001:
	s_trap 2
	s_sendmsg_rtn_b32 s0, sendmsg(MSG_RTN_GET_DOORBELL)
	s_mov_b32 ttmp2, m0
	s_waitcnt lgkmcnt(0)
	s_and_b32 s0, s0, 0x3ff
	s_delay_alu instid0(SALU_CYCLE_1) | instskip(NEXT) | instid1(SALU_CYCLE_1)
	s_bitset1_b32 s0, 10
	s_mov_b32 m0, s0
	s_sendmsg sendmsg(MSG_INTERRUPT)
	s_mov_b32 m0, ttmp2
.LBB4_4002:                             ; =>This Inner Loop Header: Depth=1
	s_sethalt 5
	s_branch .LBB4_4002
.LBB4_4003:
	s_trap 2
	s_sendmsg_rtn_b32 s0, sendmsg(MSG_RTN_GET_DOORBELL)
	s_mov_b32 ttmp2, m0
	s_waitcnt lgkmcnt(0)
	s_and_b32 s0, s0, 0x3ff
	s_delay_alu instid0(SALU_CYCLE_1) | instskip(NEXT) | instid1(SALU_CYCLE_1)
	s_bitset1_b32 s0, 10
	s_mov_b32 m0, s0
	s_sendmsg sendmsg(MSG_INTERRUPT)
	s_mov_b32 m0, ttmp2
.LBB4_4004:                             ; =>This Inner Loop Header: Depth=1
	s_sethalt 5
	s_branch .LBB4_4004
.LBB4_4005:
	s_trap 2
	s_sendmsg_rtn_b32 s0, sendmsg(MSG_RTN_GET_DOORBELL)
	s_mov_b32 ttmp2, m0
	s_waitcnt lgkmcnt(0)
	s_and_b32 s0, s0, 0x3ff
	s_delay_alu instid0(SALU_CYCLE_1) | instskip(NEXT) | instid1(SALU_CYCLE_1)
	s_bitset1_b32 s0, 10
	s_mov_b32 m0, s0
	s_sendmsg sendmsg(MSG_INTERRUPT)
	s_mov_b32 m0, ttmp2
.LBB4_4006:                             ; =>This Inner Loop Header: Depth=1
	s_sethalt 5
	s_branch .LBB4_4006
.LBB4_4007:
	s_trap 2
	s_sendmsg_rtn_b32 s0, sendmsg(MSG_RTN_GET_DOORBELL)
	s_mov_b32 ttmp2, m0
	s_waitcnt lgkmcnt(0)
	s_and_b32 s0, s0, 0x3ff
	s_delay_alu instid0(SALU_CYCLE_1) | instskip(NEXT) | instid1(SALU_CYCLE_1)
	s_bitset1_b32 s0, 10
	s_mov_b32 m0, s0
	s_sendmsg sendmsg(MSG_INTERRUPT)
	s_mov_b32 m0, ttmp2
.LBB4_4008:                             ; =>This Inner Loop Header: Depth=1
	s_sethalt 5
	s_branch .LBB4_4008
.LBB4_4009:
	s_trap 2
	s_sendmsg_rtn_b32 s0, sendmsg(MSG_RTN_GET_DOORBELL)
	s_mov_b32 ttmp2, m0
	s_waitcnt lgkmcnt(0)
	s_and_b32 s0, s0, 0x3ff
	s_delay_alu instid0(SALU_CYCLE_1) | instskip(NEXT) | instid1(SALU_CYCLE_1)
	s_bitset1_b32 s0, 10
	s_mov_b32 m0, s0
	s_sendmsg sendmsg(MSG_INTERRUPT)
	s_mov_b32 m0, ttmp2
.LBB4_4010:                             ; =>This Inner Loop Header: Depth=1
	s_sethalt 5
	s_branch .LBB4_4010
.LBB4_4011:
	s_trap 2
	s_sendmsg_rtn_b32 s0, sendmsg(MSG_RTN_GET_DOORBELL)
	s_mov_b32 ttmp2, m0
	s_waitcnt lgkmcnt(0)
	s_and_b32 s0, s0, 0x3ff
	s_delay_alu instid0(SALU_CYCLE_1) | instskip(NEXT) | instid1(SALU_CYCLE_1)
	s_bitset1_b32 s0, 10
	s_mov_b32 m0, s0
	s_sendmsg sendmsg(MSG_INTERRUPT)
	s_mov_b32 m0, ttmp2
.LBB4_4012:                             ; =>This Inner Loop Header: Depth=1
	s_sethalt 5
	s_branch .LBB4_4012
.LBB4_4013:
	s_trap 2
	s_sendmsg_rtn_b32 s0, sendmsg(MSG_RTN_GET_DOORBELL)
	s_mov_b32 ttmp2, m0
	s_waitcnt lgkmcnt(0)
	s_and_b32 s0, s0, 0x3ff
	s_delay_alu instid0(SALU_CYCLE_1) | instskip(NEXT) | instid1(SALU_CYCLE_1)
	s_bitset1_b32 s0, 10
	s_mov_b32 m0, s0
	s_sendmsg sendmsg(MSG_INTERRUPT)
	s_mov_b32 m0, ttmp2
.LBB4_4014:                             ; =>This Inner Loop Header: Depth=1
	s_sethalt 5
	s_branch .LBB4_4014
.LBB4_4015:
	s_trap 2
	s_sendmsg_rtn_b32 s0, sendmsg(MSG_RTN_GET_DOORBELL)
	s_mov_b32 ttmp2, m0
	s_waitcnt lgkmcnt(0)
	s_and_b32 s0, s0, 0x3ff
	s_delay_alu instid0(SALU_CYCLE_1) | instskip(NEXT) | instid1(SALU_CYCLE_1)
	s_bitset1_b32 s0, 10
	s_mov_b32 m0, s0
	s_sendmsg sendmsg(MSG_INTERRUPT)
	s_mov_b32 m0, ttmp2
.LBB4_4016:                             ; =>This Inner Loop Header: Depth=1
	s_sethalt 5
	s_branch .LBB4_4016
.LBB4_4017:
	s_trap 2
	s_sendmsg_rtn_b32 s0, sendmsg(MSG_RTN_GET_DOORBELL)
	s_mov_b32 ttmp2, m0
	s_waitcnt lgkmcnt(0)
	s_and_b32 s0, s0, 0x3ff
	s_delay_alu instid0(SALU_CYCLE_1) | instskip(NEXT) | instid1(SALU_CYCLE_1)
	s_bitset1_b32 s0, 10
	s_mov_b32 m0, s0
	s_sendmsg sendmsg(MSG_INTERRUPT)
	s_mov_b32 m0, ttmp2
.LBB4_4018:                             ; =>This Inner Loop Header: Depth=1
	s_sethalt 5
	s_branch .LBB4_4018
.LBB4_4019:
	s_trap 2
	s_sendmsg_rtn_b32 s0, sendmsg(MSG_RTN_GET_DOORBELL)
	s_mov_b32 ttmp2, m0
	s_waitcnt lgkmcnt(0)
	s_and_b32 s0, s0, 0x3ff
	s_delay_alu instid0(SALU_CYCLE_1) | instskip(NEXT) | instid1(SALU_CYCLE_1)
	s_bitset1_b32 s0, 10
	s_mov_b32 m0, s0
	s_sendmsg sendmsg(MSG_INTERRUPT)
	s_mov_b32 m0, ttmp2
.LBB4_4020:                             ; =>This Inner Loop Header: Depth=1
	s_sethalt 5
	s_branch .LBB4_4020
.LBB4_4021:
	s_trap 2
	s_sendmsg_rtn_b32 s0, sendmsg(MSG_RTN_GET_DOORBELL)
	s_mov_b32 ttmp2, m0
	s_waitcnt lgkmcnt(0)
	s_and_b32 s0, s0, 0x3ff
	s_delay_alu instid0(SALU_CYCLE_1) | instskip(NEXT) | instid1(SALU_CYCLE_1)
	s_bitset1_b32 s0, 10
	s_mov_b32 m0, s0
	s_sendmsg sendmsg(MSG_INTERRUPT)
	s_mov_b32 m0, ttmp2
.LBB4_4022:                             ; =>This Inner Loop Header: Depth=1
	s_sethalt 5
	s_branch .LBB4_4022
.LBB4_4023:
	s_trap 2
	s_sendmsg_rtn_b32 s0, sendmsg(MSG_RTN_GET_DOORBELL)
	s_mov_b32 ttmp2, m0
	s_waitcnt lgkmcnt(0)
	s_and_b32 s0, s0, 0x3ff
	s_delay_alu instid0(SALU_CYCLE_1) | instskip(NEXT) | instid1(SALU_CYCLE_1)
	s_bitset1_b32 s0, 10
	s_mov_b32 m0, s0
	s_sendmsg sendmsg(MSG_INTERRUPT)
	s_mov_b32 m0, ttmp2
.LBB4_4024:                             ; =>This Inner Loop Header: Depth=1
	s_sethalt 5
	s_branch .LBB4_4024
.LBB4_4025:
	s_trap 2
	s_sendmsg_rtn_b32 s0, sendmsg(MSG_RTN_GET_DOORBELL)
	s_mov_b32 ttmp2, m0
	s_waitcnt lgkmcnt(0)
	s_and_b32 s0, s0, 0x3ff
	s_delay_alu instid0(SALU_CYCLE_1) | instskip(NEXT) | instid1(SALU_CYCLE_1)
	s_bitset1_b32 s0, 10
	s_mov_b32 m0, s0
	s_sendmsg sendmsg(MSG_INTERRUPT)
	s_mov_b32 m0, ttmp2
.LBB4_4026:                             ; =>This Inner Loop Header: Depth=1
	s_sethalt 5
	s_branch .LBB4_4026
.LBB4_4027:
	s_trap 2
	s_sendmsg_rtn_b32 s0, sendmsg(MSG_RTN_GET_DOORBELL)
	s_mov_b32 ttmp2, m0
	s_waitcnt lgkmcnt(0)
	s_and_b32 s0, s0, 0x3ff
	s_delay_alu instid0(SALU_CYCLE_1) | instskip(NEXT) | instid1(SALU_CYCLE_1)
	s_bitset1_b32 s0, 10
	s_mov_b32 m0, s0
	s_sendmsg sendmsg(MSG_INTERRUPT)
	s_mov_b32 m0, ttmp2
.LBB4_4028:                             ; =>This Inner Loop Header: Depth=1
	s_sethalt 5
	s_branch .LBB4_4028
.LBB4_4029:
	s_trap 2
	s_sendmsg_rtn_b32 s0, sendmsg(MSG_RTN_GET_DOORBELL)
	s_mov_b32 ttmp2, m0
	s_waitcnt lgkmcnt(0)
	s_and_b32 s0, s0, 0x3ff
	s_delay_alu instid0(SALU_CYCLE_1) | instskip(NEXT) | instid1(SALU_CYCLE_1)
	s_bitset1_b32 s0, 10
	s_mov_b32 m0, s0
	s_sendmsg sendmsg(MSG_INTERRUPT)
	s_mov_b32 m0, ttmp2
.LBB4_4030:                             ; =>This Inner Loop Header: Depth=1
	s_sethalt 5
	s_branch .LBB4_4030
.LBB4_4031:
	s_trap 2
	s_sendmsg_rtn_b32 s0, sendmsg(MSG_RTN_GET_DOORBELL)
	s_mov_b32 ttmp2, m0
	s_waitcnt lgkmcnt(0)
	s_and_b32 s0, s0, 0x3ff
	s_delay_alu instid0(SALU_CYCLE_1) | instskip(NEXT) | instid1(SALU_CYCLE_1)
	s_bitset1_b32 s0, 10
	s_mov_b32 m0, s0
	s_sendmsg sendmsg(MSG_INTERRUPT)
	s_mov_b32 m0, ttmp2
.LBB4_4032:                             ; =>This Inner Loop Header: Depth=1
	s_sethalt 5
	s_branch .LBB4_4032
.LBB4_4033:
	s_trap 2
	s_sendmsg_rtn_b32 s0, sendmsg(MSG_RTN_GET_DOORBELL)
	s_mov_b32 ttmp2, m0
	s_waitcnt lgkmcnt(0)
	s_and_b32 s0, s0, 0x3ff
	s_delay_alu instid0(SALU_CYCLE_1) | instskip(NEXT) | instid1(SALU_CYCLE_1)
	s_bitset1_b32 s0, 10
	s_mov_b32 m0, s0
	s_sendmsg sendmsg(MSG_INTERRUPT)
	s_mov_b32 m0, ttmp2
.LBB4_4034:                             ; =>This Inner Loop Header: Depth=1
	s_sethalt 5
	s_branch .LBB4_4034
.LBB4_4035:
	s_trap 2
	s_sendmsg_rtn_b32 s0, sendmsg(MSG_RTN_GET_DOORBELL)
	s_mov_b32 ttmp2, m0
	s_waitcnt lgkmcnt(0)
	s_and_b32 s0, s0, 0x3ff
	s_delay_alu instid0(SALU_CYCLE_1) | instskip(NEXT) | instid1(SALU_CYCLE_1)
	s_bitset1_b32 s0, 10
	s_mov_b32 m0, s0
	s_sendmsg sendmsg(MSG_INTERRUPT)
	s_mov_b32 m0, ttmp2
.LBB4_4036:                             ; =>This Inner Loop Header: Depth=1
	s_sethalt 5
	s_branch .LBB4_4036
.LBB4_4037:
	s_trap 2
	s_sendmsg_rtn_b32 s0, sendmsg(MSG_RTN_GET_DOORBELL)
	s_mov_b32 ttmp2, m0
	s_waitcnt lgkmcnt(0)
	s_and_b32 s0, s0, 0x3ff
	s_delay_alu instid0(SALU_CYCLE_1) | instskip(NEXT) | instid1(SALU_CYCLE_1)
	s_bitset1_b32 s0, 10
	s_mov_b32 m0, s0
	s_sendmsg sendmsg(MSG_INTERRUPT)
	s_mov_b32 m0, ttmp2
.LBB4_4038:                             ; =>This Inner Loop Header: Depth=1
	s_sethalt 5
	s_branch .LBB4_4038
.LBB4_4039:
	s_trap 2
	s_sendmsg_rtn_b32 s0, sendmsg(MSG_RTN_GET_DOORBELL)
	s_mov_b32 ttmp2, m0
	s_waitcnt lgkmcnt(0)
	s_and_b32 s0, s0, 0x3ff
	s_delay_alu instid0(SALU_CYCLE_1) | instskip(NEXT) | instid1(SALU_CYCLE_1)
	s_bitset1_b32 s0, 10
	s_mov_b32 m0, s0
	s_sendmsg sendmsg(MSG_INTERRUPT)
	s_mov_b32 m0, ttmp2
.LBB4_4040:                             ; =>This Inner Loop Header: Depth=1
	s_sethalt 5
	s_branch .LBB4_4040
.LBB4_4041:
	s_trap 2
	s_sendmsg_rtn_b32 s0, sendmsg(MSG_RTN_GET_DOORBELL)
	s_mov_b32 ttmp2, m0
	s_waitcnt lgkmcnt(0)
	s_and_b32 s0, s0, 0x3ff
	s_delay_alu instid0(SALU_CYCLE_1) | instskip(NEXT) | instid1(SALU_CYCLE_1)
	s_bitset1_b32 s0, 10
	s_mov_b32 m0, s0
	s_sendmsg sendmsg(MSG_INTERRUPT)
	s_mov_b32 m0, ttmp2
.LBB4_4042:                             ; =>This Inner Loop Header: Depth=1
	s_sethalt 5
	s_branch .LBB4_4042
.LBB4_4043:
	s_trap 2
	s_sendmsg_rtn_b32 s0, sendmsg(MSG_RTN_GET_DOORBELL)
	s_mov_b32 ttmp2, m0
	s_waitcnt lgkmcnt(0)
	s_and_b32 s0, s0, 0x3ff
	s_delay_alu instid0(SALU_CYCLE_1) | instskip(NEXT) | instid1(SALU_CYCLE_1)
	s_bitset1_b32 s0, 10
	s_mov_b32 m0, s0
	s_sendmsg sendmsg(MSG_INTERRUPT)
	s_mov_b32 m0, ttmp2
.LBB4_4044:                             ; =>This Inner Loop Header: Depth=1
	s_sethalt 5
	s_branch .LBB4_4044
.LBB4_4045:
	s_trap 2
	s_sendmsg_rtn_b32 s0, sendmsg(MSG_RTN_GET_DOORBELL)
	s_mov_b32 ttmp2, m0
	s_waitcnt lgkmcnt(0)
	s_and_b32 s0, s0, 0x3ff
	s_delay_alu instid0(SALU_CYCLE_1) | instskip(NEXT) | instid1(SALU_CYCLE_1)
	s_bitset1_b32 s0, 10
	s_mov_b32 m0, s0
	s_sendmsg sendmsg(MSG_INTERRUPT)
	s_mov_b32 m0, ttmp2
.LBB4_4046:                             ; =>This Inner Loop Header: Depth=1
	s_sethalt 5
	s_branch .LBB4_4046
.LBB4_4047:
	s_trap 2
	s_sendmsg_rtn_b32 s0, sendmsg(MSG_RTN_GET_DOORBELL)
	s_mov_b32 ttmp2, m0
	s_waitcnt lgkmcnt(0)
	s_and_b32 s0, s0, 0x3ff
	s_delay_alu instid0(SALU_CYCLE_1) | instskip(NEXT) | instid1(SALU_CYCLE_1)
	s_bitset1_b32 s0, 10
	s_mov_b32 m0, s0
	s_sendmsg sendmsg(MSG_INTERRUPT)
	s_mov_b32 m0, ttmp2
.LBB4_4048:                             ; =>This Inner Loop Header: Depth=1
	s_sethalt 5
	s_branch .LBB4_4048
.LBB4_4049:
	s_trap 2
	s_sendmsg_rtn_b32 s0, sendmsg(MSG_RTN_GET_DOORBELL)
	s_mov_b32 ttmp2, m0
	s_waitcnt lgkmcnt(0)
	s_and_b32 s0, s0, 0x3ff
	s_delay_alu instid0(SALU_CYCLE_1) | instskip(NEXT) | instid1(SALU_CYCLE_1)
	s_bitset1_b32 s0, 10
	s_mov_b32 m0, s0
	s_sendmsg sendmsg(MSG_INTERRUPT)
	s_mov_b32 m0, ttmp2
.LBB4_4050:                             ; =>This Inner Loop Header: Depth=1
	s_sethalt 5
	s_branch .LBB4_4050
.LBB4_4051:
	s_trap 2
	s_sendmsg_rtn_b32 s0, sendmsg(MSG_RTN_GET_DOORBELL)
	s_mov_b32 ttmp2, m0
	s_waitcnt lgkmcnt(0)
	s_and_b32 s0, s0, 0x3ff
	s_delay_alu instid0(SALU_CYCLE_1) | instskip(NEXT) | instid1(SALU_CYCLE_1)
	s_bitset1_b32 s0, 10
	s_mov_b32 m0, s0
	s_sendmsg sendmsg(MSG_INTERRUPT)
	s_mov_b32 m0, ttmp2
.LBB4_4052:                             ; =>This Inner Loop Header: Depth=1
	s_sethalt 5
	s_branch .LBB4_4052
.LBB4_4053:
	s_trap 2
	s_sendmsg_rtn_b32 s0, sendmsg(MSG_RTN_GET_DOORBELL)
	s_mov_b32 ttmp2, m0
	s_waitcnt lgkmcnt(0)
	s_and_b32 s0, s0, 0x3ff
	s_delay_alu instid0(SALU_CYCLE_1) | instskip(NEXT) | instid1(SALU_CYCLE_1)
	s_bitset1_b32 s0, 10
	s_mov_b32 m0, s0
	s_sendmsg sendmsg(MSG_INTERRUPT)
	s_mov_b32 m0, ttmp2
.LBB4_4054:                             ; =>This Inner Loop Header: Depth=1
	s_sethalt 5
	s_branch .LBB4_4054
.LBB4_4055:
	s_trap 2
	s_sendmsg_rtn_b32 s0, sendmsg(MSG_RTN_GET_DOORBELL)
	s_mov_b32 ttmp2, m0
	s_waitcnt lgkmcnt(0)
	s_and_b32 s0, s0, 0x3ff
	s_delay_alu instid0(SALU_CYCLE_1) | instskip(NEXT) | instid1(SALU_CYCLE_1)
	s_bitset1_b32 s0, 10
	s_mov_b32 m0, s0
	s_sendmsg sendmsg(MSG_INTERRUPT)
	s_mov_b32 m0, ttmp2
.LBB4_4056:                             ; =>This Inner Loop Header: Depth=1
	s_sethalt 5
	s_branch .LBB4_4056
.LBB4_4057:
	s_trap 2
	s_sendmsg_rtn_b32 s0, sendmsg(MSG_RTN_GET_DOORBELL)
	s_mov_b32 ttmp2, m0
	s_waitcnt lgkmcnt(0)
	s_and_b32 s0, s0, 0x3ff
	s_delay_alu instid0(SALU_CYCLE_1) | instskip(NEXT) | instid1(SALU_CYCLE_1)
	s_bitset1_b32 s0, 10
	s_mov_b32 m0, s0
	s_sendmsg sendmsg(MSG_INTERRUPT)
	s_mov_b32 m0, ttmp2
.LBB4_4058:                             ; =>This Inner Loop Header: Depth=1
	s_sethalt 5
	s_branch .LBB4_4058
.LBB4_4059:
	s_trap 2
	s_sendmsg_rtn_b32 s0, sendmsg(MSG_RTN_GET_DOORBELL)
	s_mov_b32 ttmp2, m0
	s_waitcnt lgkmcnt(0)
	s_and_b32 s0, s0, 0x3ff
	s_delay_alu instid0(SALU_CYCLE_1) | instskip(NEXT) | instid1(SALU_CYCLE_1)
	s_bitset1_b32 s0, 10
	s_mov_b32 m0, s0
	s_sendmsg sendmsg(MSG_INTERRUPT)
	s_mov_b32 m0, ttmp2
.LBB4_4060:                             ; =>This Inner Loop Header: Depth=1
	s_sethalt 5
	s_branch .LBB4_4060
.Lfunc_end4:
	.size	_ZN12_GLOBAL__N_17runRingI12rccl_bfloat88FuncProdIS1_E11ProtoSimpleILi1ELi1ELi0ELi2ELi0ELi0EELi0ELi2ELi0EEEviiP15ncclDevWorkColl, .Lfunc_end4-_ZN12_GLOBAL__N_17runRingI12rccl_bfloat88FuncProdIS1_E11ProtoSimpleILi1ELi1ELi0ELi2ELi0ELi0EELi0ELi2ELi0EEEviiP15ncclDevWorkColl
                                        ; -- End function
	.section	.AMDGPU.csdata,"",@progbits
; Function info:
; codeLenInByte = 159328
; NumSgprs: 38
; NumVgprs: 163
; ScratchSize: 80
; MemoryBound: 1
	.text
	.p2align	2                               ; -- Begin function _Z48ncclDevFunc_Reduce_RING_SIMPLE_Prod_f8e5m2_0_0_2v
	.type	_Z48ncclDevFunc_Reduce_RING_SIMPLE_Prod_f8e5m2_0_0_2v,@function
_Z48ncclDevFunc_Reduce_RING_SIMPLE_Prod_f8e5m2_0_0_2v: ; @_Z48ncclDevFunc_Reduce_RING_SIMPLE_Prod_f8e5m2_0_0_2v
; %bb.0:
	s_waitcnt vmcnt(0) expcnt(0) lgkmcnt(0)
	s_mov_b32 s0, s33
	s_mov_b32 s33, s32
	s_or_saveexec_b32 s1, -1
	scratch_store_b32 off, v40, s33 offset:4 ; 4-byte Folded Spill
	s_mov_b32 exec_lo, s1
	v_writelane_b32 v40, s0, 10
	s_add_i32 s32, s32, 16
	scratch_store_b32 off, v41, s33         ; 4-byte Folded Spill
	v_writelane_b32 v40, s34, 0
	v_writelane_b32 v40, s35, 1
	;; [unrolled: 1-line block ×10, first 2 shown]
	s_cbranch_execnz .LBB5_13
; %bb.1:
	ds_load_b32 v0, v0
	s_waitcnt lgkmcnt(0)
	v_cmp_gt_i32_e32 vcc_lo, 1, v0
	s_cbranch_vccnz .LBB5_12
; %bb.2:
	v_and_b32_e32 v163, 0x3ff, v31
	s_mov_b32 s40, 0
	s_mov_b64 s[38:39], src_shared_base
.LBB5_3:                                ; =>This Inner Loop Header: Depth=1
	s_cbranch_execnz .LBB5_15
; %bb.4:                                ;   in Loop: Header=BB5_3 Depth=1
	ds_load_b32 v0, v0
	s_cmp_eq_u32 s40, 0
	s_cbranch_scc1 .LBB5_8
; %bb.5:                                ;   in Loop: Header=BB5_3 Depth=1
	s_cbranch_execnz .LBB5_19
; %bb.6:                                ;   in Loop: Header=BB5_3 Depth=1
	s_waitcnt lgkmcnt(0)
	ds_load_b32 v1, v0
	s_waitcnt lgkmcnt(0)
	v_xor_b32_e32 v1, v1, v0
	s_delay_alu instid0(VALU_DEP_1) | instskip(NEXT) | instid1(VALU_DEP_1)
	v_and_b32_e32 v1, 0xff0000, v1
	v_cmp_eq_u32_e32 vcc_lo, 0, v1
	s_cbranch_vccnz .LBB5_8
; %bb.7:                                ;   in Loop: Header=BB5_3 Depth=1
	s_waitcnt_vscnt null, 0x0
	s_barrier
	buffer_gl0_inv
	ds_load_b32 v0, v0
.LBB5_8:                                ;   in Loop: Header=BB5_3 Depth=1
	s_waitcnt lgkmcnt(0)
	v_lshrrev_b32_e32 v0, 11, v0
	s_mov_b32 s41, exec_lo
	s_delay_alu instid0(VALU_DEP_1) | instskip(NEXT) | instid1(VALU_DEP_1)
	v_and_b32_e32 v1, 0x1fe0, v0
	v_cmpx_lt_u32_e64 v163, v1
	s_cbranch_execz .LBB5_10
; %bb.9:                                ;   in Loop: Header=BB5_3 Depth=1
	v_dual_mov_b32 v164, v31 :: v_dual_mov_b32 v3, s39
	v_mov_b32_e32 v0, v163
	s_getpc_b64 s[0:1]
	s_add_u32 s0, s0, _ZN12_GLOBAL__N_17runRingI12rccl_bfloat88FuncProdIS1_E11ProtoSimpleILi1ELi1ELi0ELi2ELi0ELi0EELi0ELi2ELi0EEEviiP15ncclDevWorkColl@rel32@lo+4
	s_addc_u32 s1, s1, _ZN12_GLOBAL__N_17runRingI12rccl_bfloat88FuncProdIS1_E11ProtoSimpleILi1ELi1ELi0ELi2ELi0ELi0EELi0ELi2ELi0EEEviiP15ncclDevWorkColl@rel32@hi+12
	s_mov_b64 s[36:37], s[8:9]
	s_mov_b32 s38, s12
	s_swappc_b64 s[30:31], s[0:1]
	v_mov_b32_e32 v31, v164
	s_mov_b32 s12, s38
	s_mov_b64 s[8:9], s[36:37]
.LBB5_10:                               ;   in Loop: Header=BB5_3 Depth=1
	s_or_b32 exec_lo, exec_lo, s41
	s_cbranch_execnz .LBB5_17
; %bb.11:                               ;   in Loop: Header=BB5_3 Depth=1
	ds_load_b32 v0, v0
	s_add_i32 s40, s40, 1
	s_waitcnt lgkmcnt(0)
	v_cmp_lt_i32_e32 vcc_lo, s40, v0
	s_cbranch_vccnz .LBB5_3
.LBB5_12:
	scratch_load_b32 v41, off, s33          ; 4-byte Folded Reload
	v_readlane_b32 s30, v40, 8
	v_readlane_b32 s31, v40, 9
	v_readlane_b32 s41, v40, 7
	v_readlane_b32 s40, v40, 6
	v_readlane_b32 s39, v40, 5
	v_readlane_b32 s38, v40, 4
	v_readlane_b32 s37, v40, 3
	v_readlane_b32 s36, v40, 2
	v_readlane_b32 s35, v40, 1
	v_readlane_b32 s34, v40, 0
	v_readlane_b32 s0, v40, 10
	s_or_saveexec_b32 s1, -1
	scratch_load_b32 v40, off, s33 offset:4 ; 4-byte Folded Reload
	s_mov_b32 exec_lo, s1
	s_add_i32 s32, s32, -16
	s_mov_b32 s33, s0
	s_waitcnt vmcnt(0)
	s_setpc_b64 s[30:31]
.LBB5_13:
	s_trap 2
	s_sendmsg_rtn_b32 s0, sendmsg(MSG_RTN_GET_DOORBELL)
	s_mov_b32 ttmp2, m0
	s_waitcnt lgkmcnt(0)
	s_and_b32 s0, s0, 0x3ff
	s_delay_alu instid0(SALU_CYCLE_1) | instskip(NEXT) | instid1(SALU_CYCLE_1)
	s_bitset1_b32 s0, 10
	s_mov_b32 m0, s0
	s_sendmsg sendmsg(MSG_INTERRUPT)
	s_mov_b32 m0, ttmp2
.LBB5_14:                               ; =>This Inner Loop Header: Depth=1
	s_sethalt 5
	s_branch .LBB5_14
.LBB5_15:
	s_trap 2
	s_sendmsg_rtn_b32 s0, sendmsg(MSG_RTN_GET_DOORBELL)
	s_mov_b32 ttmp2, m0
	s_waitcnt lgkmcnt(0)
	s_and_b32 s0, s0, 0x3ff
	s_delay_alu instid0(SALU_CYCLE_1) | instskip(NEXT) | instid1(SALU_CYCLE_1)
	s_bitset1_b32 s0, 10
	s_mov_b32 m0, s0
	s_sendmsg sendmsg(MSG_INTERRUPT)
	s_mov_b32 m0, ttmp2
.LBB5_16:                               ; =>This Inner Loop Header: Depth=1
	s_sethalt 5
	s_branch .LBB5_16
.LBB5_17:
	s_trap 2
	s_sendmsg_rtn_b32 s0, sendmsg(MSG_RTN_GET_DOORBELL)
	s_mov_b32 ttmp2, m0
	s_waitcnt lgkmcnt(0)
	s_and_b32 s0, s0, 0x3ff
	s_delay_alu instid0(SALU_CYCLE_1) | instskip(NEXT) | instid1(SALU_CYCLE_1)
	s_bitset1_b32 s0, 10
	s_mov_b32 m0, s0
	s_sendmsg sendmsg(MSG_INTERRUPT)
	s_mov_b32 m0, ttmp2
.LBB5_18:                               ; =>This Inner Loop Header: Depth=1
	s_sethalt 5
	s_branch .LBB5_18
.LBB5_19:
	s_trap 2
	s_sendmsg_rtn_b32 s0, sendmsg(MSG_RTN_GET_DOORBELL)
	s_mov_b32 ttmp2, m0
	s_waitcnt lgkmcnt(0)
	s_and_b32 s0, s0, 0x3ff
	s_delay_alu instid0(SALU_CYCLE_1) | instskip(NEXT) | instid1(SALU_CYCLE_1)
	s_bitset1_b32 s0, 10
	s_mov_b32 m0, s0
	s_sendmsg sendmsg(MSG_INTERRUPT)
	s_mov_b32 m0, ttmp2
.LBB5_20:                               ; =>This Inner Loop Header: Depth=1
	s_sethalt 5
	s_branch .LBB5_20
.Lfunc_end5:
	.size	_Z48ncclDevFunc_Reduce_RING_SIMPLE_Prod_f8e5m2_0_0_2v, .Lfunc_end5-_Z48ncclDevFunc_Reduce_RING_SIMPLE_Prod_f8e5m2_0_0_2v
                                        ; -- End function
	.section	.AMDGPU.csdata,"",@progbits
; Function info:
; codeLenInByte = 716
; NumSgprs: 44
; NumVgprs: 165
; ScratchSize: 96
; MemoryBound: 0
	.text
	.p2align	2                               ; -- Begin function _ZN12_GLOBAL__N_17runRingI12rccl_bfloat88FuncProdIS1_E11ProtoSimpleILi1ELi1ELi0ELi4ELi0ELi0EELi0ELi4ELi0EEEviiP15ncclDevWorkColl
	.type	_ZN12_GLOBAL__N_17runRingI12rccl_bfloat88FuncProdIS1_E11ProtoSimpleILi1ELi1ELi0ELi4ELi0ELi0EELi0ELi4ELi0EEEviiP15ncclDevWorkColl,@function
_ZN12_GLOBAL__N_17runRingI12rccl_bfloat88FuncProdIS1_E11ProtoSimpleILi1ELi1ELi0ELi4ELi0ELi0EELi0ELi4ELi0EEEviiP15ncclDevWorkColl: ; @_ZN12_GLOBAL__N_17runRingI12rccl_bfloat88FuncProdIS1_E11ProtoSimpleILi1ELi1ELi0ELi4ELi0ELi0EELi0ELi4ELi0EEEviiP15ncclDevWorkColl
; %bb.0:
	s_waitcnt vmcnt(0) expcnt(0) lgkmcnt(0)
	s_mov_b32 s0, s33
	s_mov_b32 s33, s32
	s_or_saveexec_b32 s1, -1
	scratch_store_b32 off, v77, s33 offset:84 ; 4-byte Folded Spill
	s_mov_b32 exec_lo, s1
	v_writelane_b32 v77, s0, 2
	s_addk_i32 s32, 0x60
	s_clause 0x14
	scratch_store_b32 off, v40, s33 offset:80
	; meta instruction
	scratch_store_b32 off, v41, s33 offset:76
	; meta instruction
	;; [unrolled: 2-line block ×20, first 2 shown]
	scratch_store_b32 off, v76, s33
	v_writelane_b32 v77, s30, 0
	v_writelane_b32 v77, s31, 1
	s_cbranch_execz .LBB6_1
; %bb.6365:
	s_getpc_b64 s[34:35]
.Lpost_getpc36:
	s_add_u32 s34, s34, (.LBB6_6079-.Lpost_getpc36)&4294967295
	s_addc_u32 s35, s35, (.LBB6_6079-.Lpost_getpc36)>>32
	s_setpc_b64 s[34:35]
.LBB6_1:
	ds_load_b64 v[14:15], v0
	ds_load_b32 v9, v0
	flat_load_b64 v[6:7], v[2:3]
	s_mov_b32 s0, exec_lo
                                        ; implicit-def: $vgpr17_vgpr18
                                        ; implicit-def: $vgpr52_vgpr53
	s_waitcnt lgkmcnt(2)
	v_ashrrev_i32_e32 v5, 31, v15
	v_mov_b32_e32 v4, v15
	s_delay_alu instid0(VALU_DEP_1) | instskip(NEXT) | instid1(VALU_DEP_1)
	v_lshlrev_b64 v[4:5], 2, v[4:5]
	v_add_co_u32 v4, vcc_lo, v14, v4
	s_delay_alu instid0(VALU_DEP_2) | instskip(NEXT) | instid1(VALU_DEP_2)
	v_add_co_ci_u32_e32 v5, vcc_lo, v15, v5, vcc_lo
	v_add_co_u32 v4, vcc_lo, -4, v4
	s_delay_alu instid0(VALU_DEP_2) | instskip(SKIP_4) | instid1(VALU_DEP_1)
	v_add_co_ci_u32_e32 v5, vcc_lo, -1, v5, vcc_lo
	flat_load_u16 v16, v[2:3] offset:8
	flat_load_b32 v22, v[4:5]
                                        ; implicit-def: $vgpr4_vgpr5
	s_waitcnt vmcnt(2) lgkmcnt(2)
	v_dual_mov_b32 v15, v7 :: v_dual_and_b32 v8, 0xff, v6
	v_cmpx_ne_u32_e64 v8, v9
	s_xor_b32 s0, exec_lo, s0
	s_cbranch_execz .LBB6_2
; %bb.6367:
	s_getpc_b64 s[34:35]
.Lpost_getpc37:
	s_add_u32 s34, s34, (.LBB6_6081-.Lpost_getpc37)&4294967295
	s_addc_u32 s35, s35, (.LBB6_6081-.Lpost_getpc37)>>32
	s_setpc_b64 s[34:35]
.LBB6_2:
	s_and_not1_saveexec_b32 s0, s0
	s_cbranch_execz .LBB6_3
; %bb.6369:
	s_getpc_b64 s[34:35]
.Lpost_getpc38:
	s_add_u32 s34, s34, (.LBB6_6086-.Lpost_getpc38)&4294967295
	s_addc_u32 s35, s35, (.LBB6_6086-.Lpost_getpc38)>>32
	s_setpc_b64 s[34:35]
.LBB6_3:
	s_or_b32 exec_lo, exec_lo, s0
	s_cbranch_execz .LBB6_4
; %bb.6371:
	s_getpc_b64 s[34:35]
.Lpost_getpc39:
	s_add_u32 s34, s34, (.LBB6_6087-.Lpost_getpc39)&4294967295
	s_addc_u32 s35, s35, (.LBB6_6087-.Lpost_getpc39)>>32
	s_setpc_b64 s[34:35]
.LBB6_4:
	ds_load_b64 v[6:7], v0
	s_mov_b32 s1, exec_lo
	s_waitcnt lgkmcnt(0)
	v_cmp_ne_u32_e32 vcc_lo, -1, v6
	v_cndmask_b32_e64 v26, 0, 1, vcc_lo
	v_cmp_ne_u32_e32 vcc_lo, -1, v7
	s_delay_alu instid0(VALU_DEP_2) | instskip(NEXT) | instid1(VALU_DEP_1)
	v_add_co_ci_u32_e64 v6, s0, 0, v26, vcc_lo
	v_lshlrev_b32_e32 v7, 1, v6
	s_delay_alu instid0(VALU_DEP_1)
	v_cmpx_le_i32_e64 v7, v1
	s_xor_b32 s13, exec_lo, s1
	s_cbranch_execnz .LBB6_5
; %bb.6373:
	s_getpc_b64 s[34:35]
.Lpost_getpc40:
	s_add_u32 s34, s34, (.LBB6_6298-.Lpost_getpc40)&4294967295
	s_addc_u32 s35, s35, (.LBB6_6298-.Lpost_getpc40)>>32
	s_setpc_b64 s[34:35]
.LBB6_5:
	s_clause 0x1
	flat_load_b128 v[10:13], v[2:3] offset:16
	flat_load_b64 v[18:19], v[2:3] offset:104
	s_cbranch_execz .LBB6_6
; %bb.6375:
	s_getpc_b64 s[34:35]
.Lpost_getpc41:
	s_add_u32 s34, s34, (.LBB6_6089-.Lpost_getpc41)&4294967295
	s_addc_u32 s35, s35, (.LBB6_6089-.Lpost_getpc41)>>32
	s_setpc_b64 s[34:35]
.LBB6_6:
	s_load_b32 s0, s[8:9], 0x0
	v_dual_mov_b32 v2, 0 :: v_dual_mov_b32 v103, 4
	s_waitcnt lgkmcnt(0)
	s_cmp_lt_u32 s12, s0
	s_cselect_b32 s0, 12, 18
	s_delay_alu instid0(SALU_CYCLE_1)
	s_add_u32 s0, s8, s0
	s_addc_u32 s1, s9, 0
	global_load_u16 v23, v2, s[0:1]
	ds_load_b32 v2, v0
	s_mov_b32 s1, exec_lo
	s_waitcnt lgkmcnt(0)
	v_readfirstlane_b32 s14, v2
	v_cmpx_ge_i32_e64 v0, v26
	s_cbranch_execz .LBB6_16
; %bb.7:
	v_cmp_le_u32_e64 s0, v6, v0
                                        ; implicit-def: $vgpr103
	s_delay_alu instid0(VALU_DEP_1) | instskip(NEXT) | instid1(SALU_CYCLE_1)
	s_and_saveexec_b32 s2, s0
	s_xor_b32 s0, exec_lo, s2
	s_cbranch_execz .LBB6_13
; %bb.8:
	v_cndmask_b32_e64 v2, 0, 1, vcc_lo
	s_mov_b32 s2, exec_lo
                                        ; implicit-def: $sgpr3
	s_delay_alu instid0(VALU_DEP_1) | instskip(NEXT) | instid1(VALU_DEP_1)
	v_sub_nc_u32_e32 v2, v1, v2
	v_cmpx_ge_u32_e64 v0, v2
	s_xor_b32 s2, exec_lo, s2
; %bb.9:
	s_mov_b32 s3, 16
                                        ; implicit-def: $vgpr6
; %bb.10:
	s_or_saveexec_b32 s2, s2
	v_mov_b32_e32 v103, s3
	s_xor_b32 exec_lo, exec_lo, s2
; %bb.11:
	v_sub_nc_u32_e32 v2, v1, v6
	s_delay_alu instid0(VALU_DEP_1) | instskip(SKIP_1) | instid1(VALU_DEP_1)
	v_cmp_ge_i32_e32 vcc_lo, v0, v2
	v_cndmask_b32_e64 v2, 0, 1, vcc_lo
	v_lshlrev_b32_e32 v103, 5, v2
; %bb.12:
	s_or_b32 exec_lo, exec_lo, s2
.LBB6_13:
	s_and_not1_saveexec_b32 s0, s0
; %bb.14:
	v_mov_b32_e32 v103, 8
; %bb.15:
	s_or_b32 exec_lo, exec_lo, s0
.LBB6_16:
	s_delay_alu instid0(SALU_CYCLE_1) | instskip(NEXT) | instid1(VALU_DEP_1)
	s_or_b32 exec_lo, exec_lo, s1
	v_and_b32_e32 v2, 36, v103
	v_mov_b32_e32 v20, -1
	s_delay_alu instid0(VALU_DEP_2)
	v_cmp_ne_u32_e32 vcc_lo, 0, v2
	s_and_saveexec_b32 s0, vcc_lo
	s_cbranch_execz .LBB6_19
; %bb.17:
	s_cbranch_execz .LBB6_18
; %bb.6377:
	s_getpc_b64 s[34:35]
.Lpost_getpc42:
	s_add_u32 s34, s34, (.LBB6_6091-.Lpost_getpc42)&4294967295
	s_addc_u32 s35, s35, (.LBB6_6091-.Lpost_getpc42)>>32
	s_setpc_b64 s[34:35]
.LBB6_18:
	ds_load_b32 v20, v0
.LBB6_19:
	s_or_b32 exec_lo, exec_lo, s0
	v_and_b32_e32 v2, 24, v103
	s_mov_b32 s1, exec_lo
	s_delay_alu instid0(VALU_DEP_1)
	v_cmpx_ne_u32_e32 0, v2
	s_cbranch_execz .LBB6_22
; %bb.20:
	s_cbranch_execz .LBB6_21
; %bb.6379:
	s_getpc_b64 s[34:35]
.Lpost_getpc43:
	s_add_u32 s34, s34, (.LBB6_6093-.Lpost_getpc43)&4294967295
	s_addc_u32 s35, s35, (.LBB6_6093-.Lpost_getpc43)>>32
	s_setpc_b64 s[34:35]
.LBB6_21:
	s_waitcnt lgkmcnt(0)
	ds_load_b32 v20, v0
.LBB6_22:
	s_or_b32 exec_lo, exec_lo, s1
	s_waitcnt vmcnt(4)
	v_lshrrev_b64 v[2:3], 31, v[15:16]
	v_mov_b32_e32 v54, 0
	v_mov_b32_e32 v55, 0
                                        ; implicit-def: $vgpr113
                                        ; implicit-def: $vgpr68_vgpr69
                                        ; implicit-def: $vgpr66_vgpr67
                                        ; implicit-def: $vgpr64_vgpr65
	s_delay_alu instid0(VALU_DEP_3) | instskip(NEXT) | instid1(VALU_DEP_2)
	v_and_b32_e32 v16, 3, v2
	v_dual_mov_b32 v6, v54 :: v_dual_mov_b32 v7, v55
                                        ; implicit-def: $vgpr2_vgpr3
	s_and_saveexec_b32 s0, vcc_lo
	s_cbranch_execz .LBB6_35
; %bb.23:
	s_cbranch_execz .LBB6_24
; %bb.6381:
	s_getpc_b64 s[34:35]
.Lpost_getpc44:
	s_add_u32 s34, s34, (.LBB6_6095-.Lpost_getpc44)&4294967295
	s_addc_u32 s35, s35, (.LBB6_6095-.Lpost_getpc44)>>32
	s_setpc_b64 s[34:35]
.LBB6_24:
	ds_load_b64 v[2:3], v0
	s_waitcnt lgkmcnt(1)
	v_ashrrev_i32_e32 v21, 31, v20
	v_and_b32_e32 v8, 0xffff, v16
	s_delay_alu instid0(VALU_DEP_2) | instskip(SKIP_1) | instid1(VALU_DEP_1)
	v_lshlrev_b64 v[6:7], 3, v[20:21]
	s_waitcnt lgkmcnt(0)
	v_add_co_u32 v2, vcc_lo, v2, v6
	s_delay_alu instid0(VALU_DEP_2)
	v_add_co_ci_u32_e32 v3, vcc_lo, v3, v7, vcc_lo
	flat_load_b64 v[2:3], v[2:3]
	s_waitcnt vmcnt(0) lgkmcnt(0)
	v_mad_u64_u32 v[6:7], null, 0xa8, v8, v[2:3]
	flat_load_b32 v2, v[6:7] offset:640
	v_add_co_u32 v54, vcc_lo, 0x1f8, v6
	v_add_co_ci_u32_e32 v55, vcc_lo, 0, v7, vcc_lo
	s_waitcnt vmcnt(0) lgkmcnt(0)
	v_cmp_eq_u32_e32 vcc_lo, 1, v2
                                        ; implicit-def: $vgpr2_vgpr3
	s_and_saveexec_b32 s1, vcc_lo
	s_cbranch_execz .LBB6_27
; %bb.25:
	flat_load_b64 v[2:3], v[54:55] offset:144
	s_waitcnt vmcnt(0) lgkmcnt(0)
	flat_load_b64 v[6:7], v[2:3]
	s_cbranch_execz .LBB6_26
; %bb.6383:
	s_getpc_b64 s[34:35]
.Lpost_getpc45:
	s_add_u32 s34, s34, (.LBB6_6101-.Lpost_getpc45)&4294967295
	s_addc_u32 s35, s35, (.LBB6_6101-.Lpost_getpc45)>>32
	s_setpc_b64 s[34:35]
.LBB6_26:
	s_waitcnt vmcnt(0) lgkmcnt(0)
	ds_store_b64 v0, v[6:7]
	flat_load_b64 v[6:7], v[2:3] offset:8
	v_or_b32_e32 v103, 0x2000, v103
	s_waitcnt vmcnt(0) lgkmcnt(0)
	ds_store_b64 v0, v[6:7]
	flat_load_b64 v[6:7], v[2:3] offset:16
	s_waitcnt vmcnt(0) lgkmcnt(0)
	ds_store_b64 v0, v[6:7]
.LBB6_27:
	s_or_b32 exec_lo, exec_lo, s1
	flat_load_b64 v[8:9], v[54:55] offset:104
	v_and_b32_e32 v6, 32, v103
	s_mov_b32 s1, exec_lo
                                        ; implicit-def: $vgpr64_vgpr65
	s_delay_alu instid0(VALU_DEP_1)
	v_cmpx_ne_u32_e32 0, v6
	s_cbranch_execz .LBB6_29
; %bb.28:
	flat_load_b64 v[64:65], v[54:55] offset:56
	s_waitcnt vmcnt(0) lgkmcnt(0)
	s_waitcnt_vscnt null, 0x0
	flat_store_b64 v[64:65], v[8:9]
.LBB6_29:
	s_or_b32 exec_lo, exec_lo, s1
	v_dual_mov_b32 v6, 0 :: v_dual_and_b32 v21, 4, v103
	v_mov_b32_e32 v7, 0
	s_mov_b32 s1, exec_lo
                                        ; implicit-def: $vgpr113
                                        ; implicit-def: $vgpr68_vgpr69
                                        ; implicit-def: $vgpr66_vgpr67
	s_delay_alu instid0(VALU_DEP_2)
	v_cmpx_ne_u32_e32 0, v21
	s_cbranch_execz .LBB6_34
; %bb.30:
	v_and_b32_e32 v6, 0x800, v103
	s_mov_b32 s2, exec_lo
	s_delay_alu instid0(VALU_DEP_1)
	v_cmpx_eq_u32_e32 0, v6
	s_cbranch_execz .LBB6_33
; %bb.31:
	s_cbranch_execz .LBB6_32
; %bb.6385:
	s_getpc_b64 s[34:35]
.Lpost_getpc46:
	s_add_u32 s34, s34, (.LBB6_6105-.Lpost_getpc46)&4294967295
	s_addc_u32 s35, s35, (.LBB6_6105-.Lpost_getpc46)>>32
	s_setpc_b64 s[34:35]
.LBB6_32:
	ds_store_b64 v0, v[54:55]
.LBB6_33:
	s_or_b32 exec_lo, exec_lo, s2
	flat_load_b64 v[64:65], v[54:55] offset:48
	v_or_b32_e32 v21, 0x100, v103
	s_waitcnt vmcnt(0) lgkmcnt(0)
	flat_load_b64 v[68:69], v[64:65] glc
	s_clause 0x2
	flat_load_b64 v[6:7], v[54:55] offset:96
	flat_load_b32 v113, v[54:55] offset:72
	flat_load_b64 v[66:67], v[54:55] offset:16
	s_waitcnt vmcnt(2) lgkmcnt(2)
	v_cmp_eq_u64_e32 vcc_lo, 0, v[6:7]
	v_cndmask_b32_e32 v103, v21, v103, vcc_lo
.LBB6_34:
	s_or_b32 exec_lo, exec_lo, s1
.LBB6_35:
	s_delay_alu instid0(SALU_CYCLE_1) | instskip(NEXT) | instid1(VALU_DEP_1)
	s_or_b32 exec_lo, exec_lo, s0
	v_and_b32_e32 v21, 24, v103
	s_mov_b32 s0, exec_lo
                                        ; implicit-def: $vgpr82_vgpr83
	s_delay_alu instid0(VALU_DEP_1)
	v_cmpx_ne_u32_e32 0, v21
	s_cbranch_execz .LBB6_45
; %bb.36:
	s_cbranch_execz .LBB6_37
; %bb.6387:
	s_getpc_b64 s[34:35]
.Lpost_getpc47:
	s_add_u32 s34, s34, (.LBB6_6097-.Lpost_getpc47)&4294967295
	s_addc_u32 s35, s35, (.LBB6_6097-.Lpost_getpc47)>>32
	s_setpc_b64 s[34:35]
.LBB6_37:
	ds_load_b64 v[6:7], v0
	s_waitcnt lgkmcnt(1)
	v_ashrrev_i32_e32 v21, 31, v20
	s_mov_b32 s1, exec_lo
                                        ; implicit-def: $vgpr82_vgpr83
	s_waitcnt vmcnt(0)
	s_delay_alu instid0(VALU_DEP_1) | instskip(SKIP_1) | instid1(VALU_DEP_1)
	v_lshlrev_b64 v[8:9], 3, v[20:21]
	s_waitcnt lgkmcnt(0)
	v_add_co_u32 v6, vcc_lo, v6, v8
	s_delay_alu instid0(VALU_DEP_2)
	v_add_co_ci_u32_e32 v7, vcc_lo, v7, v9, vcc_lo
	v_and_b32_e32 v8, 0xffff, v16
	v_or_b32_e32 v16, 0x100, v103
	flat_load_b64 v[6:7], v[6:7]
	s_waitcnt vmcnt(0) lgkmcnt(0)
	v_mad_u64_u32 v[54:55], null, 0xa8, v8, v[6:7]
	flat_load_b128 v[6:9], v[54:55] offset:96
	s_waitcnt vmcnt(0) lgkmcnt(0)
	v_cmp_eq_u64_e32 vcc_lo, 0, v[6:7]
	v_cndmask_b32_e32 v103, v16, v103, vcc_lo
	s_delay_alu instid0(VALU_DEP_1) | instskip(NEXT) | instid1(VALU_DEP_1)
	v_and_b32_e32 v16, 16, v103
	v_cmpx_ne_u32_e32 0, v16
; %bb.38:
	s_clause 0x2
	flat_load_b64 v[82:83], v[54:55] offset:120
	flat_load_b64 v[64:65], v[54:55] offset:48
	;; [unrolled: 1-line block ×3, first 2 shown]
; %bb.39:
	s_or_b32 exec_lo, exec_lo, s1
	v_and_b32_e32 v16, 8, v103
	s_mov_b32 s1, exec_lo
	s_delay_alu instid0(VALU_DEP_1)
	v_cmpx_ne_u32_e32 0, v16
	s_cbranch_execz .LBB6_44
; %bb.40:
	v_and_b32_e32 v16, 0x800, v103
	s_mov_b32 s2, exec_lo
	s_delay_alu instid0(VALU_DEP_1)
	v_cmpx_eq_u32_e32 0, v16
	s_cbranch_execz .LBB6_43
; %bb.41:
	s_cbranch_execz .LBB6_42
; %bb.6389:
	s_getpc_b64 s[34:35]
.Lpost_getpc48:
	s_add_u32 s34, s34, (.LBB6_6122-.Lpost_getpc48)&4294967295
	s_addc_u32 s35, s35, (.LBB6_6122-.Lpost_getpc48)>>32
	s_setpc_b64 s[34:35]
.LBB6_42:
	ds_store_b64 v0, v[54:55]
.LBB6_43:
	s_or_b32 exec_lo, exec_lo, s2
	s_waitcnt vmcnt(1) lgkmcnt(1)
	flat_load_b64 v[64:65], v[54:55] offset:56
	s_waitcnt vmcnt(0) lgkmcnt(0)
	flat_load_b64 v[68:69], v[64:65] glc
	s_clause 0x1
	flat_load_b32 v113, v[54:55] offset:72
	flat_load_b64 v[66:67], v[54:55] offset:16
.LBB6_44:
	s_or_b32 exec_lo, exec_lo, s1
.LBB6_45:
	s_delay_alu instid0(SALU_CYCLE_1) | instskip(SKIP_1) | instid1(VALU_DEP_1)
	s_or_b32 exec_lo, exec_lo, s0
	v_cmp_eq_u32_e64 s0, 0, v0
	s_and_saveexec_b32 s1, s0
	s_cbranch_execz .LBB6_48
; %bb.46:
	s_waitcnt vmcnt(2)
	ds_store_2addr_b64 v0, v[12:13], v[10:11] offset1:1
	s_cbranch_execz .LBB6_47
; %bb.6391:
	s_getpc_b64 s[34:35]
.Lpost_getpc49:
	s_add_u32 s34, s34, (.LBB6_6099-.Lpost_getpc49)&4294967295
	s_addc_u32 s35, s35, (.LBB6_6099-.Lpost_getpc49)>>32
	s_setpc_b64 s[34:35]
.LBB6_47:
	v_mov_b32_e32 v10, 0
	s_delay_alu instid0(VALU_DEP_1)
	v_mov_b32_e32 v11, v10
	ds_store_b64 v0, v[10:11]
	s_waitcnt vmcnt(1)
	ds_store_b64 v0, v[18:19]
.LBB6_48:
	s_or_b32 exec_lo, exec_lo, s1
	s_waitcnt vmcnt(2)
	v_bfe_u32 v10, v15, 1, 30
	v_dual_mov_b32 v81, 0 :: v_dual_and_b32 v80, 0x3ffffe00, v17
	s_waitcnt vmcnt(0)
	v_and_b32_e32 v112, 0xffff, v23
                                        ; implicit-def: $vgpr70_vgpr71
	s_mov_b32 s1, exec_lo
	v_cmpx_ne_u32_e64 v22, v10
	s_xor_b32 s15, exec_lo, s1
	s_cbranch_execnz .LBB6_49
; %bb.6393:
	s_getpc_b64 s[34:35]
.Lpost_getpc50:
	s_add_u32 s34, s34, (.LBB6_5876-.Lpost_getpc50)&4294967295
	s_addc_u32 s35, s35, (.LBB6_5876-.Lpost_getpc50)>>32
	s_setpc_b64 s[34:35]
.LBB6_49:
	v_cmp_ne_u64_e64 s1, 0, v[4:5]
                                        ; implicit-def: $vgpr70_vgpr71
	s_mov_b32 s2, exec_lo
	v_cmpx_ne_u32_e64 v14, v10
	s_xor_b32 s16, exec_lo, s2
	s_cbranch_execz .LBB6_2969
; %bb.50:
	v_mov_b32_e32 v70, 0
	v_mov_b32_e32 v71, 0
	s_and_saveexec_b32 s17, s1
	s_cbranch_execz .LBB6_2968
; %bb.51:
	v_cmp_ge_i32_e64 s2, v0, v1
	s_cbranch_execz .LBB6_52
; %bb.6395:
	s_getpc_b64 s[34:35]
.Lpost_getpc51:
	s_add_u32 s34, s34, (.LBB6_6120-.Lpost_getpc51)&4294967295
	s_addc_u32 s35, s35, (.LBB6_6120-.Lpost_getpc51)>>32
	s_setpc_b64 s[34:35]
.LBB6_52:
	v_ashrrev_i32_e32 v10, 31, v0
	v_lshrrev_b32_e32 v115, 5, v1
	v_dual_mov_b32 v30, 0 :: v_dual_and_b32 v11, 31, v31
	s_ashr_i32 s5, s14, 31
	s_delay_alu instid0(VALU_DEP_3) | instskip(NEXT) | instid1(VALU_DEP_3)
	v_lshrrev_b32_e32 v10, 27, v10
	v_dual_mov_b32 v84, 0 :: v_dual_lshlrev_b32 v117, 9, v115
	s_lshr_b32 s5, s5, 24
	v_and_b32_e32 v133, 0xffffffe0, v1
	s_delay_alu instid0(VALU_DEP_3) | instskip(SKIP_3) | instid1(VALU_DEP_3)
	v_dual_mov_b32 v85, 0 :: v_dual_add_nc_u32 v10, v0, v10
	s_add_i32 s11, s14, s5
	v_cmp_eq_u32_e64 s5, 0, v11
	v_dual_mov_b32 v70, v84 :: v_dual_add_nc_u32 v13, 0xfffffe00, v117
	v_dual_mov_b32 v145, 1 :: v_dual_and_b32 v12, 0xffffffe0, v10
	v_ashrrev_i32_e32 v116, 5, v10
	v_lshl_add_u32 v10, v115, 11, 0xfffff800
	s_delay_alu instid0(VALU_DEP_4) | instskip(NEXT) | instid1(VALU_DEP_4)
	v_add_co_u32 v131, s10, 0x200, v13
	v_sub_nc_u32_e32 v118, v0, v12
	s_delay_alu instid0(VALU_DEP_4) | instskip(NEXT) | instid1(VALU_DEP_4)
	v_dual_mov_b32 v71, v85 :: v_dual_lshlrev_b32 v12, 11, v116
	v_ashrrev_i32_e32 v11, 31, v10
	v_add_co_u32 v128, s6, 0x800, v10
	v_ashrrev_i32_e32 v10, 31, v13
	s_delay_alu instid0(VALU_DEP_4) | instskip(NEXT) | instid1(VALU_DEP_4)
	v_lshl_add_u32 v119, v118, 4, v12
	v_add_co_ci_u32_e64 v129, s6, 0, v11, s6
	v_lshl_add_u32 v11, v115, 10, 0xfffffc00
	s_delay_alu instid0(VALU_DEP_4)
	v_add_co_ci_u32_e64 v132, s10, 0, v10, s10
	v_cmp_eq_u32_e32 vcc_lo, 32, v1
	s_waitcnt lgkmcnt(1)
	v_ashrrev_i32_e32 v114, 31, v113
	v_ashrrev_i32_e32 v10, 31, v11
	v_add_co_u32 v134, s10, 0x400, v11
	v_cmp_ne_u32_e64 s3, 32, v1
	v_cmp_ne_u32_e64 s4, v112, v1
	s_delay_alu instid0(VALU_DEP_4)
	v_add_co_ci_u32_e64 v135, s10, 0, v10, s10
	v_cmp_eq_u64_e64 s10, 0, v[82:83]
	v_cmp_le_i32_e64 s6, v118, v26
	v_cmp_lt_i32_e64 s7, v118, v26
	v_ashrrev_i32_e32 v130, 31, v119
	v_ashrrev_i32_e32 v144, 31, v133
	s_ashr_i32 s19, s11, 8
	s_mov_b32 s18, 0
	s_xor_b32 s20, vcc_lo, -1
.LBB6_53:                               ; =>This Loop Header: Depth=1
                                        ;     Child Loop BB6_63 Depth 2
                                        ;     Child Loop BB6_95 Depth 2
	;; [unrolled: 1-line block ×10, first 2 shown]
	v_sub_co_u32 v10, vcc_lo, v4, v84
	v_sub_co_ci_u32_e32 v11, vcc_lo, v5, v85, vcc_lo
	v_mov_b32_e32 v12, 0
	s_delay_alu instid0(VALU_DEP_2) | instskip(SKIP_2) | instid1(VALU_DEP_2)
	v_cmp_lt_u64_e32 vcc_lo, v[80:81], v[10:11]
	v_cndmask_b32_e32 v86, v10, v80, vcc_lo
	v_cndmask_b32_e64 v87, v11, 0, vcc_lo
	v_add_nc_u32_e32 v10, 15, v86
	s_delay_alu instid0(VALU_DEP_2) | instskip(NEXT) | instid1(VALU_DEP_2)
	v_cmp_eq_u64_e32 vcc_lo, 0, v[86:87]
	v_and_b32_e32 v10, 0x7ffffff0, v10
	s_or_b32 s21, s2, vcc_lo
	s_delay_alu instid0(SALU_CYCLE_1) | instskip(NEXT) | instid1(VALU_DEP_1)
	s_xor_b32 s11, s21, -1
	v_max_i32_e32 v96, s19, v10
	s_and_saveexec_b32 s22, s11
	s_cbranch_execz .LBB6_2906
; %bb.54:                               ;   in Loop: Header=BB6_53 Depth=1
	s_and_saveexec_b32 s11, s0
	s_cbranch_execz .LBB6_57
; %bb.55:                               ;   in Loop: Header=BB6_53 Depth=1
	s_cbranch_execz .LBB6_56
; %bb.6397:
	s_getpc_b64 s[34:35]
.Lpost_getpc52:
	s_add_u32 s34, s34, (.LBB6_6148-.Lpost_getpc52)&4294967295
	s_addc_u32 s35, s35, (.LBB6_6148-.Lpost_getpc52)>>32
	s_setpc_b64 s[34:35]
.LBB6_56:                               ;   in Loop: Header=BB6_53 Depth=1
	ds_load_b64 v[10:11], v0
	v_mov_b32_e32 v29, v30
	s_waitcnt lgkmcnt(0)
	v_add_co_u32 v10, vcc_lo, v10, v52
	v_add_co_ci_u32_e32 v11, vcc_lo, v11, v53, vcc_lo
	s_delay_alu instid0(VALU_DEP_2) | instskip(NEXT) | instid1(VALU_DEP_2)
	v_add_co_u32 v10, vcc_lo, v10, v84
	v_add_co_ci_u32_e32 v11, vcc_lo, v11, v85, vcc_lo
	ds_store_b64 v0, v[10:11]
	ds_store_b64 v0, v[29:30]
.LBB6_57:                               ;   in Loop: Header=BB6_53 Depth=1
	s_or_b32 exec_lo, exec_lo, s11
	v_and_b32_e32 v10, 12, v103
	s_mov_b32 s12, -1
	s_mov_b32 s11, exec_lo
	s_delay_alu instid0(VALU_DEP_1)
	v_cmpx_ne_u32_e32 0, v10
	s_cbranch_execz .LBB6_71
; %bb.58:                               ;   in Loop: Header=BB6_53 Depth=1
	v_and_b32_e32 v12, 8, v103
	s_delay_alu instid0(VALU_DEP_1) | instskip(SKIP_4) | instid1(VALU_DEP_1)
	v_add_co_u32 v13, vcc_lo, v68, v12
	v_add_co_ci_u32_e32 v14, vcc_lo, 0, v69, vcc_lo
	s_waitcnt lgkmcnt(0)
	v_add_co_u32 v10, vcc_lo, v8, 1
	v_add_co_ci_u32_e32 v11, vcc_lo, 0, v9, vcc_lo
	v_cmp_lt_u64_e32 vcc_lo, v[13:14], v[10:11]
	v_mov_b32_e32 v13, 1
	s_and_saveexec_b32 s12, vcc_lo
	s_cbranch_execz .LBB6_70
; %bb.59:                               ;   in Loop: Header=BB6_53 Depth=1
	v_mov_b32_e32 v13, 0
	s_mov_b32 s23, 0
                                        ; implicit-def: $sgpr24
	s_branch .LBB6_63
.LBB6_60:                               ;   in Loop: Header=BB6_63 Depth=2
	s_or_b32 exec_lo, exec_lo, s28
	v_mov_b32_e32 v14, 0
	s_or_not1_b32 s27, s27, exec_lo
.LBB6_61:                               ;   in Loop: Header=BB6_63 Depth=2
	s_or_b32 exec_lo, exec_lo, s26
	s_delay_alu instid0(VALU_DEP_1) | instskip(SKIP_2) | instid1(SALU_CYCLE_1)
	v_mov_b32_e32 v13, v14
	s_and_not1_b32 s24, s24, exec_lo
	s_and_b32 s26, s27, exec_lo
	s_or_b32 s24, s24, s26
.LBB6_62:                               ;   in Loop: Header=BB6_63 Depth=2
	s_or_b32 exec_lo, exec_lo, s25
	s_waitcnt vmcnt(0) lgkmcnt(0)
	v_add_co_u32 v14, vcc_lo, v68, v12
	v_add_co_ci_u32_e32 v15, vcc_lo, 0, v69, vcc_lo
	s_xor_b32 s25, s24, -1
	s_delay_alu instid0(VALU_DEP_1) | instskip(SKIP_1) | instid1(SALU_CYCLE_1)
	v_cmp_ge_u64_e32 vcc_lo, v[14:15], v[10:11]
	s_or_b32 s25, s25, vcc_lo
	s_and_b32 s25, exec_lo, s25
	s_delay_alu instid0(SALU_CYCLE_1) | instskip(NEXT) | instid1(SALU_CYCLE_1)
	s_or_b32 s23, s25, s23
	s_and_not1_b32 exec_lo, exec_lo, s23
	s_cbranch_execz .LBB6_69
.LBB6_63:                               ;   Parent Loop BB6_53 Depth=1
                                        ; =>  This Inner Loop Header: Depth=2
	s_sleep 1
	flat_load_b64 v[68:69], v[64:65] glc
	v_and_b32_e32 v14, 64, v103
	s_and_not1_b32 s24, s24, exec_lo
	s_mov_b32 s25, exec_lo
	s_delay_alu instid0(VALU_DEP_1)
	v_cmpx_eq_u32_e32 0, v14
	s_cbranch_execz .LBB6_62
; %bb.64:                               ;   in Loop: Header=BB6_63 Depth=2
	v_add_nc_u32_e32 v14, 1, v13
	s_mov_b32 s27, -1
	s_mov_b32 s26, exec_lo
	v_cmpx_lt_i32_e32 0x270e, v13
	s_cbranch_execz .LBB6_61
; %bb.65:                               ;   in Loop: Header=BB6_63 Depth=2
	s_cbranch_execz .LBB6_66
; %bb.6399:
	s_getpc_b64 s[34:35]
.Lpost_getpc53:
	s_add_u32 s34, s34, (.LBB6_6170-.Lpost_getpc53)&4294967295
	s_addc_u32 s35, s35, (.LBB6_6170-.Lpost_getpc53)>>32
	s_setpc_b64 s[34:35]
.LBB6_66:                               ;   in Loop: Header=BB6_63 Depth=2
	ds_load_b64 v[13:14], v0
	s_mov_b32 s28, exec_lo
	s_waitcnt vmcnt(0) lgkmcnt(0)
	s_waitcnt_vscnt null, 0x0
	flat_load_b32 v13, v[13:14] glc
	s_waitcnt vmcnt(0) lgkmcnt(0)
	buffer_gl1_inv
	buffer_gl0_inv
	v_cmpx_ne_u32_e32 0, v13
	s_cbranch_execz .LBB6_60
; %bb.67:                               ;   in Loop: Header=BB6_63 Depth=2
	ds_store_b32 v0, v13
	s_cbranch_execz .LBB6_68
; %bb.6401:
	s_getpc_b64 s[34:35]
.Lpost_getpc54:
	s_add_u32 s34, s34, (.LBB6_6203-.Lpost_getpc54)&4294967295
	s_addc_u32 s35, s35, (.LBB6_6203-.Lpost_getpc54)>>32
	s_setpc_b64 s[34:35]
.LBB6_68:                               ;   in Loop: Header=BB6_63 Depth=2
	v_or_b32_e32 v103, 64, v103
	s_xor_b32 s27, exec_lo, -1
	s_branch .LBB6_60
.LBB6_69:                               ;   in Loop: Header=BB6_53 Depth=1
	s_or_b32 exec_lo, exec_lo, s23
	v_and_b32_e32 v13, 12, v103
.LBB6_70:                               ;   in Loop: Header=BB6_53 Depth=1
	s_or_b32 exec_lo, exec_lo, s12
	s_delay_alu instid0(VALU_DEP_1)
	v_cmp_eq_u32_e32 vcc_lo, 0, v13
	;;#ASMSTART
	s_wakeup
	;;#ASMEND
	s_or_not1_b32 s12, vcc_lo, exec_lo
.LBB6_71:                               ;   in Loop: Header=BB6_53 Depth=1
	s_or_b32 exec_lo, exec_lo, s11
	v_min_u32_e32 v96, v96, v86
	s_xor_b32 s11, s12, -1
	s_delay_alu instid0(SALU_CYCLE_1)
	s_and_saveexec_b32 s12, s11
	s_cbranch_execz .LBB6_86
; %bb.72:                               ;   in Loop: Header=BB6_53 Depth=1
	v_and_b32_e32 v10, 0x108, v103
	s_mov_b32 s11, exec_lo
	s_delay_alu instid0(VALU_DEP_1)
	v_cmpx_ne_u32_e32 0x108, v10
	s_xor_b32 s11, exec_lo, s11
                                        ; implicit-def: $vgpr10_vgpr11
	s_cbranch_execz .LBB6_74
; %bb.73:                               ;   in Loop: Header=BB6_53 Depth=1
	s_waitcnt lgkmcnt(0)
	v_and_b32_e32 v10, 7, v8
.LBB6_74:                               ;   in Loop: Header=BB6_53 Depth=1
	s_and_not1_saveexec_b32 s11, s11
	s_cbranch_execz .LBB6_76
; %bb.75:                               ;   in Loop: Header=BB6_53 Depth=1
	s_waitcnt lgkmcnt(0)
	v_dual_mov_b32 v97, v30 :: v_dual_and_b32 v10, 7, v8
	s_delay_alu instid0(VALU_DEP_1)
	v_mad_u64_u32 v[11:12], null, v10, 24, v[6:7]
	flat_store_b64 v[11:12], v[96:97] offset:8
.LBB6_76:                               ;   in Loop: Header=BB6_53 Depth=1
	s_or_b32 exec_lo, exec_lo, s11
	v_and_b32_e32 v11, 0x100, v103
	s_mov_b32 s11, -1
	s_delay_alu instid0(VALU_DEP_1)
	v_cmp_ne_u32_e32 vcc_lo, 0, v11
                                        ; implicit-def: $vgpr11_vgpr12
	s_and_saveexec_b32 s23, vcc_lo
	s_cbranch_execnz .LBB6_79
; %bb.77:                               ;   in Loop: Header=BB6_53 Depth=1
	s_or_b32 exec_lo, exec_lo, s23
	s_and_saveexec_b32 s23, s11
	s_cbranch_execnz .LBB6_82
.LBB6_78:                               ;   in Loop: Header=BB6_53 Depth=1
	s_or_b32 exec_lo, exec_lo, s23
	s_cbranch_execz .LBB6_83
; %bb.6403:
	s_getpc_b64 s[34:35]
.Lpost_getpc55:
	s_add_u32 s34, s34, (.LBB6_6164-.Lpost_getpc55)&4294967295
	s_addc_u32 s35, s35, (.LBB6_6164-.Lpost_getpc55)>>32
	s_setpc_b64 s[34:35]
.LBB6_79:                               ;   in Loop: Header=BB6_53 Depth=1
	v_mad_u64_u32 v[13:14], null, v10, 24, v[6:7]
	s_delay_alu instid0(VALU_DEP_1) | instskip(NEXT) | instid1(VALU_DEP_1)
	v_mov_b32_e32 v11, v14
	v_mad_u64_u32 v[14:15], null, v30, 24, v[11:12]
	flat_load_b32 v11, v[13:14]
	s_waitcnt vmcnt(0) lgkmcnt(0)
	v_cmp_ne_u32_e32 vcc_lo, 1, v11
	v_cmp_eq_u32_e64 s11, 1, v11
                                        ; implicit-def: $vgpr11_vgpr12
	s_delay_alu instid0(VALU_DEP_1)
	s_and_saveexec_b32 s24, s11
	s_cbranch_execz .LBB6_81
; %bb.80:                               ;   in Loop: Header=BB6_53 Depth=1
	flat_load_b32 v11, v[13:14] offset:4 glc
	s_waitcnt vmcnt(0) lgkmcnt(0)
	v_ashrrev_i32_e32 v12, 31, v11
.LBB6_81:                               ;   in Loop: Header=BB6_53 Depth=1
	s_or_b32 exec_lo, exec_lo, s24
	s_delay_alu instid0(SALU_CYCLE_1)
	s_or_not1_b32 s11, vcc_lo, exec_lo
	s_or_b32 exec_lo, exec_lo, s23
	s_and_saveexec_b32 s23, s11
	s_cbranch_execz .LBB6_78
.LBB6_82:                               ;   in Loop: Header=BB6_53 Depth=1
	v_mul_lo_u32 v13, v30, v113
	v_mul_lo_u32 v14, v10, v114
	v_mad_u64_u32 v[11:12], null, v10, v113, 0
	s_delay_alu instid0(VALU_DEP_1)
	v_add3_u32 v12, v12, v14, v13
	s_or_b32 exec_lo, exec_lo, s23
	s_cbranch_execz .LBB6_83
; %bb.6405:
	s_getpc_b64 s[34:35]
.Lpost_getpc56:
	s_add_u32 s34, s34, (.LBB6_6164-.Lpost_getpc56)&4294967295
	s_addc_u32 s35, s35, (.LBB6_6164-.Lpost_getpc56)>>32
	s_setpc_b64 s[34:35]
.LBB6_83:                               ;   in Loop: Header=BB6_53 Depth=1
	s_waitcnt lgkmcnt(0)
	s_delay_alu instid0(VALU_DEP_2)
	v_add_co_u32 v10, vcc_lo, v66, v11
	v_and_b32_e32 v13, 0x2000, v103
	v_add_co_ci_u32_e32 v11, vcc_lo, v67, v12, vcc_lo
	s_mov_b32 s11, exec_lo
	ds_store_b64 v0, v[10:11]
	v_cmpx_ne_u32_e32 0, v13
	s_cbranch_execz .LBB6_85
; %bb.84:                               ;   in Loop: Header=BB6_53 Depth=1
	ds_load_b64 v[10:11], v0 offset:584
	s_waitcnt lgkmcnt(0)
	v_add_co_u32 v10, vcc_lo, v10, 1
	v_add_co_ci_u32_e32 v11, vcc_lo, 0, v11, vcc_lo
	ds_store_b64 v0, v[10:11] offset:584
.LBB6_85:                               ;   in Loop: Header=BB6_53 Depth=1
	s_or_b32 exec_lo, exec_lo, s11
	v_add_co_u32 v8, vcc_lo, v8, 1
	v_add_co_ci_u32_e32 v9, vcc_lo, 0, v9, vcc_lo
.LBB6_86:                               ;   in Loop: Header=BB6_53 Depth=1
	s_or_b32 exec_lo, exec_lo, s12
	s_and_saveexec_b32 s11, s3
	s_cbranch_execz .LBB6_108
; %bb.87:                               ;   in Loop: Header=BB6_53 Depth=1
	s_and_saveexec_b32 s12, s4
	s_delay_alu instid0(SALU_CYCLE_1)
	s_xor_b32 s12, exec_lo, s12
	s_cbranch_execz .LBB6_105
; %bb.88:                               ;   in Loop: Header=BB6_53 Depth=1
	s_and_saveexec_b32 s23, s5
	s_cbranch_execz .LBB6_104
; %bb.89:                               ;   in Loop: Header=BB6_53 Depth=1
	s_mov_b32 s25, exec_lo
	s_mov_b32 s24, exec_lo
	v_mbcnt_lo_u32_b32 v10, s25, 0
	s_waitcnt lgkmcnt(0)
	s_waitcnt_vscnt null, 0x0
	buffer_gl1_inv
	buffer_gl0_inv
	v_cmpx_eq_u32_e32 0, v10
	s_cbranch_execz .LBB6_91
; %bb.90:                               ;   in Loop: Header=BB6_53 Depth=1
	s_bcnt1_i32_b32 s25, s25
	s_delay_alu instid0(SALU_CYCLE_1)
	v_mov_b32_e32 v29, s25
	ds_add_u64 v0, v[29:30]
	s_cbranch_execz .LBB6_91
; %bb.6407:
	s_getpc_b64 s[34:35]
.Lpost_getpc57:
	s_add_u32 s34, s34, (.LBB6_6229-.Lpost_getpc57)&4294967295
	s_addc_u32 s35, s35, (.LBB6_6229-.Lpost_getpc57)>>32
	s_setpc_b64 s[34:35]
.LBB6_91:                               ;   in Loop: Header=BB6_53 Depth=1
	s_or_b32 exec_lo, exec_lo, s24
	s_cbranch_execz .LBB6_92
; %bb.6409:
	s_getpc_b64 s[34:35]
.Lpost_getpc58:
	s_add_u32 s34, s34, (.LBB6_6217-.Lpost_getpc58)&4294967295
	s_addc_u32 s35, s35, (.LBB6_6217-.Lpost_getpc58)>>32
	s_setpc_b64 s[34:35]
.LBB6_92:                               ;   in Loop: Header=BB6_53 Depth=1
	ds_load_b64 v[10:11], v0
	v_add_co_u32 v70, vcc_lo, v70, v115
	v_add_co_ci_u32_e32 v71, vcc_lo, 0, v71, vcc_lo
	s_mov_b32 s24, exec_lo
	s_waitcnt lgkmcnt(0)
	s_delay_alu instid0(VALU_DEP_1)
	v_cmpx_lt_u64_e64 v[10:11], v[70:71]
	s_cbranch_execz .LBB6_103
; %bb.93:                               ;   in Loop: Header=BB6_53 Depth=1
	s_mov_b32 s25, 0
	s_mov_b32 s28, 0
                                        ; implicit-def: $sgpr26
                                        ; implicit-def: $sgpr27
	s_branch .LBB6_95
.LBB6_94:                               ;   in Loop: Header=BB6_95 Depth=2
	s_or_b32 exec_lo, exec_lo, vcc_hi
	s_delay_alu instid0(SALU_CYCLE_1) | instskip(NEXT) | instid1(SALU_CYCLE_1)
	s_and_b32 s29, exec_lo, vcc_lo
	s_or_b32 s25, s29, s25
	s_and_not1_b32 s26, s26, exec_lo
	s_and_b32 s29, s27, exec_lo
	s_delay_alu instid0(SALU_CYCLE_1)
	s_or_b32 s26, s26, s29
	s_and_not1_b32 exec_lo, exec_lo, s25
	s_cbranch_execz .LBB6_101
.LBB6_95:                               ;   Parent Loop BB6_53 Depth=1
                                        ; =>  This Inner Loop Header: Depth=2
	s_add_i32 s28, s28, 1
                                        ; implicit-def: $vcc_hi
	s_delay_alu instid0(SALU_CYCLE_1) | instskip(SKIP_1) | instid1(SALU_CYCLE_1)
	s_cmpk_lg_i32 s28, 0x2710
	s_cselect_b32 s29, -1, 0
	s_and_b32 vcc_lo, exec_lo, s29
	s_cbranch_vccz .LBB6_99
.LBB6_96:                               ;   in Loop: Header=BB6_95 Depth=2
	s_and_not1_b32 s27, s27, exec_lo
	s_and_b32 vcc_hi, vcc_hi, exec_lo
	s_mov_b32 vcc_lo, -1
	s_or_b32 s27, s27, vcc_hi
	s_and_saveexec_b32 vcc_hi, s29
	s_cbranch_execz .LBB6_94
; %bb.97:                               ;   in Loop: Header=BB6_95 Depth=2
	s_sleep 1
	s_cbranch_execz .LBB6_98
; %bb.6411:
	s_getpc_b64 s[34:35]
.Lpost_getpc59:
	s_add_u32 s34, s34, (.LBB6_6261-.Lpost_getpc59)&4294967295
	s_addc_u32 s35, s35, (.LBB6_6261-.Lpost_getpc59)>>32
	s_setpc_b64 s[34:35]
.LBB6_98:                               ;   in Loop: Header=BB6_95 Depth=2
	ds_load_b64 v[10:11], v0
	s_and_not1_b32 s27, s27, exec_lo
	s_waitcnt lgkmcnt(0)
	v_cmp_ge_u64_e32 vcc_lo, v[10:11], v[70:71]
	s_or_not1_b32 vcc_lo, vcc_lo, exec_lo
	s_branch .LBB6_94
.LBB6_99:                               ;   in Loop: Header=BB6_95 Depth=2
	s_cbranch_execz .LBB6_100
; %bb.6413:
	s_getpc_b64 s[34:35]
.Lpost_getpc60:
	s_add_u32 s34, s34, (.LBB6_6275-.Lpost_getpc60)&4294967295
	s_addc_u32 s35, s35, (.LBB6_6275-.Lpost_getpc60)>>32
	s_setpc_b64 s[34:35]
.LBB6_100:                              ;   in Loop: Header=BB6_95 Depth=2
	ds_load_b64 v[10:11], v0
	s_and_not1_b32 s29, s29, exec_lo
	s_mov_b32 s28, 0
	s_waitcnt lgkmcnt(0)
	flat_load_b32 v10, v[10:11] glc
	s_waitcnt vmcnt(0) lgkmcnt(0)
	buffer_gl1_inv
	buffer_gl0_inv
	v_cmp_eq_u32_e32 vcc_lo, 0, v10
	s_mov_b32 vcc_hi, -1
	s_and_b32 vcc_lo, vcc_lo, exec_lo
	s_delay_alu instid0(SALU_CYCLE_1)
	s_or_b32 s29, s29, vcc_lo
	s_branch .LBB6_96
.LBB6_101:                              ;   in Loop: Header=BB6_53 Depth=1
	s_or_b32 exec_lo, exec_lo, s25
	s_and_saveexec_b32 s25, s26
	s_delay_alu instid0(SALU_CYCLE_1)
	s_xor_b32 s25, exec_lo, s25
	s_cbranch_execz .LBB6_103
; %bb.102:                              ;   in Loop: Header=BB6_53 Depth=1
	ds_store_b32 v0, v145
	s_cbranch_execz .LBB6_103
; %bb.6415:
	s_getpc_b64 s[34:35]
.Lpost_getpc61:
	s_add_u32 s34, s34, (.LBB6_6347-.Lpost_getpc61)&4294967295
	s_addc_u32 s35, s35, (.LBB6_6347-.Lpost_getpc61)>>32
	s_setpc_b64 s[34:35]
.LBB6_103:                              ;   in Loop: Header=BB6_53 Depth=1
	s_or_b32 exec_lo, exec_lo, s24
	;;#ASMSTART
	s_wakeup
	;;#ASMEND
.LBB6_104:                              ;   in Loop: Header=BB6_53 Depth=1
	s_or_b32 exec_lo, exec_lo, s23
.LBB6_105:                              ;   in Loop: Header=BB6_53 Depth=1
	s_and_not1_saveexec_b32 s12, s12
	s_cbranch_execz .LBB6_107
; %bb.106:                              ;   in Loop: Header=BB6_53 Depth=1
	s_waitcnt lgkmcnt(0)
	s_waitcnt_vscnt null, 0x0
	buffer_gl1_inv
	buffer_gl0_inv
	s_barrier
.LBB6_107:                              ;   in Loop: Header=BB6_53 Depth=1
	s_or_b32 exec_lo, exec_lo, s12
.LBB6_108:                              ;   in Loop: Header=BB6_53 Depth=1
	s_delay_alu instid0(SALU_CYCLE_1)
	s_or_b32 exec_lo, exec_lo, s11
	s_cbranch_execz .LBB6_109
; %bb.6417:
	s_getpc_b64 s[34:35]
.Lpost_getpc62:
	s_add_u32 s34, s34, (.LBB6_6154-.Lpost_getpc62)&4294967295
	s_addc_u32 s35, s35, (.LBB6_6154-.Lpost_getpc62)>>32
	s_setpc_b64 s[34:35]
.LBB6_109:                              ;   in Loop: Header=BB6_53 Depth=1
	ds_load_b32 v10, v0
	v_and_b32_e32 v11, 0x4000, v103
	s_delay_alu instid0(VALU_DEP_1) | instskip(SKIP_1) | instid1(SALU_CYCLE_1)
	v_cmp_ne_u32_e32 vcc_lo, 0, v11
	s_and_b32 s12, s20, vcc_lo
	s_and_saveexec_b32 s11, s12
	s_cbranch_execz .LBB6_131
; %bb.110:                              ;   in Loop: Header=BB6_53 Depth=1
	s_and_saveexec_b32 s12, s4
	s_delay_alu instid0(SALU_CYCLE_1)
	s_xor_b32 s12, exec_lo, s12
	s_cbranch_execz .LBB6_128
; %bb.111:                              ;   in Loop: Header=BB6_53 Depth=1
	s_and_saveexec_b32 s23, s5
	s_cbranch_execz .LBB6_127
; %bb.112:                              ;   in Loop: Header=BB6_53 Depth=1
	s_mov_b32 s25, exec_lo
	s_mov_b32 s24, exec_lo
	v_mbcnt_lo_u32_b32 v11, s25, 0
	s_waitcnt lgkmcnt(0)
	s_waitcnt_vscnt null, 0x0
	buffer_gl1_inv
	buffer_gl0_inv
	v_cmpx_eq_u32_e32 0, v11
	s_cbranch_execz .LBB6_114
; %bb.113:                              ;   in Loop: Header=BB6_53 Depth=1
	s_bcnt1_i32_b32 s25, s25
	s_delay_alu instid0(SALU_CYCLE_1)
	v_mov_b32_e32 v29, s25
	ds_add_u64 v0, v[29:30]
	s_cbranch_execz .LBB6_114
; %bb.6419:
	s_getpc_b64 s[34:35]
.Lpost_getpc63:
	s_add_u32 s34, s34, (.LBB6_6257-.Lpost_getpc63)&4294967295
	s_addc_u32 s35, s35, (.LBB6_6257-.Lpost_getpc63)>>32
	s_setpc_b64 s[34:35]
.LBB6_114:                              ;   in Loop: Header=BB6_53 Depth=1
	s_or_b32 exec_lo, exec_lo, s24
	s_cbranch_execz .LBB6_115
; %bb.6421:
	s_getpc_b64 s[34:35]
.Lpost_getpc64:
	s_add_u32 s34, s34, (.LBB6_6245-.Lpost_getpc64)&4294967295
	s_addc_u32 s35, s35, (.LBB6_6245-.Lpost_getpc64)>>32
	s_setpc_b64 s[34:35]
.LBB6_115:                              ;   in Loop: Header=BB6_53 Depth=1
	ds_load_b64 v[11:12], v0
	v_add_co_u32 v70, vcc_lo, v70, v115
	v_add_co_ci_u32_e32 v71, vcc_lo, 0, v71, vcc_lo
	s_mov_b32 s24, exec_lo
	s_waitcnt lgkmcnt(0)
	s_delay_alu instid0(VALU_DEP_1)
	v_cmpx_lt_u64_e64 v[11:12], v[70:71]
	s_cbranch_execz .LBB6_126
; %bb.116:                              ;   in Loop: Header=BB6_53 Depth=1
	s_mov_b32 s25, 0
	s_mov_b32 s28, 0
                                        ; implicit-def: $sgpr26
                                        ; implicit-def: $sgpr27
	s_branch .LBB6_118
.LBB6_117:                              ;   in Loop: Header=BB6_118 Depth=2
	s_or_b32 exec_lo, exec_lo, vcc_hi
	s_delay_alu instid0(SALU_CYCLE_1) | instskip(NEXT) | instid1(SALU_CYCLE_1)
	s_and_b32 s29, exec_lo, vcc_lo
	s_or_b32 s25, s29, s25
	s_and_not1_b32 s26, s26, exec_lo
	s_and_b32 s29, s27, exec_lo
	s_delay_alu instid0(SALU_CYCLE_1)
	s_or_b32 s26, s26, s29
	s_and_not1_b32 exec_lo, exec_lo, s25
	s_cbranch_execz .LBB6_124
.LBB6_118:                              ;   Parent Loop BB6_53 Depth=1
                                        ; =>  This Inner Loop Header: Depth=2
	s_add_i32 s28, s28, 1
                                        ; implicit-def: $vcc_hi
	s_delay_alu instid0(SALU_CYCLE_1) | instskip(SKIP_1) | instid1(SALU_CYCLE_1)
	s_cmpk_lg_i32 s28, 0x2710
	s_cselect_b32 s29, -1, 0
	s_and_b32 vcc_lo, exec_lo, s29
	s_cbranch_vccz .LBB6_122
.LBB6_119:                              ;   in Loop: Header=BB6_118 Depth=2
	s_and_not1_b32 s27, s27, exec_lo
	s_and_b32 vcc_hi, vcc_hi, exec_lo
	s_mov_b32 vcc_lo, -1
	s_or_b32 s27, s27, vcc_hi
	s_and_saveexec_b32 vcc_hi, s29
	s_cbranch_execz .LBB6_117
; %bb.120:                              ;   in Loop: Header=BB6_118 Depth=2
	s_sleep 1
	s_cbranch_execz .LBB6_121
; %bb.6423:
	s_getpc_b64 s[34:35]
.Lpost_getpc65:
	s_add_u32 s34, s34, (.LBB6_6311-.Lpost_getpc65)&4294967295
	s_addc_u32 s35, s35, (.LBB6_6311-.Lpost_getpc65)>>32
	s_setpc_b64 s[34:35]
.LBB6_121:                              ;   in Loop: Header=BB6_118 Depth=2
	ds_load_b64 v[11:12], v0
	s_and_not1_b32 s27, s27, exec_lo
	s_waitcnt lgkmcnt(0)
	v_cmp_ge_u64_e32 vcc_lo, v[11:12], v[70:71]
	s_or_not1_b32 vcc_lo, vcc_lo, exec_lo
	s_branch .LBB6_117
.LBB6_122:                              ;   in Loop: Header=BB6_118 Depth=2
	s_cbranch_execz .LBB6_123
; %bb.6425:
	s_getpc_b64 s[34:35]
.Lpost_getpc66:
	s_add_u32 s34, s34, (.LBB6_6319-.Lpost_getpc66)&4294967295
	s_addc_u32 s35, s35, (.LBB6_6319-.Lpost_getpc66)>>32
	s_setpc_b64 s[34:35]
.LBB6_123:                              ;   in Loop: Header=BB6_118 Depth=2
	ds_load_b64 v[11:12], v0
	s_and_not1_b32 s29, s29, exec_lo
	s_mov_b32 s28, 0
	s_waitcnt lgkmcnt(0)
	flat_load_b32 v11, v[11:12] glc
	s_waitcnt vmcnt(0) lgkmcnt(0)
	buffer_gl1_inv
	buffer_gl0_inv
	v_cmp_eq_u32_e32 vcc_lo, 0, v11
	s_mov_b32 vcc_hi, -1
	s_and_b32 vcc_lo, vcc_lo, exec_lo
	s_delay_alu instid0(SALU_CYCLE_1)
	s_or_b32 s29, s29, vcc_lo
	s_branch .LBB6_119
.LBB6_124:                              ;   in Loop: Header=BB6_53 Depth=1
	s_or_b32 exec_lo, exec_lo, s25
	s_and_saveexec_b32 s25, s26
	s_delay_alu instid0(SALU_CYCLE_1)
	s_xor_b32 s25, exec_lo, s25
	s_cbranch_execz .LBB6_126
; %bb.125:                              ;   in Loop: Header=BB6_53 Depth=1
	ds_store_b32 v0, v145
	s_cbranch_execz .LBB6_126
; %bb.6427:
	s_getpc_b64 s[34:35]
.Lpost_getpc67:
	s_add_u32 s34, s34, (.LBB6_6357-.Lpost_getpc67)&4294967295
	s_addc_u32 s35, s35, (.LBB6_6357-.Lpost_getpc67)>>32
	s_setpc_b64 s[34:35]
.LBB6_126:                              ;   in Loop: Header=BB6_53 Depth=1
	s_or_b32 exec_lo, exec_lo, s24
	;;#ASMSTART
	s_wakeup
	;;#ASMEND
.LBB6_127:                              ;   in Loop: Header=BB6_53 Depth=1
	s_or_b32 exec_lo, exec_lo, s23
.LBB6_128:                              ;   in Loop: Header=BB6_53 Depth=1
	s_and_not1_saveexec_b32 s12, s12
	s_cbranch_execz .LBB6_130
; %bb.129:                              ;   in Loop: Header=BB6_53 Depth=1
	s_waitcnt lgkmcnt(0)
	s_waitcnt_vscnt null, 0x0
	buffer_gl1_inv
	buffer_gl0_inv
	s_barrier
.LBB6_130:                              ;   in Loop: Header=BB6_53 Depth=1
	s_or_b32 exec_lo, exec_lo, s12
.LBB6_131:                              ;   in Loop: Header=BB6_53 Depth=1
	s_delay_alu instid0(SALU_CYCLE_1)
	s_or_b32 exec_lo, exec_lo, s11
	s_cbranch_execz .LBB6_132
; %bb.6429:
	s_getpc_b64 s[34:35]
.Lpost_getpc68:
	s_add_u32 s34, s34, (.LBB6_6189-.Lpost_getpc68)&4294967295
	s_addc_u32 s35, s35, (.LBB6_6189-.Lpost_getpc68)>>32
	s_setpc_b64 s[34:35]
.LBB6_132:                              ;   in Loop: Header=BB6_53 Depth=1
	ds_load_b64 v[11:12], v0
	s_waitcnt lgkmcnt(0)
	v_cmp_eq_u64_e32 vcc_lo, 0, v[11:12]
	s_or_b32 s11, vcc_lo, vcc_lo
	s_delay_alu instid0(SALU_CYCLE_1)
	s_and_b32 vcc_lo, exec_lo, s11
	s_mov_b32 s11, 0
	s_cbranch_vccnz .LBB6_2877
; %bb.133:                              ;   in Loop: Header=BB6_53 Depth=1
	s_mov_b32 s11, -1
	s_and_saveexec_b32 s12, s6
	s_cbranch_execz .LBB6_135
; %bb.134:                              ;   in Loop: Header=BB6_53 Depth=1
	ds_load_b32 v11, v0 offset:720
	s_waitcnt lgkmcnt(0)
	v_and_b32_e32 v11, 15, v11
	s_delay_alu instid0(VALU_DEP_1)
	v_cmp_eq_u32_e32 vcc_lo, 0, v11
	s_or_not1_b32 s11, vcc_lo, exec_lo
.LBB6_135:                              ;   in Loop: Header=BB6_53 Depth=1
	s_or_b32 exec_lo, exec_lo, s12
	s_and_saveexec_b32 s12, s7
	s_cbranch_execz .LBB6_137
; %bb.136:                              ;   in Loop: Header=BB6_53 Depth=1
	ds_load_b32 v11, v0 offset:784
	s_waitcnt lgkmcnt(0)
	v_and_b32_e32 v11, 15, v11
	s_delay_alu instid0(VALU_DEP_1) | instskip(SKIP_3) | instid1(SALU_CYCLE_1)
	v_cmp_eq_u32_e32 vcc_lo, 0, v11
	s_and_b32 s23, s11, vcc_lo
	s_and_not1_b32 s11, s11, exec_lo
	s_and_b32 s23, s23, exec_lo
	s_or_b32 s11, s11, s23
.LBB6_137:                              ;   in Loop: Header=BB6_53 Depth=1
	s_or_b32 exec_lo, exec_lo, s12
	v_cmp_eq_u32_e32 vcc_lo, 0, v10
	s_xor_b32 s11, s11, -1
	v_mov_b32_e32 v10, v116
	v_cndmask_b32_e64 v11, 0, 1, s11
	;;#ASMSTART
	;;#ASMEND
	v_dual_cndmask_b32 v87, 0, v96 :: v_dual_mov_b32 v16, 0
	s_delay_alu instid0(VALU_DEP_2) | instskip(SKIP_1) | instid1(VALU_DEP_2)
	v_cmp_ne_u32_e32 vcc_lo, 0, v11
	s_mov_b32 s11, -1
	v_dual_mov_b32 v18, v0 :: v_dual_mov_b32 v17, v87
	s_cbranch_vccnz .LBB6_2073
; %bb.138:                              ;   in Loop: Header=BB6_53 Depth=1
	v_lshrrev_b32_e32 v10, 11, v87
	s_mov_b32 s12, exec_lo
	s_delay_alu instid0(VALU_DEP_1) | instskip(NEXT) | instid1(VALU_DEP_1)
	v_sub_nc_u32_e32 v146, v10, v116
	v_cmpx_lt_i32_e32 0, v146
	s_cbranch_execz .LBB6_1679
; %bb.139:                              ;   in Loop: Header=BB6_53 Depth=1
	s_cbranch_execz .LBB6_140
; %bb.6431:
	s_getpc_b64 s[34:35]
.Lpost_getpc69:
	s_add_u32 s34, s34, (.LBB6_6279-.Lpost_getpc69)&4294967295
	s_addc_u32 s35, s35, (.LBB6_6279-.Lpost_getpc69)>>32
	s_setpc_b64 s[34:35]
.LBB6_140:                              ;   in Loop: Header=BB6_53 Depth=1
	ds_load_b128 v[10:13], v0
	ds_load_b64 v[14:15], v0
	s_mov_b32 s23, 0
	s_waitcnt lgkmcnt(1)
	v_add_co_u32 v97, vcc_lo, v10, v119
	v_add_co_ci_u32_e32 v98, vcc_lo, v11, v130, vcc_lo
	v_add_co_u32 v99, vcc_lo, v12, v119
	v_add_co_ci_u32_e32 v100, vcc_lo, v13, v130, vcc_lo
	s_waitcnt lgkmcnt(0)
	v_add_co_u32 v101, vcc_lo, v14, v119
	v_add_co_ci_u32_e32 v102, vcc_lo, v15, v130, vcc_lo
	s_branch .LBB6_144
.LBB6_141:                              ;   in Loop: Header=BB6_144 Depth=2
	s_or_b32 exec_lo, exec_lo, s11
	s_delay_alu instid0(VALU_DEP_1) | instskip(NEXT) | instid1(VALU_DEP_2)
	v_lshrrev_b32_e32 v60, 21, v60
	v_cmp_gt_i32_e32 vcc_lo, 32, v13
	v_min_i32_e32 v61, 31, v13
	v_lshrrev_b32_e32 v17, 24, v17
	s_delay_alu instid0(VALU_DEP_2) | instskip(NEXT) | instid1(VALU_DEP_2)
	v_dual_cndmask_b32 v60, 3, v60 :: v_dual_lshlrev_b32 v61, 2, v61
	v_and_b32_e32 v17, 0x80, v17
	s_delay_alu instid0(VALU_DEP_2) | instskip(NEXT) | instid1(VALU_DEP_3)
	v_or_b32_e32 v13, v13, v60
	v_and_b32_e32 v61, 0xfc, v61
	s_delay_alu instid0(VALU_DEP_2) | instskip(SKIP_1) | instid1(VALU_DEP_1)
	v_cmp_ne_u32_e32 vcc_lo, 0, v13
	v_and_b32_e32 v62, 3, v60
	v_or3_b32 v17, v17, v61, v62
	s_delay_alu instid0(VALU_DEP_1) | instskip(NEXT) | instid1(VALU_DEP_1)
	v_lshlrev_b32_e32 v17, 8, v17
	v_cndmask_b32_e32 v13, 0, v17, vcc_lo
.LBB6_142:                              ;   in Loop: Header=BB6_144 Depth=2
	s_or_b32 exec_lo, exec_lo, s25
.LBB6_143:                              ;   in Loop: Header=BB6_144 Depth=2
	s_delay_alu instid0(SALU_CYCLE_1)
	s_or_b32 exec_lo, exec_lo, s24
	v_or_b32_e32 v17, v19, v183
	v_and_b32_e32 v19, 0xff, v181
	v_lshlrev_b32_e32 v181, 24, v18
	v_lshlrev_b32_e32 v18, 8, v180
	v_and_b32_e32 v180, 0xff, v41
	v_lshlrev_b32_e32 v183, 8, v40
	v_and_b32_e32 v22, 0xff, v22
	v_lshlrev_b32_e32 v17, 16, v17
	v_perm_b32 v35, v18, v35, 0xc0c0500
	v_or_b32_e32 v18, v21, v43
	v_lshlrev_b32_e32 v19, 16, v19
	v_lshlrev_b32_e32 v20, 24, v20
	;; [unrolled: 1-line block ×3, first 2 shown]
	v_perm_b32 v23, v183, v23, 0xc0c0500
	v_and_b32_e32 v24, 0xff, v24
	v_lshlrev_b32_e32 v180, 16, v18
	v_or3_b32 v18, v182, v22, v17
	v_or_b32_e32 v22, v27, v167
	v_or3_b32 v17, v181, v19, v35
	v_or3_b32 v19, v20, v21, v23
	;; [unrolled: 1-line block ×3, first 2 shown]
	v_and_b32_e32 v23, 0xff, v165
	v_lshlrev_b32_e32 v24, 8, v164
	v_and_b32_e32 v21, 0xff, v32
	v_lshlrev_b32_e32 v22, 16, v22
	v_lshlrev_b32_e32 v26, 24, v26
	v_and_b32_e32 v27, 0xff, v177
	v_lshlrev_b32_e32 v32, 8, v176
	v_lshlrev_b32_e32 v23, 16, v23
	v_perm_b32 v24, v24, v51, 0xc0c0500
	v_lshlrev_b32_e32 v28, 24, v28
	v_lshlrev_b32_e32 v27, 16, v27
	v_perm_b32 v32, v32, v33, 0xc0c0500
	v_or3_b32 v22, v166, v21, v22
	v_or_b32_e32 v29, v29, v179
	v_or3_b32 v21, v26, v23, v24
	v_or_b32_e32 v24, v37, v151
	v_or3_b32 v23, v28, v27, v32
	v_and_b32_e32 v26, 0xff, v34
	v_lshlrev_b32_e32 v27, 16, v29
	v_lshlrev_b32_e32 v32, 8, v148
	;; [unrolled: 1-line block ×3, first 2 shown]
	v_and_b32_e32 v24, 0xff, v149
	v_and_b32_e32 v34, 0xff, v161
	v_lshlrev_b32_e32 v35, 8, v160
	v_and_b32_e32 v28, 0xff, v48
	v_lshlrev_b32_e32 v33, 24, v36
	v_lshlrev_b32_e32 v36, 16, v24
	v_perm_b32 v32, v32, v147, 0xc0c0500
	v_lshlrev_b32_e32 v37, 24, v38
	v_lshlrev_b32_e32 v34, 16, v34
	v_perm_b32 v35, v35, v49, 0xc0c0500
	v_or3_b32 v24, v178, v26, v27
	v_or3_b32 v27, v150, v28, v29
	v_or_b32_e32 v29, v39, v163
	v_or3_b32 v26, v33, v36, v32
	v_or3_b32 v28, v37, v34, v35
	v_or_b32_e32 v11, v11, v47
	v_and_b32_e32 v33, 0xff, v45
	v_lshlrev_b32_e32 v34, 8, v44
	v_and_b32_e32 v35, 0xff, v57
	v_lshlrev_b32_e32 v36, 8, v56
	v_or_b32_e32 v13, v13, v59
	v_and_b32_e32 v32, 0xff, v50
	v_lshlrev_b32_e32 v29, 16, v29
	v_and_b32_e32 v14, 0xff, v14
	v_lshlrev_b32_e32 v11, 16, v11
	v_lshlrev_b32_e32 v10, 24, v10
	;; [unrolled: 1-line block ×3, first 2 shown]
	v_perm_b32 v25, v34, v25, 0xc0c0500
	v_lshlrev_b32_e32 v12, 24, v12
	v_lshlrev_b32_e32 v34, 16, v35
	v_perm_b32 v15, v36, v15, 0xc0c0500
	v_and_b32_e32 v16, 0xff, v16
	v_lshlrev_b32_e32 v13, 16, v13
	v_add_co_u32 v97, vcc_lo, v97, v128
	v_or3_b32 v29, v162, v32, v29
	v_sub_nc_u32_e32 v146, v146, v115
	v_add_co_ci_u32_e32 v98, vcc_lo, v98, v129, vcc_lo
	v_add_co_u32 v99, vcc_lo, v99, v128
	v_or3_b32 v11, v46, v14, v11
	v_or3_b32 v10, v10, v33, v25
	;; [unrolled: 1-line block ×4, first 2 shown]
	v_add_co_ci_u32_e32 v100, vcc_lo, v100, v129, vcc_lo
	s_clause 0x3
	global_store_b128 v[101:102], v[26:29], off glc slc dlc
	global_store_b128 v[101:102], v[21:24], off offset:512 glc slc dlc
	global_store_b128 v[101:102], v[17:20], off offset:1024 glc slc dlc
	;; [unrolled: 1-line block ×3, first 2 shown]
	v_cmp_gt_i32_e32 vcc_lo, 1, v146
	v_add_co_u32 v101, s11, v101, v128
	s_delay_alu instid0(VALU_DEP_1) | instskip(SKIP_1) | instid1(SALU_CYCLE_1)
	v_add_co_ci_u32_e64 v102, s11, v102, v129, s11
	s_or_b32 s23, vcc_lo, s23
	s_and_not1_b32 exec_lo, exec_lo, s23
	s_cbranch_execz .LBB6_1678
.LBB6_144:                              ;   Parent Loop BB6_53 Depth=1
                                        ; =>  This Inner Loop Header: Depth=2
	s_clause 0x3
	global_load_b128 v[48:51], v[97:98], off slc dlc
	global_load_b128 v[32:35], v[97:98], off offset:512 slc dlc
	global_load_b128 v[22:25], v[97:98], off offset:1024 slc dlc
	;; [unrolled: 1-line block ×3, first 2 shown]
	s_clause 0x3
	global_load_b128 v[36:39], v[99:100], off slc dlc
	global_load_b128 v[26:29], v[99:100], off offset:512 slc dlc
	global_load_b128 v[18:21], v[99:100], off offset:1024 slc dlc
	;; [unrolled: 1-line block ×3, first 2 shown]
	s_mov_b32 s11, 0
	s_mov_b32 s25, exec_lo
                                        ; implicit-def: $sgpr24
	s_waitcnt vmcnt(7)
	v_and_b32_e32 v148, 0xff, v48
	s_delay_alu instid0(VALU_DEP_1)
	v_cmpx_lt_i16_e64 0x7f, v148
	s_xor_b32 s25, exec_lo, s25
	s_cbranch_execnz .LBB6_1166
; %bb.145:                              ;   in Loop: Header=BB6_144 Depth=2
	s_or_saveexec_b32 s25, s25
	v_mov_b32_e32 v147, s24
	s_xor_b32 exec_lo, exec_lo, s25
	s_cbranch_execnz .LBB6_1169
.LBB6_146:                              ;   in Loop: Header=BB6_144 Depth=2
	s_or_b32 exec_lo, exec_lo, s25
	s_and_saveexec_b32 s24, s11
	s_cbranch_execz .LBB6_148
.LBB6_147:                              ;   in Loop: Header=BB6_144 Depth=2
	v_and_b32_e32 v147, 3, v48
	v_bfe_u32 v150, v48, 2, 5
	v_lshlrev_b32_e32 v151, 24, v48
	s_delay_alu instid0(VALU_DEP_3) | instskip(NEXT) | instid1(VALU_DEP_3)
	v_clz_i32_u32_e32 v148, v147
	v_cmp_eq_u32_e32 vcc_lo, 0, v150
	s_delay_alu instid0(VALU_DEP_2) | instskip(NEXT) | instid1(VALU_DEP_1)
	v_min_u32_e32 v148, 32, v148
	v_subrev_nc_u32_e32 v149, 29, v148
	v_sub_nc_u32_e32 v148, 30, v148
	s_delay_alu instid0(VALU_DEP_2) | instskip(NEXT) | instid1(VALU_DEP_1)
	v_lshlrev_b32_e32 v149, v149, v48
	v_dual_cndmask_b32 v148, v150, v148 :: v_dual_and_b32 v149, 3, v149
	s_delay_alu instid0(VALU_DEP_1) | instskip(NEXT) | instid1(VALU_DEP_2)
	v_lshl_add_u32 v148, v148, 23, 0x37800000
	v_cndmask_b32_e32 v147, v147, v149, vcc_lo
	v_and_b32_e32 v149, 0x80000000, v151
	s_delay_alu instid0(VALU_DEP_2) | instskip(NEXT) | instid1(VALU_DEP_1)
	v_lshlrev_b32_e32 v147, 21, v147
	v_or3_b32 v147, v149, v148, v147
.LBB6_148:                              ;   in Loop: Header=BB6_144 Depth=2
	s_or_b32 exec_lo, exec_lo, s24
	s_waitcnt vmcnt(3)
	v_and_b32_e32 v149, 0xff, v36
	s_mov_b32 s11, 0
	s_mov_b32 s25, exec_lo
                                        ; implicit-def: $sgpr24
	s_delay_alu instid0(VALU_DEP_1)
	v_cmpx_lt_i16_e64 0x7f, v149
	s_xor_b32 s25, exec_lo, s25
	s_cbranch_execnz .LBB6_1170
; %bb.149:                              ;   in Loop: Header=BB6_144 Depth=2
	s_or_saveexec_b32 s25, s25
	v_mov_b32_e32 v148, s24
	s_xor_b32 exec_lo, exec_lo, s25
	s_cbranch_execnz .LBB6_1173
.LBB6_150:                              ;   in Loop: Header=BB6_144 Depth=2
	s_or_b32 exec_lo, exec_lo, s25
	s_and_saveexec_b32 s24, s11
	s_cbranch_execz .LBB6_152
.LBB6_151:                              ;   in Loop: Header=BB6_144 Depth=2
	v_bfe_u32 v151, v36, 2, 5
	v_lshlrev_b32_e32 v160, 24, v36
	s_delay_alu instid0(VALU_DEP_2) | instskip(SKIP_1) | instid1(VALU_DEP_1)
	v_cmp_eq_u32_e32 vcc_lo, 0, v151
	v_and_b32_e32 v148, 3, v36
	v_clz_i32_u32_e32 v149, v148
	s_delay_alu instid0(VALU_DEP_1) | instskip(NEXT) | instid1(VALU_DEP_1)
	v_min_u32_e32 v149, 32, v149
	v_subrev_nc_u32_e32 v150, 29, v149
	v_sub_nc_u32_e32 v149, 30, v149
	s_delay_alu instid0(VALU_DEP_1) | instskip(NEXT) | instid1(VALU_DEP_1)
	v_dual_cndmask_b32 v149, v151, v149 :: v_dual_lshlrev_b32 v150, v150, v36
	v_and_b32_e32 v150, 3, v150
	s_delay_alu instid0(VALU_DEP_2) | instskip(NEXT) | instid1(VALU_DEP_2)
	v_lshl_add_u32 v149, v149, 23, 0x37800000
	v_cndmask_b32_e32 v148, v148, v150, vcc_lo
	v_and_b32_e32 v150, 0x80000000, v160
	s_delay_alu instid0(VALU_DEP_2) | instskip(NEXT) | instid1(VALU_DEP_1)
	v_lshlrev_b32_e32 v148, 21, v148
	v_or3_b32 v148, v150, v149, v148
.LBB6_152:                              ;   in Loop: Header=BB6_144 Depth=2
	s_or_b32 exec_lo, exec_lo, s24
	s_delay_alu instid0(VALU_DEP_1) | instskip(NEXT) | instid1(VALU_DEP_1)
	v_mul_f32_e32 v148, v147, v148
	v_and_b32_e32 v147, 0x7f800000, v148
	s_delay_alu instid0(VALU_DEP_1)
	v_cmp_ne_u32_e32 vcc_lo, 0x7f800000, v147
	v_mov_b32_e32 v147, 0x80
	s_and_saveexec_b32 s24, vcc_lo
	s_cbranch_execz .LBB6_160
; %bb.153:                              ;   in Loop: Header=BB6_144 Depth=2
	v_mov_b32_e32 v147, 0
	s_mov_b32 s25, exec_lo
	v_cmpx_ne_u32_e32 0, v148
	s_cbranch_execz .LBB6_159
; %bb.154:                              ;   in Loop: Header=BB6_144 Depth=2
	v_bfe_u32 v147, v148, 23, 8
	s_delay_alu instid0(VALU_DEP_1) | instskip(SKIP_1) | instid1(VALU_DEP_2)
	v_sub_nc_u32_e32 v150, 0x70, v147
	v_cmp_gt_u32_e32 vcc_lo, 0x71, v147
	v_dual_cndmask_b32 v150, 0, v150 :: v_dual_and_b32 v149, 0x7fffff, v148
	s_delay_alu instid0(VALU_DEP_1) | instskip(SKIP_2) | instid1(VALU_DEP_4)
	v_or_b32_e32 v151, 0x800000, v149
	v_cmp_eq_u32_e32 vcc_lo, 0, v147
	v_add_nc_u32_e32 v147, 0xffffff91, v147
	v_cndmask_b32_e64 v150, v150, 0x6f, vcc_lo
	s_delay_alu instid0(VALU_DEP_2) | instskip(SKIP_1) | instid1(VALU_DEP_3)
	v_cndmask_b32_e64 v147, v147, 0xffffff92, vcc_lo
	v_cndmask_b32_e32 v149, v151, v149, vcc_lo
	v_lshl_add_u32 v151, 0x200000, v150, -1
	v_lshlrev_b32_e64 v162, v150, 0x100000
	s_delay_alu instid0(VALU_DEP_3) | instskip(SKIP_1) | instid1(VALU_DEP_4)
	v_lshrrev_b32_e32 v160, v150, v149
	v_add_nc_u32_e32 v150, v150, v147
	v_and_b32_e32 v149, v151, v149
	s_delay_alu instid0(VALU_DEP_3) | instskip(NEXT) | instid1(VALU_DEP_2)
	v_bfe_u32 v161, v160, 21, 1
	v_cmp_eq_u32_e64 s11, v149, v162
	s_delay_alu instid0(VALU_DEP_2) | instskip(NEXT) | instid1(VALU_DEP_1)
	v_add_nc_u32_e32 v151, -1, v161
	v_cndmask_b32_e64 v149, 0, v151, s11
	v_lshrrev_b32_e32 v151, 23, v160
	s_mov_b32 s11, exec_lo
	s_delay_alu instid0(VALU_DEP_2) | instskip(NEXT) | instid1(VALU_DEP_2)
	v_add_nc_u32_e32 v149, v149, v160
	v_xor_b32_e32 v151, 1, v151
	s_delay_alu instid0(VALU_DEP_2) | instskip(NEXT) | instid1(VALU_DEP_1)
	v_and_b32_e32 v147, 0x1fffff, v149
	v_add_nc_u32_e32 v149, v147, v160
                                        ; implicit-def: $vgpr147
	s_delay_alu instid0(VALU_DEP_3)
	v_cmpx_ne_u32_e64 v150, v151
	s_xor_b32 s11, exec_lo, s11
; %bb.155:                              ;   in Loop: Header=BB6_144 Depth=2
	s_delay_alu instid0(VALU_DEP_2) | instskip(SKIP_2) | instid1(VALU_DEP_2)
	v_cmp_lt_u32_e32 vcc_lo, 0xffffff, v149
	v_sub_nc_u32_e32 v147, v150, v151
	v_cndmask_b32_e64 v150, 0, 1, vcc_lo
	v_add_co_ci_u32_e32 v147, vcc_lo, 0, v147, vcc_lo
	s_delay_alu instid0(VALU_DEP_2)
	v_lshrrev_b32_e32 v149, v150, v149
; %bb.156:                              ;   in Loop: Header=BB6_144 Depth=2
	s_and_not1_saveexec_b32 s11, s11
; %bb.157:                              ;   in Loop: Header=BB6_144 Depth=2
	s_delay_alu instid0(VALU_DEP_1)
	v_bfe_u32 v147, v149, 23, 1
; %bb.158:                              ;   in Loop: Header=BB6_144 Depth=2
	s_or_b32 exec_lo, exec_lo, s11
	v_lshrrev_b32_e32 v149, 21, v149
	s_delay_alu instid0(VALU_DEP_2) | instskip(SKIP_2) | instid1(VALU_DEP_2)
	v_cmp_gt_i32_e32 vcc_lo, 32, v147
	v_lshrrev_b32_e32 v148, 24, v148
	v_min_i32_e32 v150, 31, v147
	v_dual_cndmask_b32 v149, 3, v149 :: v_dual_and_b32 v148, 0x80, v148
	s_delay_alu instid0(VALU_DEP_1) | instskip(SKIP_1) | instid1(VALU_DEP_2)
	v_or_b32_e32 v147, v147, v149
	v_and_b32_e32 v151, 3, v149
	v_cmp_ne_u32_e32 vcc_lo, 0, v147
	v_lshlrev_b32_e32 v150, 2, v150
	s_delay_alu instid0(VALU_DEP_1) | instskip(NEXT) | instid1(VALU_DEP_1)
	v_or3_b32 v148, v150, v148, v151
	v_cndmask_b32_e32 v147, 0, v148, vcc_lo
.LBB6_159:                              ;   in Loop: Header=BB6_144 Depth=2
	s_or_b32 exec_lo, exec_lo, s25
.LBB6_160:                              ;   in Loop: Header=BB6_144 Depth=2
	s_delay_alu instid0(SALU_CYCLE_1) | instskip(SKIP_3) | instid1(VALU_DEP_1)
	s_or_b32 exec_lo, exec_lo, s24
	v_lshrrev_b16 v149, 8, v48
	s_mov_b32 s11, 0
	s_mov_b32 s25, exec_lo
                                        ; implicit-def: $sgpr24
	v_cmpx_lt_i16_e64 0x7f, v149
	s_xor_b32 s25, exec_lo, s25
	s_cbranch_execnz .LBB6_1174
; %bb.161:                              ;   in Loop: Header=BB6_144 Depth=2
	s_or_saveexec_b32 s25, s25
	v_mov_b32_e32 v148, s24
	s_xor_b32 exec_lo, exec_lo, s25
	s_cbranch_execnz .LBB6_1177
.LBB6_162:                              ;   in Loop: Header=BB6_144 Depth=2
	s_or_b32 exec_lo, exec_lo, s25
	s_and_saveexec_b32 s24, s11
	s_cbranch_execz .LBB6_164
.LBB6_163:                              ;   in Loop: Header=BB6_144 Depth=2
	v_and_b32_e32 v148, 0xffff, v149
	s_delay_alu instid0(VALU_DEP_1) | instskip(NEXT) | instid1(VALU_DEP_1)
	v_and_b32_e32 v150, 3, v148
	v_clz_i32_u32_e32 v151, v150
	s_delay_alu instid0(VALU_DEP_1) | instskip(NEXT) | instid1(VALU_DEP_1)
	v_min_u32_e32 v151, 32, v151
	v_subrev_nc_u32_e32 v160, 29, v151
	v_sub_nc_u32_e32 v151, 30, v151
	s_delay_alu instid0(VALU_DEP_2) | instskip(SKIP_1) | instid1(VALU_DEP_2)
	v_lshlrev_b32_e32 v160, v160, v148
	v_bfe_u32 v148, v148, 2, 5
	v_and_b32_e32 v160, 3, v160
	s_delay_alu instid0(VALU_DEP_2) | instskip(SKIP_1) | instid1(VALU_DEP_1)
	v_cmp_eq_u32_e32 vcc_lo, 0, v148
	v_dual_cndmask_b32 v148, v148, v151 :: v_dual_lshlrev_b32 v149, 24, v149
	v_dual_cndmask_b32 v150, v150, v160 :: v_dual_and_b32 v149, 0x80000000, v149
	s_delay_alu instid0(VALU_DEP_2) | instskip(NEXT) | instid1(VALU_DEP_2)
	v_lshl_add_u32 v148, v148, 23, 0x37800000
	v_lshlrev_b32_e32 v150, 21, v150
	s_delay_alu instid0(VALU_DEP_1)
	v_or3_b32 v148, v149, v148, v150
.LBB6_164:                              ;   in Loop: Header=BB6_144 Depth=2
	s_or_b32 exec_lo, exec_lo, s24
	v_lshrrev_b16 v149, 8, v36
	s_mov_b32 s11, 0
	s_mov_b32 s25, exec_lo
                                        ; implicit-def: $sgpr24
	s_delay_alu instid0(VALU_DEP_1)
	v_cmpx_lt_i16_e64 0x7f, v149
	s_xor_b32 s25, exec_lo, s25
	s_cbranch_execnz .LBB6_1178
; %bb.165:                              ;   in Loop: Header=BB6_144 Depth=2
	s_or_saveexec_b32 s25, s25
	v_mov_b32_e32 v150, s24
	s_xor_b32 exec_lo, exec_lo, s25
	s_cbranch_execnz .LBB6_1181
.LBB6_166:                              ;   in Loop: Header=BB6_144 Depth=2
	s_or_b32 exec_lo, exec_lo, s25
	s_and_saveexec_b32 s24, s11
	s_cbranch_execz .LBB6_168
.LBB6_167:                              ;   in Loop: Header=BB6_144 Depth=2
	v_and_b32_e32 v150, 0xffff, v149
	v_lshlrev_b32_e32 v149, 24, v149
	s_delay_alu instid0(VALU_DEP_2) | instskip(NEXT) | instid1(VALU_DEP_2)
	v_and_b32_e32 v151, 3, v150
	v_and_b32_e32 v149, 0x80000000, v149
	s_delay_alu instid0(VALU_DEP_2) | instskip(NEXT) | instid1(VALU_DEP_1)
	v_clz_i32_u32_e32 v160, v151
	v_min_u32_e32 v160, 32, v160
	s_delay_alu instid0(VALU_DEP_1) | instskip(SKIP_1) | instid1(VALU_DEP_2)
	v_subrev_nc_u32_e32 v161, 29, v160
	v_sub_nc_u32_e32 v160, 30, v160
	v_lshlrev_b32_e32 v161, v161, v150
	v_bfe_u32 v150, v150, 2, 5
	s_delay_alu instid0(VALU_DEP_2) | instskip(NEXT) | instid1(VALU_DEP_2)
	v_and_b32_e32 v161, 3, v161
	v_cmp_eq_u32_e32 vcc_lo, 0, v150
	s_delay_alu instid0(VALU_DEP_2) | instskip(NEXT) | instid1(VALU_DEP_1)
	v_dual_cndmask_b32 v150, v150, v160 :: v_dual_cndmask_b32 v151, v151, v161
	v_lshl_add_u32 v150, v150, 23, 0x37800000
	s_delay_alu instid0(VALU_DEP_2) | instskip(NEXT) | instid1(VALU_DEP_1)
	v_lshlrev_b32_e32 v151, 21, v151
	v_or3_b32 v150, v149, v150, v151
.LBB6_168:                              ;   in Loop: Header=BB6_144 Depth=2
	s_or_b32 exec_lo, exec_lo, s24
	s_delay_alu instid0(VALU_DEP_1) | instskip(NEXT) | instid1(VALU_DEP_1)
	v_mul_f32_e32 v149, v148, v150
	v_and_b32_e32 v148, 0x7f800000, v149
	s_delay_alu instid0(VALU_DEP_1)
	v_cmp_ne_u32_e32 vcc_lo, 0x7f800000, v148
	v_mov_b32_e32 v148, 0x80
	s_and_saveexec_b32 s24, vcc_lo
	s_cbranch_execz .LBB6_176
; %bb.169:                              ;   in Loop: Header=BB6_144 Depth=2
	v_mov_b32_e32 v148, 0
	s_mov_b32 s25, exec_lo
	v_cmpx_ne_u32_e32 0, v149
	s_cbranch_execz .LBB6_175
; %bb.170:                              ;   in Loop: Header=BB6_144 Depth=2
	v_bfe_u32 v148, v149, 23, 8
	s_delay_alu instid0(VALU_DEP_1) | instskip(SKIP_1) | instid1(VALU_DEP_2)
	v_sub_nc_u32_e32 v151, 0x70, v148
	v_cmp_gt_u32_e32 vcc_lo, 0x71, v148
	v_dual_cndmask_b32 v151, 0, v151 :: v_dual_and_b32 v150, 0x7fffff, v149
	s_delay_alu instid0(VALU_DEP_1) | instskip(SKIP_2) | instid1(VALU_DEP_4)
	v_or_b32_e32 v160, 0x800000, v150
	v_cmp_eq_u32_e32 vcc_lo, 0, v148
	v_add_nc_u32_e32 v148, 0xffffff91, v148
	v_cndmask_b32_e64 v151, v151, 0x6f, vcc_lo
	s_delay_alu instid0(VALU_DEP_2) | instskip(SKIP_1) | instid1(VALU_DEP_3)
	v_cndmask_b32_e64 v148, v148, 0xffffff92, vcc_lo
	v_cndmask_b32_e32 v150, v160, v150, vcc_lo
	v_lshl_add_u32 v160, 0x200000, v151, -1
	v_lshlrev_b32_e64 v163, v151, 0x100000
	s_delay_alu instid0(VALU_DEP_3) | instskip(SKIP_1) | instid1(VALU_DEP_4)
	v_lshrrev_b32_e32 v161, v151, v150
	v_add_nc_u32_e32 v151, v151, v148
	v_and_b32_e32 v150, v160, v150
	s_delay_alu instid0(VALU_DEP_3) | instskip(NEXT) | instid1(VALU_DEP_2)
	v_bfe_u32 v162, v161, 21, 1
	v_cmp_eq_u32_e64 s11, v150, v163
	s_delay_alu instid0(VALU_DEP_2) | instskip(NEXT) | instid1(VALU_DEP_1)
	v_add_nc_u32_e32 v160, -1, v162
	v_cndmask_b32_e64 v150, 0, v160, s11
	v_lshrrev_b32_e32 v160, 23, v161
	s_mov_b32 s11, exec_lo
	s_delay_alu instid0(VALU_DEP_2) | instskip(NEXT) | instid1(VALU_DEP_2)
	v_add_nc_u32_e32 v150, v150, v161
	v_xor_b32_e32 v160, 1, v160
	s_delay_alu instid0(VALU_DEP_2) | instskip(NEXT) | instid1(VALU_DEP_1)
	v_and_b32_e32 v148, 0x1fffff, v150
	v_add_nc_u32_e32 v150, v148, v161
                                        ; implicit-def: $vgpr148
	s_delay_alu instid0(VALU_DEP_3)
	v_cmpx_ne_u32_e64 v151, v160
	s_xor_b32 s11, exec_lo, s11
; %bb.171:                              ;   in Loop: Header=BB6_144 Depth=2
	s_delay_alu instid0(VALU_DEP_2) | instskip(SKIP_2) | instid1(VALU_DEP_2)
	v_cmp_lt_u32_e32 vcc_lo, 0xffffff, v150
	v_sub_nc_u32_e32 v148, v151, v160
	v_cndmask_b32_e64 v151, 0, 1, vcc_lo
	v_add_co_ci_u32_e32 v148, vcc_lo, 0, v148, vcc_lo
	s_delay_alu instid0(VALU_DEP_2)
	v_lshrrev_b32_e32 v150, v151, v150
; %bb.172:                              ;   in Loop: Header=BB6_144 Depth=2
	s_and_not1_saveexec_b32 s11, s11
; %bb.173:                              ;   in Loop: Header=BB6_144 Depth=2
	s_delay_alu instid0(VALU_DEP_1)
	v_bfe_u32 v148, v150, 23, 1
; %bb.174:                              ;   in Loop: Header=BB6_144 Depth=2
	s_or_b32 exec_lo, exec_lo, s11
	v_lshrrev_b32_e32 v150, 21, v150
	s_delay_alu instid0(VALU_DEP_2) | instskip(SKIP_2) | instid1(VALU_DEP_2)
	v_cmp_gt_i32_e32 vcc_lo, 32, v148
	v_lshrrev_b32_e32 v149, 24, v149
	v_min_i32_e32 v151, 31, v148
	v_dual_cndmask_b32 v150, 3, v150 :: v_dual_and_b32 v149, 0x80, v149
	s_delay_alu instid0(VALU_DEP_1) | instskip(SKIP_1) | instid1(VALU_DEP_2)
	v_or_b32_e32 v148, v148, v150
	v_and_b32_e32 v160, 3, v150
	v_cmp_ne_u32_e32 vcc_lo, 0, v148
	v_lshlrev_b32_e32 v151, 2, v151
	s_delay_alu instid0(VALU_DEP_1) | instskip(NEXT) | instid1(VALU_DEP_1)
	v_or3_b32 v149, v151, v149, v160
	v_cndmask_b32_e32 v148, 0, v149, vcc_lo
.LBB6_175:                              ;   in Loop: Header=BB6_144 Depth=2
	s_or_b32 exec_lo, exec_lo, s25
.LBB6_176:                              ;   in Loop: Header=BB6_144 Depth=2
	s_delay_alu instid0(SALU_CYCLE_1) | instskip(SKIP_3) | instid1(VALU_DEP_1)
	s_or_b32 exec_lo, exec_lo, s24
	v_lshrrev_b32_e32 v150, 16, v48
	s_mov_b32 s11, 0
	s_mov_b32 s25, exec_lo
                                        ; implicit-def: $sgpr24
	v_and_b32_e32 v151, 0xff, v150
	s_delay_alu instid0(VALU_DEP_1)
	v_cmpx_lt_i16_e64 0x7f, v151
	s_xor_b32 s25, exec_lo, s25
	s_cbranch_execnz .LBB6_1182
; %bb.177:                              ;   in Loop: Header=BB6_144 Depth=2
	s_or_saveexec_b32 s25, s25
	v_mov_b32_e32 v149, s24
	s_xor_b32 exec_lo, exec_lo, s25
	s_cbranch_execnz .LBB6_1185
.LBB6_178:                              ;   in Loop: Header=BB6_144 Depth=2
	s_or_b32 exec_lo, exec_lo, s25
	s_and_saveexec_b32 s24, s11
	s_cbranch_execz .LBB6_180
.LBB6_179:                              ;   in Loop: Header=BB6_144 Depth=2
	v_bfe_u32 v149, v48, 16, 2
	v_lshlrev_b32_e32 v161, 8, v48
	s_delay_alu instid0(VALU_DEP_2) | instskip(NEXT) | instid1(VALU_DEP_1)
	v_clz_i32_u32_e32 v151, v149
	v_min_u32_e32 v151, 32, v151
	s_delay_alu instid0(VALU_DEP_1) | instskip(SKIP_1) | instid1(VALU_DEP_2)
	v_subrev_nc_u32_e32 v160, 29, v151
	v_sub_nc_u32_e32 v151, 30, v151
	v_lshlrev_b32_e32 v150, v160, v150
	v_bfe_u32 v160, v48, 18, 5
	s_delay_alu instid0(VALU_DEP_1) | instskip(NEXT) | instid1(VALU_DEP_3)
	v_cmp_eq_u32_e32 vcc_lo, 0, v160
	v_dual_cndmask_b32 v151, v160, v151 :: v_dual_and_b32 v150, 3, v150
	s_delay_alu instid0(VALU_DEP_1) | instskip(NEXT) | instid1(VALU_DEP_2)
	v_dual_cndmask_b32 v149, v149, v150 :: v_dual_and_b32 v150, 0x80000000, v161
	v_lshl_add_u32 v151, v151, 23, 0x37800000
	s_delay_alu instid0(VALU_DEP_2) | instskip(NEXT) | instid1(VALU_DEP_1)
	v_lshlrev_b32_e32 v149, 21, v149
	v_or3_b32 v149, v150, v151, v149
.LBB6_180:                              ;   in Loop: Header=BB6_144 Depth=2
	s_or_b32 exec_lo, exec_lo, s24
	v_lshrrev_b32_e32 v150, 16, v36
	s_mov_b32 s11, 0
	s_mov_b32 s25, exec_lo
                                        ; implicit-def: $sgpr24
	s_delay_alu instid0(VALU_DEP_1) | instskip(NEXT) | instid1(VALU_DEP_1)
	v_and_b32_e32 v160, 0xff, v150
	v_cmpx_lt_i16_e64 0x7f, v160
	s_xor_b32 s25, exec_lo, s25
	s_cbranch_execnz .LBB6_1186
; %bb.181:                              ;   in Loop: Header=BB6_144 Depth=2
	s_or_saveexec_b32 s25, s25
	v_mov_b32_e32 v151, s24
	s_xor_b32 exec_lo, exec_lo, s25
	s_cbranch_execnz .LBB6_1189
.LBB6_182:                              ;   in Loop: Header=BB6_144 Depth=2
	s_or_b32 exec_lo, exec_lo, s25
	s_and_saveexec_b32 s24, s11
	s_cbranch_execz .LBB6_184
.LBB6_183:                              ;   in Loop: Header=BB6_144 Depth=2
	v_bfe_u32 v151, v36, 16, 2
	v_lshlrev_b32_e32 v162, 8, v36
	s_delay_alu instid0(VALU_DEP_2) | instskip(NEXT) | instid1(VALU_DEP_1)
	v_clz_i32_u32_e32 v160, v151
	v_min_u32_e32 v160, 32, v160
	s_delay_alu instid0(VALU_DEP_1) | instskip(SKIP_1) | instid1(VALU_DEP_2)
	v_subrev_nc_u32_e32 v161, 29, v160
	v_sub_nc_u32_e32 v160, 30, v160
	v_lshlrev_b32_e32 v150, v161, v150
	v_bfe_u32 v161, v36, 18, 5
	s_delay_alu instid0(VALU_DEP_2) | instskip(NEXT) | instid1(VALU_DEP_2)
	v_and_b32_e32 v150, 3, v150
	v_cmp_eq_u32_e32 vcc_lo, 0, v161
	v_cndmask_b32_e32 v160, v161, v160, vcc_lo
	s_delay_alu instid0(VALU_DEP_3) | instskip(SKIP_1) | instid1(VALU_DEP_3)
	v_cndmask_b32_e32 v150, v151, v150, vcc_lo
	v_and_b32_e32 v151, 0x80000000, v162
	v_lshl_add_u32 v160, v160, 23, 0x37800000
	s_delay_alu instid0(VALU_DEP_3) | instskip(NEXT) | instid1(VALU_DEP_1)
	v_lshlrev_b32_e32 v150, 21, v150
	v_or3_b32 v151, v151, v160, v150
.LBB6_184:                              ;   in Loop: Header=BB6_144 Depth=2
	s_or_b32 exec_lo, exec_lo, s24
	s_delay_alu instid0(VALU_DEP_1) | instskip(NEXT) | instid1(VALU_DEP_1)
	v_mul_f32_e32 v150, v149, v151
	v_and_b32_e32 v149, 0x7f800000, v150
	s_delay_alu instid0(VALU_DEP_1)
	v_cmp_ne_u32_e32 vcc_lo, 0x7f800000, v149
	v_mov_b32_e32 v149, 0x80
	s_and_saveexec_b32 s24, vcc_lo
	s_cbranch_execz .LBB6_192
; %bb.185:                              ;   in Loop: Header=BB6_144 Depth=2
	v_mov_b32_e32 v149, 0
	s_mov_b32 s25, exec_lo
	v_cmpx_ne_u32_e32 0, v150
	s_cbranch_execz .LBB6_191
; %bb.186:                              ;   in Loop: Header=BB6_144 Depth=2
	v_bfe_u32 v149, v150, 23, 8
	s_delay_alu instid0(VALU_DEP_1) | instskip(SKIP_1) | instid1(VALU_DEP_2)
	v_sub_nc_u32_e32 v160, 0x70, v149
	v_cmp_gt_u32_e32 vcc_lo, 0x71, v149
	v_dual_cndmask_b32 v160, 0, v160 :: v_dual_and_b32 v151, 0x7fffff, v150
	s_delay_alu instid0(VALU_DEP_1) | instskip(SKIP_2) | instid1(VALU_DEP_4)
	v_or_b32_e32 v161, 0x800000, v151
	v_cmp_eq_u32_e32 vcc_lo, 0, v149
	v_add_nc_u32_e32 v149, 0xffffff91, v149
	v_cndmask_b32_e64 v160, v160, 0x6f, vcc_lo
	s_delay_alu instid0(VALU_DEP_2) | instskip(SKIP_1) | instid1(VALU_DEP_3)
	v_cndmask_b32_e64 v149, v149, 0xffffff92, vcc_lo
	v_cndmask_b32_e32 v151, v161, v151, vcc_lo
	v_lshl_add_u32 v161, 0x200000, v160, -1
	v_lshlrev_b32_e64 v164, v160, 0x100000
	s_delay_alu instid0(VALU_DEP_3) | instskip(SKIP_1) | instid1(VALU_DEP_4)
	v_lshrrev_b32_e32 v162, v160, v151
	v_add_nc_u32_e32 v160, v160, v149
	v_and_b32_e32 v151, v161, v151
	s_delay_alu instid0(VALU_DEP_3) | instskip(NEXT) | instid1(VALU_DEP_2)
	v_bfe_u32 v163, v162, 21, 1
	v_cmp_eq_u32_e64 s11, v151, v164
	s_delay_alu instid0(VALU_DEP_2) | instskip(NEXT) | instid1(VALU_DEP_1)
	v_add_nc_u32_e32 v161, -1, v163
	v_cndmask_b32_e64 v151, 0, v161, s11
	v_lshrrev_b32_e32 v161, 23, v162
	s_mov_b32 s11, exec_lo
	s_delay_alu instid0(VALU_DEP_2) | instskip(NEXT) | instid1(VALU_DEP_2)
	v_add_nc_u32_e32 v151, v151, v162
	v_xor_b32_e32 v161, 1, v161
	s_delay_alu instid0(VALU_DEP_2) | instskip(NEXT) | instid1(VALU_DEP_1)
	v_and_b32_e32 v149, 0x1fffff, v151
	v_add_nc_u32_e32 v151, v149, v162
                                        ; implicit-def: $vgpr149
	s_delay_alu instid0(VALU_DEP_3)
	v_cmpx_ne_u32_e64 v160, v161
	s_xor_b32 s11, exec_lo, s11
; %bb.187:                              ;   in Loop: Header=BB6_144 Depth=2
	s_delay_alu instid0(VALU_DEP_2) | instskip(SKIP_2) | instid1(VALU_DEP_2)
	v_cmp_lt_u32_e32 vcc_lo, 0xffffff, v151
	v_sub_nc_u32_e32 v149, v160, v161
	v_cndmask_b32_e64 v160, 0, 1, vcc_lo
	v_add_co_ci_u32_e32 v149, vcc_lo, 0, v149, vcc_lo
	s_delay_alu instid0(VALU_DEP_2)
	v_lshrrev_b32_e32 v151, v160, v151
; %bb.188:                              ;   in Loop: Header=BB6_144 Depth=2
	s_and_not1_saveexec_b32 s11, s11
; %bb.189:                              ;   in Loop: Header=BB6_144 Depth=2
	s_delay_alu instid0(VALU_DEP_1)
	v_bfe_u32 v149, v151, 23, 1
; %bb.190:                              ;   in Loop: Header=BB6_144 Depth=2
	s_or_b32 exec_lo, exec_lo, s11
	v_lshrrev_b32_e32 v151, 21, v151
	s_delay_alu instid0(VALU_DEP_2) | instskip(SKIP_2) | instid1(VALU_DEP_2)
	v_cmp_gt_i32_e32 vcc_lo, 32, v149
	v_lshrrev_b32_e32 v150, 24, v150
	v_min_i32_e32 v160, 31, v149
	v_dual_cndmask_b32 v151, 3, v151 :: v_dual_and_b32 v150, 0x80, v150
	s_delay_alu instid0(VALU_DEP_1) | instskip(SKIP_1) | instid1(VALU_DEP_2)
	v_or_b32_e32 v149, v149, v151
	v_and_b32_e32 v161, 3, v151
	v_cmp_ne_u32_e32 vcc_lo, 0, v149
	v_lshlrev_b32_e32 v160, 2, v160
	s_delay_alu instid0(VALU_DEP_1) | instskip(NEXT) | instid1(VALU_DEP_1)
	v_or3_b32 v150, v160, v150, v161
	v_cndmask_b32_e32 v149, 0, v150, vcc_lo
.LBB6_191:                              ;   in Loop: Header=BB6_144 Depth=2
	s_or_b32 exec_lo, exec_lo, s25
.LBB6_192:                              ;   in Loop: Header=BB6_144 Depth=2
	s_delay_alu instid0(SALU_CYCLE_1) | instskip(SKIP_3) | instid1(VALU_DEP_1)
	s_or_b32 exec_lo, exec_lo, s24
	v_lshrrev_b32_e32 v151, 24, v48
	s_mov_b32 s11, 0
	s_mov_b32 s25, exec_lo
                                        ; implicit-def: $sgpr24
	v_cmpx_lt_i16_e64 0x7f, v151
	s_xor_b32 s25, exec_lo, s25
	s_cbranch_execnz .LBB6_1190
; %bb.193:                              ;   in Loop: Header=BB6_144 Depth=2
	s_or_saveexec_b32 s25, s25
	v_mov_b32_e32 v150, s24
	s_xor_b32 exec_lo, exec_lo, s25
	s_cbranch_execnz .LBB6_1193
.LBB6_194:                              ;   in Loop: Header=BB6_144 Depth=2
	s_or_b32 exec_lo, exec_lo, s25
	s_and_saveexec_b32 s24, s11
	s_cbranch_execz .LBB6_196
.LBB6_195:                              ;   in Loop: Header=BB6_144 Depth=2
	v_bfe_u32 v150, v48, 24, 2
	s_delay_alu instid0(VALU_DEP_1) | instskip(NEXT) | instid1(VALU_DEP_1)
	v_clz_i32_u32_e32 v160, v150
	v_min_u32_e32 v160, 32, v160
	s_delay_alu instid0(VALU_DEP_1) | instskip(SKIP_1) | instid1(VALU_DEP_2)
	v_subrev_nc_u32_e32 v161, 29, v160
	v_sub_nc_u32_e32 v160, 30, v160
	v_lshlrev_b32_e32 v151, v161, v151
	v_bfe_u32 v161, v48, 26, 5
	v_and_b32_e32 v48, 0x80000000, v48
	s_delay_alu instid0(VALU_DEP_2) | instskip(NEXT) | instid1(VALU_DEP_4)
	v_cmp_eq_u32_e32 vcc_lo, 0, v161
	v_dual_cndmask_b32 v160, v161, v160 :: v_dual_and_b32 v151, 3, v151
	s_delay_alu instid0(VALU_DEP_1) | instskip(NEXT) | instid1(VALU_DEP_2)
	v_cndmask_b32_e32 v150, v150, v151, vcc_lo
	v_lshl_add_u32 v151, v160, 23, 0x37800000
	s_delay_alu instid0(VALU_DEP_2) | instskip(NEXT) | instid1(VALU_DEP_1)
	v_lshlrev_b32_e32 v150, 21, v150
	v_or3_b32 v150, v48, v151, v150
.LBB6_196:                              ;   in Loop: Header=BB6_144 Depth=2
	s_or_b32 exec_lo, exec_lo, s24
	v_lshrrev_b32_e32 v48, 24, v36
	s_mov_b32 s11, 0
	s_mov_b32 s25, exec_lo
                                        ; implicit-def: $sgpr24
	s_delay_alu instid0(VALU_DEP_1)
	v_cmpx_lt_i16_e32 0x7f, v48
	s_xor_b32 s25, exec_lo, s25
	s_cbranch_execnz .LBB6_1194
; %bb.197:                              ;   in Loop: Header=BB6_144 Depth=2
	s_or_saveexec_b32 s25, s25
	v_mov_b32_e32 v151, s24
	s_xor_b32 exec_lo, exec_lo, s25
	s_cbranch_execnz .LBB6_1197
.LBB6_198:                              ;   in Loop: Header=BB6_144 Depth=2
	s_or_b32 exec_lo, exec_lo, s25
	s_and_saveexec_b32 s24, s11
	s_cbranch_execz .LBB6_200
.LBB6_199:                              ;   in Loop: Header=BB6_144 Depth=2
	v_bfe_u32 v151, v36, 24, 2
	s_delay_alu instid0(VALU_DEP_1) | instskip(NEXT) | instid1(VALU_DEP_1)
	v_clz_i32_u32_e32 v160, v151
	v_min_u32_e32 v160, 32, v160
	s_delay_alu instid0(VALU_DEP_1) | instskip(SKIP_1) | instid1(VALU_DEP_2)
	v_subrev_nc_u32_e32 v161, 29, v160
	v_sub_nc_u32_e32 v160, 30, v160
	v_lshlrev_b32_e32 v48, v161, v48
	v_bfe_u32 v161, v36, 26, 5
	v_and_b32_e32 v36, 0x80000000, v36
	s_delay_alu instid0(VALU_DEP_3) | instskip(NEXT) | instid1(VALU_DEP_3)
	v_and_b32_e32 v48, 3, v48
	v_cmp_eq_u32_e32 vcc_lo, 0, v161
	v_cndmask_b32_e32 v160, v161, v160, vcc_lo
	s_delay_alu instid0(VALU_DEP_3) | instskip(NEXT) | instid1(VALU_DEP_2)
	v_cndmask_b32_e32 v48, v151, v48, vcc_lo
	v_lshl_add_u32 v151, v160, 23, 0x37800000
	s_delay_alu instid0(VALU_DEP_2) | instskip(NEXT) | instid1(VALU_DEP_1)
	v_lshlrev_b32_e32 v48, 21, v48
	v_or3_b32 v151, v36, v151, v48
.LBB6_200:                              ;   in Loop: Header=BB6_144 Depth=2
	s_or_b32 exec_lo, exec_lo, s24
	s_delay_alu instid0(VALU_DEP_1) | instskip(NEXT) | instid1(VALU_DEP_1)
	v_mul_f32_e32 v48, v150, v151
	v_and_b32_e32 v36, 0x7f800000, v48
	s_delay_alu instid0(VALU_DEP_1)
	v_cmp_ne_u32_e32 vcc_lo, 0x7f800000, v36
	v_mov_b32_e32 v36, 0x80
	s_and_saveexec_b32 s24, vcc_lo
	s_cbranch_execz .LBB6_208
; %bb.201:                              ;   in Loop: Header=BB6_144 Depth=2
	v_mov_b32_e32 v36, 0
	s_mov_b32 s25, exec_lo
	v_cmpx_ne_u32_e32 0, v48
	s_cbranch_execz .LBB6_207
; %bb.202:                              ;   in Loop: Header=BB6_144 Depth=2
	v_bfe_u32 v36, v48, 23, 8
	s_delay_alu instid0(VALU_DEP_1) | instskip(SKIP_1) | instid1(VALU_DEP_2)
	v_sub_nc_u32_e32 v151, 0x70, v36
	v_cmp_gt_u32_e32 vcc_lo, 0x71, v36
	v_dual_cndmask_b32 v151, 0, v151 :: v_dual_and_b32 v150, 0x7fffff, v48
	s_delay_alu instid0(VALU_DEP_1) | instskip(SKIP_2) | instid1(VALU_DEP_4)
	v_or_b32_e32 v160, 0x800000, v150
	v_cmp_eq_u32_e32 vcc_lo, 0, v36
	v_add_nc_u32_e32 v36, 0xffffff91, v36
	v_cndmask_b32_e64 v151, v151, 0x6f, vcc_lo
	s_delay_alu instid0(VALU_DEP_2) | instskip(SKIP_1) | instid1(VALU_DEP_3)
	v_cndmask_b32_e64 v36, v36, 0xffffff92, vcc_lo
	v_cndmask_b32_e32 v150, v160, v150, vcc_lo
	v_lshl_add_u32 v160, 0x200000, v151, -1
	v_lshlrev_b32_e64 v163, v151, 0x100000
	s_delay_alu instid0(VALU_DEP_3) | instskip(SKIP_1) | instid1(VALU_DEP_4)
	v_lshrrev_b32_e32 v161, v151, v150
	v_add_nc_u32_e32 v151, v151, v36
	v_and_b32_e32 v150, v160, v150
	s_delay_alu instid0(VALU_DEP_3) | instskip(NEXT) | instid1(VALU_DEP_2)
	v_bfe_u32 v162, v161, 21, 1
	v_cmp_eq_u32_e64 s11, v150, v163
	s_delay_alu instid0(VALU_DEP_2) | instskip(NEXT) | instid1(VALU_DEP_1)
	v_add_nc_u32_e32 v160, -1, v162
	v_cndmask_b32_e64 v150, 0, v160, s11
	v_lshrrev_b32_e32 v160, 23, v161
	s_mov_b32 s11, exec_lo
	s_delay_alu instid0(VALU_DEP_2) | instskip(NEXT) | instid1(VALU_DEP_2)
	v_add_nc_u32_e32 v150, v150, v161
	v_xor_b32_e32 v160, 1, v160
	s_delay_alu instid0(VALU_DEP_2) | instskip(NEXT) | instid1(VALU_DEP_1)
	v_and_b32_e32 v36, 0x1fffff, v150
	v_add_nc_u32_e32 v150, v36, v161
                                        ; implicit-def: $vgpr36
	s_delay_alu instid0(VALU_DEP_3)
	v_cmpx_ne_u32_e64 v151, v160
	s_xor_b32 s11, exec_lo, s11
; %bb.203:                              ;   in Loop: Header=BB6_144 Depth=2
	s_delay_alu instid0(VALU_DEP_2) | instskip(SKIP_2) | instid1(VALU_DEP_2)
	v_cmp_lt_u32_e32 vcc_lo, 0xffffff, v150
	v_sub_nc_u32_e32 v36, v151, v160
	v_cndmask_b32_e64 v151, 0, 1, vcc_lo
	v_add_co_ci_u32_e32 v36, vcc_lo, 0, v36, vcc_lo
	s_delay_alu instid0(VALU_DEP_2)
	v_lshrrev_b32_e32 v150, v151, v150
; %bb.204:                              ;   in Loop: Header=BB6_144 Depth=2
	s_and_not1_saveexec_b32 s11, s11
; %bb.205:                              ;   in Loop: Header=BB6_144 Depth=2
	s_delay_alu instid0(VALU_DEP_1)
	v_bfe_u32 v36, v150, 23, 1
; %bb.206:                              ;   in Loop: Header=BB6_144 Depth=2
	s_or_b32 exec_lo, exec_lo, s11
	v_lshrrev_b32_e32 v150, 21, v150
	s_delay_alu instid0(VALU_DEP_2) | instskip(SKIP_2) | instid1(VALU_DEP_4)
	v_cmp_gt_i32_e32 vcc_lo, 32, v36
	v_lshrrev_b32_e32 v48, 24, v48
	v_min_i32_e32 v151, 31, v36
	v_cndmask_b32_e32 v150, 3, v150, vcc_lo
	s_delay_alu instid0(VALU_DEP_3) | instskip(NEXT) | instid1(VALU_DEP_3)
	v_and_b32_e32 v48, 0x80, v48
	v_lshlrev_b32_e32 v151, 2, v151
	s_delay_alu instid0(VALU_DEP_3) | instskip(SKIP_1) | instid1(VALU_DEP_2)
	v_and_b32_e32 v160, 3, v150
	v_or_b32_e32 v36, v36, v150
	v_or3_b32 v48, v151, v48, v160
	s_delay_alu instid0(VALU_DEP_2) | instskip(NEXT) | instid1(VALU_DEP_2)
	v_cmp_ne_u32_e32 vcc_lo, 0, v36
	v_cndmask_b32_e32 v36, 0, v48, vcc_lo
.LBB6_207:                              ;   in Loop: Header=BB6_144 Depth=2
	s_or_b32 exec_lo, exec_lo, s25
.LBB6_208:                              ;   in Loop: Header=BB6_144 Depth=2
	s_delay_alu instid0(SALU_CYCLE_1) | instskip(SKIP_3) | instid1(VALU_DEP_1)
	s_or_b32 exec_lo, exec_lo, s24
	v_and_b32_e32 v150, 0xff, v49
	s_mov_b32 s11, 0
	s_mov_b32 s25, exec_lo
                                        ; implicit-def: $sgpr24
	v_cmpx_lt_i16_e64 0x7f, v150
	s_xor_b32 s25, exec_lo, s25
	s_cbranch_execnz .LBB6_1198
; %bb.209:                              ;   in Loop: Header=BB6_144 Depth=2
	s_or_saveexec_b32 s25, s25
	v_mov_b32_e32 v48, s24
	s_xor_b32 exec_lo, exec_lo, s25
	s_cbranch_execnz .LBB6_1201
.LBB6_210:                              ;   in Loop: Header=BB6_144 Depth=2
	s_or_b32 exec_lo, exec_lo, s25
	s_and_saveexec_b32 s24, s11
	s_cbranch_execz .LBB6_212
.LBB6_211:                              ;   in Loop: Header=BB6_144 Depth=2
	v_and_b32_e32 v48, 3, v49
	v_bfe_u32 v160, v49, 2, 5
	s_delay_alu instid0(VALU_DEP_2) | instskip(NEXT) | instid1(VALU_DEP_2)
	v_clz_i32_u32_e32 v150, v48
	v_cmp_eq_u32_e32 vcc_lo, 0, v160
	s_delay_alu instid0(VALU_DEP_2) | instskip(NEXT) | instid1(VALU_DEP_1)
	v_min_u32_e32 v150, 32, v150
	v_subrev_nc_u32_e32 v151, 29, v150
	v_sub_nc_u32_e32 v150, 30, v150
	s_delay_alu instid0(VALU_DEP_1) | instskip(NEXT) | instid1(VALU_DEP_1)
	v_dual_cndmask_b32 v150, v160, v150 :: v_dual_lshlrev_b32 v151, v151, v49
	v_and_b32_e32 v151, 3, v151
	v_lshlrev_b32_e32 v161, 24, v49
	s_delay_alu instid0(VALU_DEP_3) | instskip(NEXT) | instid1(VALU_DEP_2)
	v_lshl_add_u32 v150, v150, 23, 0x37800000
	v_dual_cndmask_b32 v48, v48, v151 :: v_dual_and_b32 v151, 0x80000000, v161
	s_delay_alu instid0(VALU_DEP_1) | instskip(NEXT) | instid1(VALU_DEP_1)
	v_lshlrev_b32_e32 v48, 21, v48
	v_or3_b32 v48, v151, v150, v48
.LBB6_212:                              ;   in Loop: Header=BB6_144 Depth=2
	s_or_b32 exec_lo, exec_lo, s24
	v_and_b32_e32 v151, 0xff, v37
	s_mov_b32 s11, 0
	s_mov_b32 s25, exec_lo
                                        ; implicit-def: $sgpr24
	s_delay_alu instid0(VALU_DEP_1)
	v_cmpx_lt_i16_e64 0x7f, v151
	s_xor_b32 s25, exec_lo, s25
	s_cbranch_execnz .LBB6_1202
; %bb.213:                              ;   in Loop: Header=BB6_144 Depth=2
	s_or_saveexec_b32 s25, s25
	v_mov_b32_e32 v150, s24
	s_xor_b32 exec_lo, exec_lo, s25
	s_cbranch_execnz .LBB6_1205
.LBB6_214:                              ;   in Loop: Header=BB6_144 Depth=2
	s_or_b32 exec_lo, exec_lo, s25
	s_and_saveexec_b32 s24, s11
	s_cbranch_execz .LBB6_216
.LBB6_215:                              ;   in Loop: Header=BB6_144 Depth=2
	v_bfe_u32 v161, v37, 2, 5
	v_lshlrev_b32_e32 v162, 24, v37
	s_delay_alu instid0(VALU_DEP_2) | instskip(SKIP_1) | instid1(VALU_DEP_1)
	v_cmp_eq_u32_e32 vcc_lo, 0, v161
	v_and_b32_e32 v150, 3, v37
	v_clz_i32_u32_e32 v151, v150
	s_delay_alu instid0(VALU_DEP_1) | instskip(NEXT) | instid1(VALU_DEP_1)
	v_min_u32_e32 v151, 32, v151
	v_subrev_nc_u32_e32 v160, 29, v151
	v_sub_nc_u32_e32 v151, 30, v151
	s_delay_alu instid0(VALU_DEP_1) | instskip(NEXT) | instid1(VALU_DEP_1)
	v_dual_cndmask_b32 v151, v161, v151 :: v_dual_lshlrev_b32 v160, v160, v37
	v_and_b32_e32 v160, 3, v160
	s_delay_alu instid0(VALU_DEP_2) | instskip(NEXT) | instid1(VALU_DEP_2)
	v_lshl_add_u32 v151, v151, 23, 0x37800000
	v_cndmask_b32_e32 v150, v150, v160, vcc_lo
	v_and_b32_e32 v160, 0x80000000, v162
	s_delay_alu instid0(VALU_DEP_2) | instskip(NEXT) | instid1(VALU_DEP_1)
	v_lshlrev_b32_e32 v150, 21, v150
	v_or3_b32 v150, v160, v151, v150
.LBB6_216:                              ;   in Loop: Header=BB6_144 Depth=2
	s_or_b32 exec_lo, exec_lo, s24
	s_delay_alu instid0(VALU_DEP_1) | instskip(NEXT) | instid1(VALU_DEP_1)
	v_mul_f32_e32 v150, v48, v150
	v_and_b32_e32 v48, 0x7f800000, v150
	s_delay_alu instid0(VALU_DEP_1)
	v_cmp_ne_u32_e32 vcc_lo, 0x7f800000, v48
	v_mov_b32_e32 v48, 0x80
	s_and_saveexec_b32 s24, vcc_lo
	s_cbranch_execz .LBB6_224
; %bb.217:                              ;   in Loop: Header=BB6_144 Depth=2
	v_mov_b32_e32 v48, 0
	s_mov_b32 s25, exec_lo
	v_cmpx_ne_u32_e32 0, v150
	s_cbranch_execz .LBB6_223
; %bb.218:                              ;   in Loop: Header=BB6_144 Depth=2
	v_bfe_u32 v48, v150, 23, 8
	s_delay_alu instid0(VALU_DEP_1) | instskip(SKIP_1) | instid1(VALU_DEP_2)
	v_sub_nc_u32_e32 v160, 0x70, v48
	v_cmp_gt_u32_e32 vcc_lo, 0x71, v48
	v_dual_cndmask_b32 v160, 0, v160 :: v_dual_and_b32 v151, 0x7fffff, v150
	s_delay_alu instid0(VALU_DEP_1) | instskip(SKIP_2) | instid1(VALU_DEP_4)
	v_or_b32_e32 v161, 0x800000, v151
	v_cmp_eq_u32_e32 vcc_lo, 0, v48
	v_add_nc_u32_e32 v48, 0xffffff91, v48
	v_cndmask_b32_e64 v160, v160, 0x6f, vcc_lo
	s_delay_alu instid0(VALU_DEP_4) | instskip(NEXT) | instid1(VALU_DEP_3)
	v_cndmask_b32_e32 v151, v161, v151, vcc_lo
	v_cndmask_b32_e64 v48, v48, 0xffffff92, vcc_lo
	s_delay_alu instid0(VALU_DEP_3) | instskip(NEXT) | instid1(VALU_DEP_3)
	v_lshl_add_u32 v161, 0x200000, v160, -1
	v_lshrrev_b32_e32 v162, v160, v151
	v_lshlrev_b32_e64 v164, v160, 0x100000
	s_delay_alu instid0(VALU_DEP_4) | instskip(NEXT) | instid1(VALU_DEP_4)
	v_add_nc_u32_e32 v160, v160, v48
	v_and_b32_e32 v151, v161, v151
	s_delay_alu instid0(VALU_DEP_4) | instskip(NEXT) | instid1(VALU_DEP_2)
	v_bfe_u32 v163, v162, 21, 1
	v_cmp_eq_u32_e64 s11, v151, v164
	s_delay_alu instid0(VALU_DEP_2) | instskip(NEXT) | instid1(VALU_DEP_1)
	v_add_nc_u32_e32 v161, -1, v163
	v_cndmask_b32_e64 v151, 0, v161, s11
	v_lshrrev_b32_e32 v161, 23, v162
	s_mov_b32 s11, exec_lo
	s_delay_alu instid0(VALU_DEP_2) | instskip(NEXT) | instid1(VALU_DEP_2)
	v_add_nc_u32_e32 v151, v151, v162
	v_xor_b32_e32 v161, 1, v161
	s_delay_alu instid0(VALU_DEP_2) | instskip(NEXT) | instid1(VALU_DEP_1)
	v_and_b32_e32 v48, 0x1fffff, v151
	v_add_nc_u32_e32 v151, v48, v162
                                        ; implicit-def: $vgpr48
	s_delay_alu instid0(VALU_DEP_3)
	v_cmpx_ne_u32_e64 v160, v161
	s_xor_b32 s11, exec_lo, s11
; %bb.219:                              ;   in Loop: Header=BB6_144 Depth=2
	s_delay_alu instid0(VALU_DEP_2) | instskip(SKIP_2) | instid1(VALU_DEP_2)
	v_cmp_lt_u32_e32 vcc_lo, 0xffffff, v151
	v_sub_nc_u32_e32 v48, v160, v161
	v_cndmask_b32_e64 v160, 0, 1, vcc_lo
	v_add_co_ci_u32_e32 v48, vcc_lo, 0, v48, vcc_lo
	s_delay_alu instid0(VALU_DEP_2)
	v_lshrrev_b32_e32 v151, v160, v151
; %bb.220:                              ;   in Loop: Header=BB6_144 Depth=2
	s_and_not1_saveexec_b32 s11, s11
; %bb.221:                              ;   in Loop: Header=BB6_144 Depth=2
	s_delay_alu instid0(VALU_DEP_1)
	v_bfe_u32 v48, v151, 23, 1
; %bb.222:                              ;   in Loop: Header=BB6_144 Depth=2
	s_or_b32 exec_lo, exec_lo, s11
	v_lshrrev_b32_e32 v151, 21, v151
	s_delay_alu instid0(VALU_DEP_2) | instskip(SKIP_2) | instid1(VALU_DEP_2)
	v_cmp_gt_i32_e32 vcc_lo, 32, v48
	v_lshrrev_b32_e32 v150, 24, v150
	v_min_i32_e32 v160, 31, v48
	v_dual_cndmask_b32 v151, 3, v151 :: v_dual_and_b32 v150, 0x80, v150
	s_delay_alu instid0(VALU_DEP_2) | instskip(NEXT) | instid1(VALU_DEP_2)
	v_lshlrev_b32_e32 v160, 2, v160
	v_or_b32_e32 v48, v48, v151
	s_delay_alu instid0(VALU_DEP_1) | instskip(SKIP_1) | instid1(VALU_DEP_1)
	v_cmp_ne_u32_e32 vcc_lo, 0, v48
	v_and_b32_e32 v161, 3, v151
	v_or3_b32 v150, v160, v150, v161
	s_delay_alu instid0(VALU_DEP_1)
	v_cndmask_b32_e32 v48, 0, v150, vcc_lo
.LBB6_223:                              ;   in Loop: Header=BB6_144 Depth=2
	s_or_b32 exec_lo, exec_lo, s25
.LBB6_224:                              ;   in Loop: Header=BB6_144 Depth=2
	s_delay_alu instid0(SALU_CYCLE_1) | instskip(SKIP_3) | instid1(VALU_DEP_1)
	s_or_b32 exec_lo, exec_lo, s24
	v_lshrrev_b16 v151, 8, v49
	s_mov_b32 s11, 0
	s_mov_b32 s25, exec_lo
                                        ; implicit-def: $sgpr24
	v_cmpx_lt_i16_e64 0x7f, v151
	s_xor_b32 s25, exec_lo, s25
	s_cbranch_execnz .LBB6_1206
; %bb.225:                              ;   in Loop: Header=BB6_144 Depth=2
	s_or_saveexec_b32 s25, s25
	v_mov_b32_e32 v150, s24
	s_xor_b32 exec_lo, exec_lo, s25
	s_cbranch_execnz .LBB6_1209
.LBB6_226:                              ;   in Loop: Header=BB6_144 Depth=2
	s_or_b32 exec_lo, exec_lo, s25
	s_and_saveexec_b32 s24, s11
	s_cbranch_execz .LBB6_228
.LBB6_227:                              ;   in Loop: Header=BB6_144 Depth=2
	v_and_b32_e32 v150, 0xffff, v151
	s_delay_alu instid0(VALU_DEP_1) | instskip(NEXT) | instid1(VALU_DEP_1)
	v_and_b32_e32 v160, 3, v150
	v_clz_i32_u32_e32 v161, v160
	s_delay_alu instid0(VALU_DEP_1) | instskip(NEXT) | instid1(VALU_DEP_1)
	v_min_u32_e32 v161, 32, v161
	v_subrev_nc_u32_e32 v162, 29, v161
	v_sub_nc_u32_e32 v161, 30, v161
	s_delay_alu instid0(VALU_DEP_2) | instskip(SKIP_1) | instid1(VALU_DEP_2)
	v_lshlrev_b32_e32 v162, v162, v150
	v_bfe_u32 v150, v150, 2, 5
	v_and_b32_e32 v162, 3, v162
	s_delay_alu instid0(VALU_DEP_2) | instskip(SKIP_1) | instid1(VALU_DEP_1)
	v_cmp_eq_u32_e32 vcc_lo, 0, v150
	v_dual_cndmask_b32 v150, v150, v161 :: v_dual_lshlrev_b32 v151, 24, v151
	v_dual_cndmask_b32 v160, v160, v162 :: v_dual_and_b32 v151, 0x80000000, v151
	s_delay_alu instid0(VALU_DEP_2) | instskip(NEXT) | instid1(VALU_DEP_2)
	v_lshl_add_u32 v150, v150, 23, 0x37800000
	v_lshlrev_b32_e32 v160, 21, v160
	s_delay_alu instid0(VALU_DEP_1)
	v_or3_b32 v150, v151, v150, v160
.LBB6_228:                              ;   in Loop: Header=BB6_144 Depth=2
	s_or_b32 exec_lo, exec_lo, s24
	v_lshrrev_b16 v151, 8, v37
	s_mov_b32 s11, 0
	s_mov_b32 s25, exec_lo
                                        ; implicit-def: $sgpr24
	s_delay_alu instid0(VALU_DEP_1)
	v_cmpx_lt_i16_e64 0x7f, v151
	s_xor_b32 s25, exec_lo, s25
	s_cbranch_execnz .LBB6_1210
; %bb.229:                              ;   in Loop: Header=BB6_144 Depth=2
	s_or_saveexec_b32 s25, s25
	v_mov_b32_e32 v160, s24
	s_xor_b32 exec_lo, exec_lo, s25
	s_cbranch_execnz .LBB6_1213
.LBB6_230:                              ;   in Loop: Header=BB6_144 Depth=2
	s_or_b32 exec_lo, exec_lo, s25
	s_and_saveexec_b32 s24, s11
	s_cbranch_execz .LBB6_232
.LBB6_231:                              ;   in Loop: Header=BB6_144 Depth=2
	v_and_b32_e32 v160, 0xffff, v151
	v_lshlrev_b32_e32 v151, 24, v151
	s_delay_alu instid0(VALU_DEP_2) | instskip(NEXT) | instid1(VALU_DEP_2)
	v_and_b32_e32 v161, 3, v160
	v_and_b32_e32 v151, 0x80000000, v151
	s_delay_alu instid0(VALU_DEP_2) | instskip(NEXT) | instid1(VALU_DEP_1)
	v_clz_i32_u32_e32 v162, v161
	v_min_u32_e32 v162, 32, v162
	s_delay_alu instid0(VALU_DEP_1) | instskip(SKIP_1) | instid1(VALU_DEP_2)
	v_subrev_nc_u32_e32 v163, 29, v162
	v_sub_nc_u32_e32 v162, 30, v162
	v_lshlrev_b32_e32 v163, v163, v160
	v_bfe_u32 v160, v160, 2, 5
	s_delay_alu instid0(VALU_DEP_2) | instskip(NEXT) | instid1(VALU_DEP_2)
	v_and_b32_e32 v163, 3, v163
	v_cmp_eq_u32_e32 vcc_lo, 0, v160
	s_delay_alu instid0(VALU_DEP_2) | instskip(NEXT) | instid1(VALU_DEP_1)
	v_dual_cndmask_b32 v160, v160, v162 :: v_dual_cndmask_b32 v161, v161, v163
	v_lshl_add_u32 v160, v160, 23, 0x37800000
	s_delay_alu instid0(VALU_DEP_2) | instskip(NEXT) | instid1(VALU_DEP_1)
	v_lshlrev_b32_e32 v161, 21, v161
	v_or3_b32 v160, v151, v160, v161
.LBB6_232:                              ;   in Loop: Header=BB6_144 Depth=2
	s_or_b32 exec_lo, exec_lo, s24
	s_delay_alu instid0(VALU_DEP_1) | instskip(NEXT) | instid1(VALU_DEP_1)
	v_mul_f32_e32 v151, v150, v160
	v_and_b32_e32 v150, 0x7f800000, v151
	s_delay_alu instid0(VALU_DEP_1)
	v_cmp_ne_u32_e32 vcc_lo, 0x7f800000, v150
	v_mov_b32_e32 v150, 0x8000
	s_and_saveexec_b32 s24, vcc_lo
	s_cbranch_execz .LBB6_240
; %bb.233:                              ;   in Loop: Header=BB6_144 Depth=2
	v_mov_b32_e32 v150, 0
	s_mov_b32 s25, exec_lo
	v_cmpx_ne_u32_e32 0, v151
	s_cbranch_execz .LBB6_239
; %bb.234:                              ;   in Loop: Header=BB6_144 Depth=2
	v_bfe_u32 v150, v151, 23, 8
	s_delay_alu instid0(VALU_DEP_1) | instskip(SKIP_1) | instid1(VALU_DEP_2)
	v_sub_nc_u32_e32 v161, 0x70, v150
	v_cmp_gt_u32_e32 vcc_lo, 0x71, v150
	v_dual_cndmask_b32 v161, 0, v161 :: v_dual_and_b32 v160, 0x7fffff, v151
	s_delay_alu instid0(VALU_DEP_1) | instskip(SKIP_2) | instid1(VALU_DEP_4)
	v_or_b32_e32 v162, 0x800000, v160
	v_cmp_eq_u32_e32 vcc_lo, 0, v150
	v_add_nc_u32_e32 v150, 0xffffff91, v150
	v_cndmask_b32_e64 v161, v161, 0x6f, vcc_lo
	s_delay_alu instid0(VALU_DEP_2) | instskip(SKIP_1) | instid1(VALU_DEP_3)
	v_cndmask_b32_e64 v150, v150, 0xffffff92, vcc_lo
	v_cndmask_b32_e32 v160, v162, v160, vcc_lo
	v_lshl_add_u32 v162, 0x200000, v161, -1
	v_lshlrev_b32_e64 v165, v161, 0x100000
	s_delay_alu instid0(VALU_DEP_3) | instskip(SKIP_1) | instid1(VALU_DEP_4)
	v_lshrrev_b32_e32 v163, v161, v160
	v_add_nc_u32_e32 v161, v161, v150
	v_and_b32_e32 v160, v162, v160
	s_delay_alu instid0(VALU_DEP_3) | instskip(NEXT) | instid1(VALU_DEP_2)
	v_bfe_u32 v164, v163, 21, 1
	v_cmp_eq_u32_e64 s11, v160, v165
	s_delay_alu instid0(VALU_DEP_2) | instskip(NEXT) | instid1(VALU_DEP_1)
	v_add_nc_u32_e32 v162, -1, v164
	v_cndmask_b32_e64 v160, 0, v162, s11
	v_lshrrev_b32_e32 v162, 23, v163
	s_mov_b32 s11, exec_lo
	s_delay_alu instid0(VALU_DEP_2) | instskip(NEXT) | instid1(VALU_DEP_2)
	v_add_nc_u32_e32 v160, v160, v163
	v_xor_b32_e32 v162, 1, v162
	s_delay_alu instid0(VALU_DEP_2) | instskip(NEXT) | instid1(VALU_DEP_1)
	v_and_b32_e32 v150, 0x1fffff, v160
	v_add_nc_u32_e32 v160, v150, v163
                                        ; implicit-def: $vgpr150
	s_delay_alu instid0(VALU_DEP_3)
	v_cmpx_ne_u32_e64 v161, v162
	s_xor_b32 s11, exec_lo, s11
; %bb.235:                              ;   in Loop: Header=BB6_144 Depth=2
	s_delay_alu instid0(VALU_DEP_2) | instskip(SKIP_2) | instid1(VALU_DEP_2)
	v_cmp_lt_u32_e32 vcc_lo, 0xffffff, v160
	v_sub_nc_u32_e32 v150, v161, v162
	v_cndmask_b32_e64 v161, 0, 1, vcc_lo
	v_add_co_ci_u32_e32 v150, vcc_lo, 0, v150, vcc_lo
	s_delay_alu instid0(VALU_DEP_2)
	v_lshrrev_b32_e32 v160, v161, v160
; %bb.236:                              ;   in Loop: Header=BB6_144 Depth=2
	s_and_not1_saveexec_b32 s11, s11
; %bb.237:                              ;   in Loop: Header=BB6_144 Depth=2
	s_delay_alu instid0(VALU_DEP_1)
	v_bfe_u32 v150, v160, 23, 1
; %bb.238:                              ;   in Loop: Header=BB6_144 Depth=2
	s_or_b32 exec_lo, exec_lo, s11
	v_lshrrev_b32_e32 v160, 21, v160
	s_delay_alu instid0(VALU_DEP_2) | instskip(SKIP_2) | instid1(VALU_DEP_2)
	v_cmp_gt_i32_e32 vcc_lo, 32, v150
	v_min_i32_e32 v161, 31, v150
	v_lshrrev_b32_e32 v151, 24, v151
	v_dual_cndmask_b32 v160, 3, v160 :: v_dual_lshlrev_b32 v161, 2, v161
	s_delay_alu instid0(VALU_DEP_2) | instskip(NEXT) | instid1(VALU_DEP_2)
	v_and_b32_e32 v151, 0x80, v151
	v_or_b32_e32 v150, v150, v160
	v_and_b32_e32 v162, 3, v160
	s_delay_alu instid0(VALU_DEP_2) | instskip(SKIP_1) | instid1(VALU_DEP_1)
	v_cmp_ne_u32_e32 vcc_lo, 0, v150
	v_and_b32_e32 v161, 0xfc, v161
	v_or3_b32 v151, v151, v161, v162
	s_delay_alu instid0(VALU_DEP_1) | instskip(NEXT) | instid1(VALU_DEP_1)
	v_lshlrev_b32_e32 v151, 8, v151
	v_cndmask_b32_e32 v150, 0, v151, vcc_lo
.LBB6_239:                              ;   in Loop: Header=BB6_144 Depth=2
	s_or_b32 exec_lo, exec_lo, s25
.LBB6_240:                              ;   in Loop: Header=BB6_144 Depth=2
	s_delay_alu instid0(SALU_CYCLE_1) | instskip(SKIP_3) | instid1(VALU_DEP_1)
	s_or_b32 exec_lo, exec_lo, s24
	v_lshrrev_b32_e32 v160, 16, v49
	s_mov_b32 s11, 0
	s_mov_b32 s25, exec_lo
                                        ; implicit-def: $sgpr24
	v_and_b32_e32 v161, 0xff, v160
	s_delay_alu instid0(VALU_DEP_1)
	v_cmpx_lt_i16_e64 0x7f, v161
	s_xor_b32 s25, exec_lo, s25
	s_cbranch_execnz .LBB6_1214
; %bb.241:                              ;   in Loop: Header=BB6_144 Depth=2
	s_or_saveexec_b32 s25, s25
	v_mov_b32_e32 v151, s24
	s_xor_b32 exec_lo, exec_lo, s25
	s_cbranch_execnz .LBB6_1217
.LBB6_242:                              ;   in Loop: Header=BB6_144 Depth=2
	s_or_b32 exec_lo, exec_lo, s25
	s_and_saveexec_b32 s24, s11
	s_cbranch_execz .LBB6_244
.LBB6_243:                              ;   in Loop: Header=BB6_144 Depth=2
	v_bfe_u32 v151, v49, 16, 2
	v_lshlrev_b32_e32 v163, 8, v49
	s_delay_alu instid0(VALU_DEP_2) | instskip(NEXT) | instid1(VALU_DEP_1)
	v_clz_i32_u32_e32 v161, v151
	v_min_u32_e32 v161, 32, v161
	s_delay_alu instid0(VALU_DEP_1) | instskip(SKIP_1) | instid1(VALU_DEP_2)
	v_subrev_nc_u32_e32 v162, 29, v161
	v_sub_nc_u32_e32 v161, 30, v161
	v_lshlrev_b32_e32 v160, v162, v160
	v_bfe_u32 v162, v49, 18, 5
	s_delay_alu instid0(VALU_DEP_1) | instskip(NEXT) | instid1(VALU_DEP_3)
	v_cmp_eq_u32_e32 vcc_lo, 0, v162
	v_dual_cndmask_b32 v161, v162, v161 :: v_dual_and_b32 v160, 3, v160
	s_delay_alu instid0(VALU_DEP_1) | instskip(NEXT) | instid1(VALU_DEP_2)
	v_dual_cndmask_b32 v151, v151, v160 :: v_dual_and_b32 v160, 0x80000000, v163
	v_lshl_add_u32 v161, v161, 23, 0x37800000
	s_delay_alu instid0(VALU_DEP_2) | instskip(NEXT) | instid1(VALU_DEP_1)
	v_lshlrev_b32_e32 v151, 21, v151
	v_or3_b32 v151, v160, v161, v151
.LBB6_244:                              ;   in Loop: Header=BB6_144 Depth=2
	s_or_b32 exec_lo, exec_lo, s24
	v_lshrrev_b32_e32 v160, 16, v37
	s_mov_b32 s11, 0
	s_mov_b32 s25, exec_lo
                                        ; implicit-def: $sgpr24
	s_delay_alu instid0(VALU_DEP_1) | instskip(NEXT) | instid1(VALU_DEP_1)
	v_and_b32_e32 v162, 0xff, v160
	v_cmpx_lt_i16_e64 0x7f, v162
	s_xor_b32 s25, exec_lo, s25
	s_cbranch_execnz .LBB6_1218
; %bb.245:                              ;   in Loop: Header=BB6_144 Depth=2
	s_or_saveexec_b32 s25, s25
	v_mov_b32_e32 v161, s24
	s_xor_b32 exec_lo, exec_lo, s25
	s_cbranch_execnz .LBB6_1221
.LBB6_246:                              ;   in Loop: Header=BB6_144 Depth=2
	s_or_b32 exec_lo, exec_lo, s25
	s_and_saveexec_b32 s24, s11
	s_cbranch_execz .LBB6_248
.LBB6_247:                              ;   in Loop: Header=BB6_144 Depth=2
	v_bfe_u32 v161, v37, 16, 2
	v_lshlrev_b32_e32 v164, 8, v37
	s_delay_alu instid0(VALU_DEP_2) | instskip(NEXT) | instid1(VALU_DEP_1)
	v_clz_i32_u32_e32 v162, v161
	v_min_u32_e32 v162, 32, v162
	s_delay_alu instid0(VALU_DEP_1) | instskip(SKIP_1) | instid1(VALU_DEP_2)
	v_subrev_nc_u32_e32 v163, 29, v162
	v_sub_nc_u32_e32 v162, 30, v162
	v_lshlrev_b32_e32 v160, v163, v160
	v_bfe_u32 v163, v37, 18, 5
	s_delay_alu instid0(VALU_DEP_2) | instskip(NEXT) | instid1(VALU_DEP_2)
	v_and_b32_e32 v160, 3, v160
	v_cmp_eq_u32_e32 vcc_lo, 0, v163
	v_cndmask_b32_e32 v162, v163, v162, vcc_lo
	s_delay_alu instid0(VALU_DEP_3) | instskip(SKIP_1) | instid1(VALU_DEP_3)
	v_cndmask_b32_e32 v160, v161, v160, vcc_lo
	v_and_b32_e32 v161, 0x80000000, v164
	v_lshl_add_u32 v162, v162, 23, 0x37800000
	s_delay_alu instid0(VALU_DEP_3) | instskip(NEXT) | instid1(VALU_DEP_1)
	v_lshlrev_b32_e32 v160, 21, v160
	v_or3_b32 v161, v161, v162, v160
.LBB6_248:                              ;   in Loop: Header=BB6_144 Depth=2
	s_or_b32 exec_lo, exec_lo, s24
	s_delay_alu instid0(VALU_DEP_1) | instskip(NEXT) | instid1(VALU_DEP_1)
	v_mul_f32_e32 v160, v151, v161
	v_and_b32_e32 v151, 0x7f800000, v160
	s_delay_alu instid0(VALU_DEP_1)
	v_cmp_ne_u32_e32 vcc_lo, 0x7f800000, v151
	v_mov_b32_e32 v151, 0x80
	s_and_saveexec_b32 s24, vcc_lo
	s_cbranch_execz .LBB6_256
; %bb.249:                              ;   in Loop: Header=BB6_144 Depth=2
	v_mov_b32_e32 v151, 0
	s_mov_b32 s25, exec_lo
	v_cmpx_ne_u32_e32 0, v160
	s_cbranch_execz .LBB6_255
; %bb.250:                              ;   in Loop: Header=BB6_144 Depth=2
	v_bfe_u32 v151, v160, 23, 8
	s_delay_alu instid0(VALU_DEP_1) | instskip(SKIP_1) | instid1(VALU_DEP_2)
	v_sub_nc_u32_e32 v162, 0x70, v151
	v_cmp_gt_u32_e32 vcc_lo, 0x71, v151
	v_dual_cndmask_b32 v162, 0, v162 :: v_dual_and_b32 v161, 0x7fffff, v160
	s_delay_alu instid0(VALU_DEP_1) | instskip(SKIP_2) | instid1(VALU_DEP_4)
	v_or_b32_e32 v163, 0x800000, v161
	v_cmp_eq_u32_e32 vcc_lo, 0, v151
	v_add_nc_u32_e32 v151, 0xffffff91, v151
	v_cndmask_b32_e64 v162, v162, 0x6f, vcc_lo
	s_delay_alu instid0(VALU_DEP_2) | instskip(SKIP_1) | instid1(VALU_DEP_3)
	v_cndmask_b32_e64 v151, v151, 0xffffff92, vcc_lo
	v_cndmask_b32_e32 v161, v163, v161, vcc_lo
	v_lshl_add_u32 v163, 0x200000, v162, -1
	v_lshlrev_b32_e64 v166, v162, 0x100000
	s_delay_alu instid0(VALU_DEP_3) | instskip(SKIP_1) | instid1(VALU_DEP_4)
	v_lshrrev_b32_e32 v164, v162, v161
	v_add_nc_u32_e32 v162, v162, v151
	v_and_b32_e32 v161, v163, v161
	s_delay_alu instid0(VALU_DEP_3) | instskip(NEXT) | instid1(VALU_DEP_2)
	v_bfe_u32 v165, v164, 21, 1
	v_cmp_eq_u32_e64 s11, v161, v166
	s_delay_alu instid0(VALU_DEP_2) | instskip(NEXT) | instid1(VALU_DEP_1)
	v_add_nc_u32_e32 v163, -1, v165
	v_cndmask_b32_e64 v161, 0, v163, s11
	v_lshrrev_b32_e32 v163, 23, v164
	s_mov_b32 s11, exec_lo
	s_delay_alu instid0(VALU_DEP_2) | instskip(NEXT) | instid1(VALU_DEP_2)
	v_add_nc_u32_e32 v161, v161, v164
	v_xor_b32_e32 v163, 1, v163
	s_delay_alu instid0(VALU_DEP_2) | instskip(NEXT) | instid1(VALU_DEP_1)
	v_and_b32_e32 v151, 0x1fffff, v161
	v_add_nc_u32_e32 v161, v151, v164
                                        ; implicit-def: $vgpr151
	s_delay_alu instid0(VALU_DEP_3)
	v_cmpx_ne_u32_e64 v162, v163
	s_xor_b32 s11, exec_lo, s11
; %bb.251:                              ;   in Loop: Header=BB6_144 Depth=2
	s_delay_alu instid0(VALU_DEP_2) | instskip(SKIP_2) | instid1(VALU_DEP_2)
	v_cmp_lt_u32_e32 vcc_lo, 0xffffff, v161
	v_sub_nc_u32_e32 v151, v162, v163
	v_cndmask_b32_e64 v162, 0, 1, vcc_lo
	v_add_co_ci_u32_e32 v151, vcc_lo, 0, v151, vcc_lo
	s_delay_alu instid0(VALU_DEP_2)
	v_lshrrev_b32_e32 v161, v162, v161
; %bb.252:                              ;   in Loop: Header=BB6_144 Depth=2
	s_and_not1_saveexec_b32 s11, s11
; %bb.253:                              ;   in Loop: Header=BB6_144 Depth=2
	s_delay_alu instid0(VALU_DEP_1)
	v_bfe_u32 v151, v161, 23, 1
; %bb.254:                              ;   in Loop: Header=BB6_144 Depth=2
	s_or_b32 exec_lo, exec_lo, s11
	v_lshrrev_b32_e32 v161, 21, v161
	s_delay_alu instid0(VALU_DEP_2) | instskip(SKIP_2) | instid1(VALU_DEP_2)
	v_cmp_gt_i32_e32 vcc_lo, 32, v151
	v_min_i32_e32 v162, 31, v151
	v_lshrrev_b32_e32 v160, 24, v160
	v_dual_cndmask_b32 v161, 3, v161 :: v_dual_lshlrev_b32 v162, 2, v162
	s_delay_alu instid0(VALU_DEP_2) | instskip(NEXT) | instid1(VALU_DEP_2)
	v_and_b32_e32 v160, 0x80, v160
	v_or_b32_e32 v151, v151, v161
	v_and_b32_e32 v163, 3, v161
	s_delay_alu instid0(VALU_DEP_2) | instskip(SKIP_1) | instid1(VALU_DEP_1)
	v_cmp_ne_u32_e32 vcc_lo, 0, v151
	v_and_b32_e32 v162, 0xfc, v162
	v_or3_b32 v160, v162, v160, v163
	s_delay_alu instid0(VALU_DEP_1)
	v_cndmask_b32_e32 v151, 0, v160, vcc_lo
.LBB6_255:                              ;   in Loop: Header=BB6_144 Depth=2
	s_or_b32 exec_lo, exec_lo, s25
.LBB6_256:                              ;   in Loop: Header=BB6_144 Depth=2
	s_delay_alu instid0(SALU_CYCLE_1) | instskip(SKIP_3) | instid1(VALU_DEP_1)
	s_or_b32 exec_lo, exec_lo, s24
	v_lshrrev_b32_e32 v161, 24, v49
	s_mov_b32 s11, 0
	s_mov_b32 s25, exec_lo
                                        ; implicit-def: $sgpr24
	v_cmpx_lt_i16_e64 0x7f, v161
	s_xor_b32 s25, exec_lo, s25
	s_cbranch_execnz .LBB6_1222
; %bb.257:                              ;   in Loop: Header=BB6_144 Depth=2
	s_or_saveexec_b32 s25, s25
	v_mov_b32_e32 v160, s24
	s_xor_b32 exec_lo, exec_lo, s25
	s_cbranch_execnz .LBB6_1225
.LBB6_258:                              ;   in Loop: Header=BB6_144 Depth=2
	s_or_b32 exec_lo, exec_lo, s25
	s_and_saveexec_b32 s24, s11
	s_cbranch_execz .LBB6_260
.LBB6_259:                              ;   in Loop: Header=BB6_144 Depth=2
	v_bfe_u32 v160, v49, 24, 2
	s_delay_alu instid0(VALU_DEP_1) | instskip(NEXT) | instid1(VALU_DEP_1)
	v_clz_i32_u32_e32 v162, v160
	v_min_u32_e32 v162, 32, v162
	s_delay_alu instid0(VALU_DEP_1) | instskip(SKIP_1) | instid1(VALU_DEP_2)
	v_subrev_nc_u32_e32 v163, 29, v162
	v_sub_nc_u32_e32 v162, 30, v162
	v_lshlrev_b32_e32 v161, v163, v161
	v_bfe_u32 v163, v49, 26, 5
	v_and_b32_e32 v49, 0x80000000, v49
	s_delay_alu instid0(VALU_DEP_2) | instskip(NEXT) | instid1(VALU_DEP_4)
	v_cmp_eq_u32_e32 vcc_lo, 0, v163
	v_dual_cndmask_b32 v162, v163, v162 :: v_dual_and_b32 v161, 3, v161
	s_delay_alu instid0(VALU_DEP_1) | instskip(NEXT) | instid1(VALU_DEP_2)
	v_cndmask_b32_e32 v160, v160, v161, vcc_lo
	v_lshl_add_u32 v161, v162, 23, 0x37800000
	s_delay_alu instid0(VALU_DEP_2) | instskip(NEXT) | instid1(VALU_DEP_1)
	v_lshlrev_b32_e32 v160, 21, v160
	v_or3_b32 v160, v49, v161, v160
.LBB6_260:                              ;   in Loop: Header=BB6_144 Depth=2
	s_or_b32 exec_lo, exec_lo, s24
	v_lshrrev_b32_e32 v49, 24, v37
	s_mov_b32 s11, 0
	s_mov_b32 s25, exec_lo
                                        ; implicit-def: $sgpr24
	s_delay_alu instid0(VALU_DEP_1)
	v_cmpx_lt_i16_e32 0x7f, v49
	s_xor_b32 s25, exec_lo, s25
	s_cbranch_execnz .LBB6_1226
; %bb.261:                              ;   in Loop: Header=BB6_144 Depth=2
	s_or_saveexec_b32 s25, s25
	v_mov_b32_e32 v161, s24
	s_xor_b32 exec_lo, exec_lo, s25
	s_cbranch_execnz .LBB6_1229
.LBB6_262:                              ;   in Loop: Header=BB6_144 Depth=2
	s_or_b32 exec_lo, exec_lo, s25
	s_and_saveexec_b32 s24, s11
	s_cbranch_execz .LBB6_264
.LBB6_263:                              ;   in Loop: Header=BB6_144 Depth=2
	v_bfe_u32 v161, v37, 24, 2
	s_delay_alu instid0(VALU_DEP_1) | instskip(NEXT) | instid1(VALU_DEP_1)
	v_clz_i32_u32_e32 v162, v161
	v_min_u32_e32 v162, 32, v162
	s_delay_alu instid0(VALU_DEP_1) | instskip(SKIP_1) | instid1(VALU_DEP_2)
	v_subrev_nc_u32_e32 v163, 29, v162
	v_sub_nc_u32_e32 v162, 30, v162
	v_lshlrev_b32_e32 v49, v163, v49
	v_bfe_u32 v163, v37, 26, 5
	v_and_b32_e32 v37, 0x80000000, v37
	s_delay_alu instid0(VALU_DEP_2) | instskip(NEXT) | instid1(VALU_DEP_4)
	v_cmp_eq_u32_e32 vcc_lo, 0, v163
	v_dual_cndmask_b32 v162, v163, v162 :: v_dual_and_b32 v49, 3, v49
	s_delay_alu instid0(VALU_DEP_1) | instskip(NEXT) | instid1(VALU_DEP_2)
	v_cndmask_b32_e32 v49, v161, v49, vcc_lo
	v_lshl_add_u32 v161, v162, 23, 0x37800000
	s_delay_alu instid0(VALU_DEP_2) | instskip(NEXT) | instid1(VALU_DEP_1)
	v_lshlrev_b32_e32 v49, 21, v49
	v_or3_b32 v161, v37, v161, v49
.LBB6_264:                              ;   in Loop: Header=BB6_144 Depth=2
	s_or_b32 exec_lo, exec_lo, s24
	s_delay_alu instid0(VALU_DEP_1) | instskip(NEXT) | instid1(VALU_DEP_1)
	v_mul_f32_e32 v49, v160, v161
	v_and_b32_e32 v37, 0x7f800000, v49
	s_delay_alu instid0(VALU_DEP_1)
	v_cmp_ne_u32_e32 vcc_lo, 0x7f800000, v37
	v_mov_b32_e32 v37, 0x8000
	s_and_saveexec_b32 s24, vcc_lo
	s_cbranch_execz .LBB6_272
; %bb.265:                              ;   in Loop: Header=BB6_144 Depth=2
	v_mov_b32_e32 v37, 0
	s_mov_b32 s25, exec_lo
	v_cmpx_ne_u32_e32 0, v49
	s_cbranch_execz .LBB6_271
; %bb.266:                              ;   in Loop: Header=BB6_144 Depth=2
	v_bfe_u32 v37, v49, 23, 8
	v_and_b32_e32 v160, 0x7fffff, v49
	s_delay_alu instid0(VALU_DEP_2) | instskip(SKIP_1) | instid1(VALU_DEP_3)
	v_sub_nc_u32_e32 v161, 0x70, v37
	v_cmp_gt_u32_e32 vcc_lo, 0x71, v37
	v_or_b32_e32 v162, 0x800000, v160
	s_delay_alu instid0(VALU_DEP_3) | instskip(SKIP_1) | instid1(VALU_DEP_3)
	v_cndmask_b32_e32 v161, 0, v161, vcc_lo
	v_cmp_eq_u32_e32 vcc_lo, 0, v37
	v_dual_cndmask_b32 v160, v162, v160 :: v_dual_add_nc_u32 v37, 0xffffff91, v37
	s_delay_alu instid0(VALU_DEP_3) | instskip(NEXT) | instid1(VALU_DEP_2)
	v_cndmask_b32_e64 v161, v161, 0x6f, vcc_lo
	v_cndmask_b32_e64 v37, v37, 0xffffff92, vcc_lo
	s_delay_alu instid0(VALU_DEP_2) | instskip(SKIP_2) | instid1(VALU_DEP_4)
	v_lshrrev_b32_e32 v163, v161, v160
	v_lshl_add_u32 v162, 0x200000, v161, -1
	v_lshlrev_b32_e64 v165, v161, 0x100000
	v_add_nc_u32_e32 v161, v161, v37
	s_delay_alu instid0(VALU_DEP_4) | instskip(NEXT) | instid1(VALU_DEP_4)
	v_bfe_u32 v164, v163, 21, 1
	v_and_b32_e32 v160, v162, v160
	s_delay_alu instid0(VALU_DEP_2) | instskip(NEXT) | instid1(VALU_DEP_2)
	v_add_nc_u32_e32 v162, -1, v164
	v_cmp_eq_u32_e64 s11, v160, v165
	s_delay_alu instid0(VALU_DEP_1) | instskip(SKIP_2) | instid1(VALU_DEP_2)
	v_cndmask_b32_e64 v160, 0, v162, s11
	v_lshrrev_b32_e32 v162, 23, v163
	s_mov_b32 s11, exec_lo
	v_add_nc_u32_e32 v160, v160, v163
	s_delay_alu instid0(VALU_DEP_2) | instskip(NEXT) | instid1(VALU_DEP_2)
	v_xor_b32_e32 v162, 1, v162
	v_and_b32_e32 v37, 0x1fffff, v160
	s_delay_alu instid0(VALU_DEP_1) | instskip(NEXT) | instid1(VALU_DEP_3)
	v_add_nc_u32_e32 v160, v37, v163
                                        ; implicit-def: $vgpr37
	v_cmpx_ne_u32_e64 v161, v162
	s_xor_b32 s11, exec_lo, s11
; %bb.267:                              ;   in Loop: Header=BB6_144 Depth=2
	s_delay_alu instid0(VALU_DEP_2) | instskip(SKIP_2) | instid1(VALU_DEP_2)
	v_cmp_lt_u32_e32 vcc_lo, 0xffffff, v160
	v_sub_nc_u32_e32 v37, v161, v162
	v_cndmask_b32_e64 v161, 0, 1, vcc_lo
	v_add_co_ci_u32_e32 v37, vcc_lo, 0, v37, vcc_lo
	s_delay_alu instid0(VALU_DEP_2)
	v_lshrrev_b32_e32 v160, v161, v160
; %bb.268:                              ;   in Loop: Header=BB6_144 Depth=2
	s_and_not1_saveexec_b32 s11, s11
; %bb.269:                              ;   in Loop: Header=BB6_144 Depth=2
	s_delay_alu instid0(VALU_DEP_1)
	v_bfe_u32 v37, v160, 23, 1
; %bb.270:                              ;   in Loop: Header=BB6_144 Depth=2
	s_or_b32 exec_lo, exec_lo, s11
	v_lshrrev_b32_e32 v160, 21, v160
	s_delay_alu instid0(VALU_DEP_2) | instskip(SKIP_2) | instid1(VALU_DEP_2)
	v_cmp_gt_i32_e32 vcc_lo, 32, v37
	v_min_i32_e32 v161, 31, v37
	v_lshrrev_b32_e32 v49, 24, v49
	v_dual_cndmask_b32 v160, 3, v160 :: v_dual_lshlrev_b32 v161, 2, v161
	s_delay_alu instid0(VALU_DEP_2) | instskip(NEXT) | instid1(VALU_DEP_2)
	v_and_b32_e32 v49, 0x80, v49
	v_or_b32_e32 v37, v37, v160
	s_delay_alu instid0(VALU_DEP_3) | instskip(NEXT) | instid1(VALU_DEP_2)
	v_and_b32_e32 v161, 0xfc, v161
	v_cmp_ne_u32_e32 vcc_lo, 0, v37
	v_and_b32_e32 v162, 3, v160
	s_delay_alu instid0(VALU_DEP_1) | instskip(NEXT) | instid1(VALU_DEP_1)
	v_or3_b32 v49, v49, v161, v162
	v_lshlrev_b32_e32 v49, 8, v49
	s_delay_alu instid0(VALU_DEP_1)
	v_cndmask_b32_e32 v37, 0, v49, vcc_lo
.LBB6_271:                              ;   in Loop: Header=BB6_144 Depth=2
	s_or_b32 exec_lo, exec_lo, s25
.LBB6_272:                              ;   in Loop: Header=BB6_144 Depth=2
	s_delay_alu instid0(SALU_CYCLE_1) | instskip(SKIP_3) | instid1(VALU_DEP_1)
	s_or_b32 exec_lo, exec_lo, s24
	v_and_b32_e32 v160, 0xff, v50
	s_mov_b32 s11, 0
	s_mov_b32 s25, exec_lo
                                        ; implicit-def: $sgpr24
	v_cmpx_lt_i16_e64 0x7f, v160
	s_xor_b32 s25, exec_lo, s25
	s_cbranch_execnz .LBB6_1230
; %bb.273:                              ;   in Loop: Header=BB6_144 Depth=2
	s_or_saveexec_b32 s25, s25
	v_mov_b32_e32 v49, s24
	s_xor_b32 exec_lo, exec_lo, s25
	s_cbranch_execnz .LBB6_1233
.LBB6_274:                              ;   in Loop: Header=BB6_144 Depth=2
	s_or_b32 exec_lo, exec_lo, s25
	s_and_saveexec_b32 s24, s11
	s_cbranch_execz .LBB6_276
.LBB6_275:                              ;   in Loop: Header=BB6_144 Depth=2
	v_bfe_u32 v162, v50, 2, 5
	v_lshlrev_b32_e32 v163, 24, v50
	s_delay_alu instid0(VALU_DEP_2) | instskip(SKIP_1) | instid1(VALU_DEP_1)
	v_cmp_eq_u32_e32 vcc_lo, 0, v162
	v_and_b32_e32 v49, 3, v50
	v_clz_i32_u32_e32 v160, v49
	s_delay_alu instid0(VALU_DEP_1) | instskip(NEXT) | instid1(VALU_DEP_1)
	v_min_u32_e32 v160, 32, v160
	v_subrev_nc_u32_e32 v161, 29, v160
	v_sub_nc_u32_e32 v160, 30, v160
	s_delay_alu instid0(VALU_DEP_1) | instskip(NEXT) | instid1(VALU_DEP_1)
	v_dual_cndmask_b32 v160, v162, v160 :: v_dual_lshlrev_b32 v161, v161, v50
	v_and_b32_e32 v161, 3, v161
	s_delay_alu instid0(VALU_DEP_2) | instskip(NEXT) | instid1(VALU_DEP_2)
	v_lshl_add_u32 v160, v160, 23, 0x37800000
	v_cndmask_b32_e32 v49, v49, v161, vcc_lo
	v_and_b32_e32 v161, 0x80000000, v163
	s_delay_alu instid0(VALU_DEP_2) | instskip(NEXT) | instid1(VALU_DEP_1)
	v_lshlrev_b32_e32 v49, 21, v49
	v_or3_b32 v49, v161, v160, v49
.LBB6_276:                              ;   in Loop: Header=BB6_144 Depth=2
	s_or_b32 exec_lo, exec_lo, s24
	v_and_b32_e32 v161, 0xff, v38
	s_mov_b32 s11, 0
	s_mov_b32 s25, exec_lo
                                        ; implicit-def: $sgpr24
	s_delay_alu instid0(VALU_DEP_1)
	v_cmpx_lt_i16_e64 0x7f, v161
	s_xor_b32 s25, exec_lo, s25
	s_cbranch_execnz .LBB6_1234
; %bb.277:                              ;   in Loop: Header=BB6_144 Depth=2
	s_or_saveexec_b32 s25, s25
	v_mov_b32_e32 v160, s24
	s_xor_b32 exec_lo, exec_lo, s25
	s_cbranch_execnz .LBB6_1237
.LBB6_278:                              ;   in Loop: Header=BB6_144 Depth=2
	s_or_b32 exec_lo, exec_lo, s25
	s_and_saveexec_b32 s24, s11
	s_cbranch_execz .LBB6_280
.LBB6_279:                              ;   in Loop: Header=BB6_144 Depth=2
	v_bfe_u32 v163, v38, 2, 5
	v_lshlrev_b32_e32 v164, 24, v38
	s_delay_alu instid0(VALU_DEP_2) | instskip(SKIP_1) | instid1(VALU_DEP_1)
	v_cmp_eq_u32_e32 vcc_lo, 0, v163
	v_and_b32_e32 v160, 3, v38
	v_clz_i32_u32_e32 v161, v160
	s_delay_alu instid0(VALU_DEP_1) | instskip(NEXT) | instid1(VALU_DEP_1)
	v_min_u32_e32 v161, 32, v161
	v_subrev_nc_u32_e32 v162, 29, v161
	v_sub_nc_u32_e32 v161, 30, v161
	s_delay_alu instid0(VALU_DEP_1) | instskip(NEXT) | instid1(VALU_DEP_1)
	v_dual_cndmask_b32 v161, v163, v161 :: v_dual_lshlrev_b32 v162, v162, v38
	v_and_b32_e32 v162, 3, v162
	s_delay_alu instid0(VALU_DEP_2) | instskip(NEXT) | instid1(VALU_DEP_2)
	v_lshl_add_u32 v161, v161, 23, 0x37800000
	v_cndmask_b32_e32 v160, v160, v162, vcc_lo
	v_and_b32_e32 v162, 0x80000000, v164
	s_delay_alu instid0(VALU_DEP_2) | instskip(NEXT) | instid1(VALU_DEP_1)
	v_lshlrev_b32_e32 v160, 21, v160
	v_or3_b32 v160, v162, v161, v160
.LBB6_280:                              ;   in Loop: Header=BB6_144 Depth=2
	s_or_b32 exec_lo, exec_lo, s24
	s_delay_alu instid0(VALU_DEP_1) | instskip(NEXT) | instid1(VALU_DEP_1)
	v_mul_f32_e32 v160, v49, v160
	v_and_b32_e32 v49, 0x7f800000, v160
	s_delay_alu instid0(VALU_DEP_1)
	v_cmp_ne_u32_e32 vcc_lo, 0x7f800000, v49
	v_mov_b32_e32 v49, 0x80
	s_and_saveexec_b32 s24, vcc_lo
	s_cbranch_execz .LBB6_288
; %bb.281:                              ;   in Loop: Header=BB6_144 Depth=2
	v_mov_b32_e32 v49, 0
	s_mov_b32 s25, exec_lo
	v_cmpx_ne_u32_e32 0, v160
	s_cbranch_execz .LBB6_287
; %bb.282:                              ;   in Loop: Header=BB6_144 Depth=2
	v_bfe_u32 v49, v160, 23, 8
	s_delay_alu instid0(VALU_DEP_1) | instskip(SKIP_1) | instid1(VALU_DEP_2)
	v_sub_nc_u32_e32 v162, 0x70, v49
	v_cmp_gt_u32_e32 vcc_lo, 0x71, v49
	v_dual_cndmask_b32 v162, 0, v162 :: v_dual_and_b32 v161, 0x7fffff, v160
	s_delay_alu instid0(VALU_DEP_1) | instskip(SKIP_2) | instid1(VALU_DEP_4)
	v_or_b32_e32 v163, 0x800000, v161
	v_cmp_eq_u32_e32 vcc_lo, 0, v49
	v_add_nc_u32_e32 v49, 0xffffff91, v49
	v_cndmask_b32_e64 v162, v162, 0x6f, vcc_lo
	s_delay_alu instid0(VALU_DEP_4) | instskip(NEXT) | instid1(VALU_DEP_3)
	v_cndmask_b32_e32 v161, v163, v161, vcc_lo
	v_cndmask_b32_e64 v49, v49, 0xffffff92, vcc_lo
	s_delay_alu instid0(VALU_DEP_3) | instskip(NEXT) | instid1(VALU_DEP_3)
	v_lshl_add_u32 v163, 0x200000, v162, -1
	v_lshrrev_b32_e32 v164, v162, v161
	v_lshlrev_b32_e64 v166, v162, 0x100000
	s_delay_alu instid0(VALU_DEP_4) | instskip(NEXT) | instid1(VALU_DEP_4)
	v_add_nc_u32_e32 v162, v162, v49
	v_and_b32_e32 v161, v163, v161
	s_delay_alu instid0(VALU_DEP_4) | instskip(NEXT) | instid1(VALU_DEP_2)
	v_bfe_u32 v165, v164, 21, 1
	v_cmp_eq_u32_e64 s11, v161, v166
	s_delay_alu instid0(VALU_DEP_2) | instskip(NEXT) | instid1(VALU_DEP_1)
	v_add_nc_u32_e32 v163, -1, v165
	v_cndmask_b32_e64 v161, 0, v163, s11
	v_lshrrev_b32_e32 v163, 23, v164
	s_mov_b32 s11, exec_lo
	s_delay_alu instid0(VALU_DEP_2) | instskip(NEXT) | instid1(VALU_DEP_2)
	v_add_nc_u32_e32 v161, v161, v164
	v_xor_b32_e32 v163, 1, v163
	s_delay_alu instid0(VALU_DEP_2) | instskip(NEXT) | instid1(VALU_DEP_1)
	v_and_b32_e32 v49, 0x1fffff, v161
	v_add_nc_u32_e32 v161, v49, v164
                                        ; implicit-def: $vgpr49
	s_delay_alu instid0(VALU_DEP_3)
	v_cmpx_ne_u32_e64 v162, v163
	s_xor_b32 s11, exec_lo, s11
; %bb.283:                              ;   in Loop: Header=BB6_144 Depth=2
	s_delay_alu instid0(VALU_DEP_2) | instskip(SKIP_2) | instid1(VALU_DEP_2)
	v_cmp_lt_u32_e32 vcc_lo, 0xffffff, v161
	v_sub_nc_u32_e32 v49, v162, v163
	v_cndmask_b32_e64 v162, 0, 1, vcc_lo
	v_add_co_ci_u32_e32 v49, vcc_lo, 0, v49, vcc_lo
	s_delay_alu instid0(VALU_DEP_2)
	v_lshrrev_b32_e32 v161, v162, v161
; %bb.284:                              ;   in Loop: Header=BB6_144 Depth=2
	s_and_not1_saveexec_b32 s11, s11
; %bb.285:                              ;   in Loop: Header=BB6_144 Depth=2
	s_delay_alu instid0(VALU_DEP_1)
	v_bfe_u32 v49, v161, 23, 1
; %bb.286:                              ;   in Loop: Header=BB6_144 Depth=2
	s_or_b32 exec_lo, exec_lo, s11
	v_lshrrev_b32_e32 v161, 21, v161
	s_delay_alu instid0(VALU_DEP_2) | instskip(SKIP_2) | instid1(VALU_DEP_2)
	v_cmp_gt_i32_e32 vcc_lo, 32, v49
	v_lshrrev_b32_e32 v160, 24, v160
	v_min_i32_e32 v162, 31, v49
	v_dual_cndmask_b32 v161, 3, v161 :: v_dual_and_b32 v160, 0x80, v160
	s_delay_alu instid0(VALU_DEP_1) | instskip(SKIP_1) | instid1(VALU_DEP_2)
	v_or_b32_e32 v49, v49, v161
	v_and_b32_e32 v163, 3, v161
	v_cmp_ne_u32_e32 vcc_lo, 0, v49
	v_lshlrev_b32_e32 v162, 2, v162
	s_delay_alu instid0(VALU_DEP_1) | instskip(NEXT) | instid1(VALU_DEP_1)
	v_or3_b32 v160, v162, v160, v163
	v_cndmask_b32_e32 v49, 0, v160, vcc_lo
.LBB6_287:                              ;   in Loop: Header=BB6_144 Depth=2
	s_or_b32 exec_lo, exec_lo, s25
.LBB6_288:                              ;   in Loop: Header=BB6_144 Depth=2
	s_delay_alu instid0(SALU_CYCLE_1) | instskip(SKIP_3) | instid1(VALU_DEP_1)
	s_or_b32 exec_lo, exec_lo, s24
	v_lshrrev_b16 v161, 8, v50
	s_mov_b32 s11, 0
	s_mov_b32 s25, exec_lo
                                        ; implicit-def: $sgpr24
	v_cmpx_lt_i16_e64 0x7f, v161
	s_xor_b32 s25, exec_lo, s25
	s_cbranch_execnz .LBB6_1238
; %bb.289:                              ;   in Loop: Header=BB6_144 Depth=2
	s_or_saveexec_b32 s25, s25
	v_mov_b32_e32 v160, s24
	s_xor_b32 exec_lo, exec_lo, s25
	s_cbranch_execnz .LBB6_1241
.LBB6_290:                              ;   in Loop: Header=BB6_144 Depth=2
	s_or_b32 exec_lo, exec_lo, s25
	s_and_saveexec_b32 s24, s11
	s_cbranch_execz .LBB6_292
.LBB6_291:                              ;   in Loop: Header=BB6_144 Depth=2
	v_and_b32_e32 v160, 0xffff, v161
	s_delay_alu instid0(VALU_DEP_1) | instskip(NEXT) | instid1(VALU_DEP_1)
	v_and_b32_e32 v162, 3, v160
	v_clz_i32_u32_e32 v163, v162
	s_delay_alu instid0(VALU_DEP_1) | instskip(NEXT) | instid1(VALU_DEP_1)
	v_min_u32_e32 v163, 32, v163
	v_subrev_nc_u32_e32 v164, 29, v163
	v_sub_nc_u32_e32 v163, 30, v163
	s_delay_alu instid0(VALU_DEP_2) | instskip(SKIP_1) | instid1(VALU_DEP_2)
	v_lshlrev_b32_e32 v164, v164, v160
	v_bfe_u32 v160, v160, 2, 5
	v_and_b32_e32 v164, 3, v164
	s_delay_alu instid0(VALU_DEP_2) | instskip(SKIP_1) | instid1(VALU_DEP_1)
	v_cmp_eq_u32_e32 vcc_lo, 0, v160
	v_dual_cndmask_b32 v160, v160, v163 :: v_dual_lshlrev_b32 v161, 24, v161
	v_dual_cndmask_b32 v162, v162, v164 :: v_dual_and_b32 v161, 0x80000000, v161
	s_delay_alu instid0(VALU_DEP_2) | instskip(NEXT) | instid1(VALU_DEP_2)
	v_lshl_add_u32 v160, v160, 23, 0x37800000
	v_lshlrev_b32_e32 v162, 21, v162
	s_delay_alu instid0(VALU_DEP_1)
	v_or3_b32 v160, v161, v160, v162
.LBB6_292:                              ;   in Loop: Header=BB6_144 Depth=2
	s_or_b32 exec_lo, exec_lo, s24
	v_lshrrev_b16 v161, 8, v38
	s_mov_b32 s11, 0
	s_mov_b32 s25, exec_lo
                                        ; implicit-def: $sgpr24
	s_delay_alu instid0(VALU_DEP_1)
	v_cmpx_lt_i16_e64 0x7f, v161
	s_xor_b32 s25, exec_lo, s25
	s_cbranch_execnz .LBB6_1242
; %bb.293:                              ;   in Loop: Header=BB6_144 Depth=2
	s_or_saveexec_b32 s25, s25
	v_mov_b32_e32 v162, s24
	s_xor_b32 exec_lo, exec_lo, s25
	s_cbranch_execnz .LBB6_1245
.LBB6_294:                              ;   in Loop: Header=BB6_144 Depth=2
	s_or_b32 exec_lo, exec_lo, s25
	s_and_saveexec_b32 s24, s11
	s_cbranch_execz .LBB6_296
.LBB6_295:                              ;   in Loop: Header=BB6_144 Depth=2
	v_and_b32_e32 v162, 0xffff, v161
	v_lshlrev_b32_e32 v161, 24, v161
	s_delay_alu instid0(VALU_DEP_2) | instskip(NEXT) | instid1(VALU_DEP_2)
	v_and_b32_e32 v163, 3, v162
	v_and_b32_e32 v161, 0x80000000, v161
	s_delay_alu instid0(VALU_DEP_2) | instskip(NEXT) | instid1(VALU_DEP_1)
	v_clz_i32_u32_e32 v164, v163
	v_min_u32_e32 v164, 32, v164
	s_delay_alu instid0(VALU_DEP_1) | instskip(SKIP_1) | instid1(VALU_DEP_2)
	v_subrev_nc_u32_e32 v165, 29, v164
	v_sub_nc_u32_e32 v164, 30, v164
	v_lshlrev_b32_e32 v165, v165, v162
	v_bfe_u32 v162, v162, 2, 5
	s_delay_alu instid0(VALU_DEP_2) | instskip(NEXT) | instid1(VALU_DEP_2)
	v_and_b32_e32 v165, 3, v165
	v_cmp_eq_u32_e32 vcc_lo, 0, v162
	s_delay_alu instid0(VALU_DEP_2) | instskip(NEXT) | instid1(VALU_DEP_1)
	v_dual_cndmask_b32 v162, v162, v164 :: v_dual_cndmask_b32 v163, v163, v165
	v_lshl_add_u32 v162, v162, 23, 0x37800000
	s_delay_alu instid0(VALU_DEP_2) | instskip(NEXT) | instid1(VALU_DEP_1)
	v_lshlrev_b32_e32 v163, 21, v163
	v_or3_b32 v162, v161, v162, v163
.LBB6_296:                              ;   in Loop: Header=BB6_144 Depth=2
	s_or_b32 exec_lo, exec_lo, s24
	s_delay_alu instid0(VALU_DEP_1) | instskip(NEXT) | instid1(VALU_DEP_1)
	v_mul_f32_e32 v161, v160, v162
	v_and_b32_e32 v160, 0x7f800000, v161
	s_delay_alu instid0(VALU_DEP_1)
	v_cmp_ne_u32_e32 vcc_lo, 0x7f800000, v160
	v_mov_b32_e32 v160, 0x80
	s_and_saveexec_b32 s24, vcc_lo
	s_cbranch_execz .LBB6_304
; %bb.297:                              ;   in Loop: Header=BB6_144 Depth=2
	v_mov_b32_e32 v160, 0
	s_mov_b32 s25, exec_lo
	v_cmpx_ne_u32_e32 0, v161
	s_cbranch_execz .LBB6_303
; %bb.298:                              ;   in Loop: Header=BB6_144 Depth=2
	v_bfe_u32 v160, v161, 23, 8
	s_delay_alu instid0(VALU_DEP_1) | instskip(SKIP_1) | instid1(VALU_DEP_2)
	v_sub_nc_u32_e32 v163, 0x70, v160
	v_cmp_gt_u32_e32 vcc_lo, 0x71, v160
	v_dual_cndmask_b32 v163, 0, v163 :: v_dual_and_b32 v162, 0x7fffff, v161
	s_delay_alu instid0(VALU_DEP_1) | instskip(SKIP_2) | instid1(VALU_DEP_4)
	v_or_b32_e32 v164, 0x800000, v162
	v_cmp_eq_u32_e32 vcc_lo, 0, v160
	v_add_nc_u32_e32 v160, 0xffffff91, v160
	v_cndmask_b32_e64 v163, v163, 0x6f, vcc_lo
	s_delay_alu instid0(VALU_DEP_2) | instskip(SKIP_1) | instid1(VALU_DEP_3)
	v_cndmask_b32_e64 v160, v160, 0xffffff92, vcc_lo
	v_cndmask_b32_e32 v162, v164, v162, vcc_lo
	v_lshl_add_u32 v164, 0x200000, v163, -1
	v_lshlrev_b32_e64 v167, v163, 0x100000
	s_delay_alu instid0(VALU_DEP_3) | instskip(SKIP_1) | instid1(VALU_DEP_4)
	v_lshrrev_b32_e32 v165, v163, v162
	v_add_nc_u32_e32 v163, v163, v160
	v_and_b32_e32 v162, v164, v162
	s_delay_alu instid0(VALU_DEP_3) | instskip(NEXT) | instid1(VALU_DEP_2)
	v_bfe_u32 v166, v165, 21, 1
	v_cmp_eq_u32_e64 s11, v162, v167
	s_delay_alu instid0(VALU_DEP_2) | instskip(NEXT) | instid1(VALU_DEP_1)
	v_add_nc_u32_e32 v164, -1, v166
	v_cndmask_b32_e64 v162, 0, v164, s11
	v_lshrrev_b32_e32 v164, 23, v165
	s_mov_b32 s11, exec_lo
	s_delay_alu instid0(VALU_DEP_2) | instskip(NEXT) | instid1(VALU_DEP_2)
	v_add_nc_u32_e32 v162, v162, v165
	v_xor_b32_e32 v164, 1, v164
	s_delay_alu instid0(VALU_DEP_2) | instskip(NEXT) | instid1(VALU_DEP_1)
	v_and_b32_e32 v160, 0x1fffff, v162
	v_add_nc_u32_e32 v162, v160, v165
                                        ; implicit-def: $vgpr160
	s_delay_alu instid0(VALU_DEP_3)
	v_cmpx_ne_u32_e64 v163, v164
	s_xor_b32 s11, exec_lo, s11
; %bb.299:                              ;   in Loop: Header=BB6_144 Depth=2
	s_delay_alu instid0(VALU_DEP_2) | instskip(SKIP_2) | instid1(VALU_DEP_2)
	v_cmp_lt_u32_e32 vcc_lo, 0xffffff, v162
	v_sub_nc_u32_e32 v160, v163, v164
	v_cndmask_b32_e64 v163, 0, 1, vcc_lo
	v_add_co_ci_u32_e32 v160, vcc_lo, 0, v160, vcc_lo
	s_delay_alu instid0(VALU_DEP_2)
	v_lshrrev_b32_e32 v162, v163, v162
; %bb.300:                              ;   in Loop: Header=BB6_144 Depth=2
	s_and_not1_saveexec_b32 s11, s11
; %bb.301:                              ;   in Loop: Header=BB6_144 Depth=2
	s_delay_alu instid0(VALU_DEP_1)
	v_bfe_u32 v160, v162, 23, 1
; %bb.302:                              ;   in Loop: Header=BB6_144 Depth=2
	s_or_b32 exec_lo, exec_lo, s11
	v_lshrrev_b32_e32 v162, 21, v162
	s_delay_alu instid0(VALU_DEP_2) | instskip(SKIP_2) | instid1(VALU_DEP_2)
	v_cmp_gt_i32_e32 vcc_lo, 32, v160
	v_lshrrev_b32_e32 v161, 24, v161
	v_min_i32_e32 v163, 31, v160
	v_dual_cndmask_b32 v162, 3, v162 :: v_dual_and_b32 v161, 0x80, v161
	s_delay_alu instid0(VALU_DEP_1) | instskip(SKIP_1) | instid1(VALU_DEP_2)
	v_or_b32_e32 v160, v160, v162
	v_and_b32_e32 v164, 3, v162
	v_cmp_ne_u32_e32 vcc_lo, 0, v160
	v_lshlrev_b32_e32 v163, 2, v163
	s_delay_alu instid0(VALU_DEP_1) | instskip(NEXT) | instid1(VALU_DEP_1)
	v_or3_b32 v161, v163, v161, v164
	v_cndmask_b32_e32 v160, 0, v161, vcc_lo
.LBB6_303:                              ;   in Loop: Header=BB6_144 Depth=2
	s_or_b32 exec_lo, exec_lo, s25
.LBB6_304:                              ;   in Loop: Header=BB6_144 Depth=2
	s_delay_alu instid0(SALU_CYCLE_1) | instskip(SKIP_3) | instid1(VALU_DEP_1)
	s_or_b32 exec_lo, exec_lo, s24
	v_lshrrev_b32_e32 v162, 16, v50
	s_mov_b32 s11, 0
	s_mov_b32 s25, exec_lo
                                        ; implicit-def: $sgpr24
	v_and_b32_e32 v163, 0xff, v162
	s_delay_alu instid0(VALU_DEP_1)
	v_cmpx_lt_i16_e64 0x7f, v163
	s_xor_b32 s25, exec_lo, s25
	s_cbranch_execnz .LBB6_1246
; %bb.305:                              ;   in Loop: Header=BB6_144 Depth=2
	s_or_saveexec_b32 s25, s25
	v_mov_b32_e32 v161, s24
	s_xor_b32 exec_lo, exec_lo, s25
	s_cbranch_execnz .LBB6_1249
.LBB6_306:                              ;   in Loop: Header=BB6_144 Depth=2
	s_or_b32 exec_lo, exec_lo, s25
	s_and_saveexec_b32 s24, s11
	s_cbranch_execz .LBB6_308
.LBB6_307:                              ;   in Loop: Header=BB6_144 Depth=2
	v_bfe_u32 v161, v50, 16, 2
	v_lshlrev_b32_e32 v165, 8, v50
	s_delay_alu instid0(VALU_DEP_2) | instskip(NEXT) | instid1(VALU_DEP_1)
	v_clz_i32_u32_e32 v163, v161
	v_min_u32_e32 v163, 32, v163
	s_delay_alu instid0(VALU_DEP_1) | instskip(SKIP_1) | instid1(VALU_DEP_2)
	v_subrev_nc_u32_e32 v164, 29, v163
	v_sub_nc_u32_e32 v163, 30, v163
	v_lshlrev_b32_e32 v162, v164, v162
	v_bfe_u32 v164, v50, 18, 5
	s_delay_alu instid0(VALU_DEP_1) | instskip(NEXT) | instid1(VALU_DEP_3)
	v_cmp_eq_u32_e32 vcc_lo, 0, v164
	v_dual_cndmask_b32 v163, v164, v163 :: v_dual_and_b32 v162, 3, v162
	s_delay_alu instid0(VALU_DEP_1) | instskip(NEXT) | instid1(VALU_DEP_2)
	v_dual_cndmask_b32 v161, v161, v162 :: v_dual_and_b32 v162, 0x80000000, v165
	v_lshl_add_u32 v163, v163, 23, 0x37800000
	s_delay_alu instid0(VALU_DEP_2) | instskip(NEXT) | instid1(VALU_DEP_1)
	v_lshlrev_b32_e32 v161, 21, v161
	v_or3_b32 v161, v162, v163, v161
.LBB6_308:                              ;   in Loop: Header=BB6_144 Depth=2
	s_or_b32 exec_lo, exec_lo, s24
	v_lshrrev_b32_e32 v162, 16, v38
	s_mov_b32 s11, 0
	s_mov_b32 s25, exec_lo
                                        ; implicit-def: $sgpr24
	s_delay_alu instid0(VALU_DEP_1) | instskip(NEXT) | instid1(VALU_DEP_1)
	v_and_b32_e32 v164, 0xff, v162
	v_cmpx_lt_i16_e64 0x7f, v164
	s_xor_b32 s25, exec_lo, s25
	s_cbranch_execnz .LBB6_1250
; %bb.309:                              ;   in Loop: Header=BB6_144 Depth=2
	s_or_saveexec_b32 s25, s25
	v_mov_b32_e32 v163, s24
	s_xor_b32 exec_lo, exec_lo, s25
	s_cbranch_execnz .LBB6_1253
.LBB6_310:                              ;   in Loop: Header=BB6_144 Depth=2
	s_or_b32 exec_lo, exec_lo, s25
	s_and_saveexec_b32 s24, s11
	s_cbranch_execz .LBB6_312
.LBB6_311:                              ;   in Loop: Header=BB6_144 Depth=2
	v_bfe_u32 v163, v38, 16, 2
	v_lshlrev_b32_e32 v166, 8, v38
	s_delay_alu instid0(VALU_DEP_2) | instskip(NEXT) | instid1(VALU_DEP_1)
	v_clz_i32_u32_e32 v164, v163
	v_min_u32_e32 v164, 32, v164
	s_delay_alu instid0(VALU_DEP_1) | instskip(SKIP_1) | instid1(VALU_DEP_2)
	v_subrev_nc_u32_e32 v165, 29, v164
	v_sub_nc_u32_e32 v164, 30, v164
	v_lshlrev_b32_e32 v162, v165, v162
	v_bfe_u32 v165, v38, 18, 5
	s_delay_alu instid0(VALU_DEP_2) | instskip(NEXT) | instid1(VALU_DEP_2)
	v_and_b32_e32 v162, 3, v162
	v_cmp_eq_u32_e32 vcc_lo, 0, v165
	v_cndmask_b32_e32 v164, v165, v164, vcc_lo
	s_delay_alu instid0(VALU_DEP_3) | instskip(SKIP_1) | instid1(VALU_DEP_3)
	v_cndmask_b32_e32 v162, v163, v162, vcc_lo
	v_and_b32_e32 v163, 0x80000000, v166
	v_lshl_add_u32 v164, v164, 23, 0x37800000
	s_delay_alu instid0(VALU_DEP_3) | instskip(NEXT) | instid1(VALU_DEP_1)
	v_lshlrev_b32_e32 v162, 21, v162
	v_or3_b32 v163, v163, v164, v162
.LBB6_312:                              ;   in Loop: Header=BB6_144 Depth=2
	s_or_b32 exec_lo, exec_lo, s24
	s_delay_alu instid0(VALU_DEP_1) | instskip(NEXT) | instid1(VALU_DEP_1)
	v_mul_f32_e32 v162, v161, v163
	v_and_b32_e32 v161, 0x7f800000, v162
	s_delay_alu instid0(VALU_DEP_1)
	v_cmp_ne_u32_e32 vcc_lo, 0x7f800000, v161
	v_mov_b32_e32 v161, 0x80
	s_and_saveexec_b32 s24, vcc_lo
	s_cbranch_execz .LBB6_320
; %bb.313:                              ;   in Loop: Header=BB6_144 Depth=2
	v_mov_b32_e32 v161, 0
	s_mov_b32 s25, exec_lo
	v_cmpx_ne_u32_e32 0, v162
	s_cbranch_execz .LBB6_319
; %bb.314:                              ;   in Loop: Header=BB6_144 Depth=2
	v_bfe_u32 v161, v162, 23, 8
	s_delay_alu instid0(VALU_DEP_1) | instskip(SKIP_1) | instid1(VALU_DEP_2)
	v_sub_nc_u32_e32 v164, 0x70, v161
	v_cmp_gt_u32_e32 vcc_lo, 0x71, v161
	v_dual_cndmask_b32 v164, 0, v164 :: v_dual_and_b32 v163, 0x7fffff, v162
	s_delay_alu instid0(VALU_DEP_1) | instskip(SKIP_2) | instid1(VALU_DEP_4)
	v_or_b32_e32 v165, 0x800000, v163
	v_cmp_eq_u32_e32 vcc_lo, 0, v161
	v_add_nc_u32_e32 v161, 0xffffff91, v161
	v_cndmask_b32_e64 v164, v164, 0x6f, vcc_lo
	s_delay_alu instid0(VALU_DEP_2) | instskip(SKIP_1) | instid1(VALU_DEP_3)
	v_cndmask_b32_e64 v161, v161, 0xffffff92, vcc_lo
	v_cndmask_b32_e32 v163, v165, v163, vcc_lo
	v_lshl_add_u32 v165, 0x200000, v164, -1
	v_lshlrev_b32_e64 v176, v164, 0x100000
	s_delay_alu instid0(VALU_DEP_3) | instskip(SKIP_1) | instid1(VALU_DEP_4)
	v_lshrrev_b32_e32 v166, v164, v163
	v_add_nc_u32_e32 v164, v164, v161
	v_and_b32_e32 v163, v165, v163
	s_delay_alu instid0(VALU_DEP_3) | instskip(NEXT) | instid1(VALU_DEP_2)
	v_bfe_u32 v167, v166, 21, 1
	v_cmp_eq_u32_e64 s11, v163, v176
	s_delay_alu instid0(VALU_DEP_2) | instskip(NEXT) | instid1(VALU_DEP_1)
	v_add_nc_u32_e32 v165, -1, v167
	v_cndmask_b32_e64 v163, 0, v165, s11
	v_lshrrev_b32_e32 v165, 23, v166
	s_mov_b32 s11, exec_lo
	s_delay_alu instid0(VALU_DEP_2) | instskip(NEXT) | instid1(VALU_DEP_2)
	v_add_nc_u32_e32 v163, v163, v166
	v_xor_b32_e32 v165, 1, v165
	s_delay_alu instid0(VALU_DEP_2) | instskip(NEXT) | instid1(VALU_DEP_1)
	v_and_b32_e32 v161, 0x1fffff, v163
	v_add_nc_u32_e32 v163, v161, v166
                                        ; implicit-def: $vgpr161
	s_delay_alu instid0(VALU_DEP_3)
	v_cmpx_ne_u32_e64 v164, v165
	s_xor_b32 s11, exec_lo, s11
; %bb.315:                              ;   in Loop: Header=BB6_144 Depth=2
	s_delay_alu instid0(VALU_DEP_2) | instskip(SKIP_2) | instid1(VALU_DEP_2)
	v_cmp_lt_u32_e32 vcc_lo, 0xffffff, v163
	v_sub_nc_u32_e32 v161, v164, v165
	v_cndmask_b32_e64 v164, 0, 1, vcc_lo
	v_add_co_ci_u32_e32 v161, vcc_lo, 0, v161, vcc_lo
	s_delay_alu instid0(VALU_DEP_2)
	v_lshrrev_b32_e32 v163, v164, v163
; %bb.316:                              ;   in Loop: Header=BB6_144 Depth=2
	s_and_not1_saveexec_b32 s11, s11
; %bb.317:                              ;   in Loop: Header=BB6_144 Depth=2
	s_delay_alu instid0(VALU_DEP_1)
	v_bfe_u32 v161, v163, 23, 1
; %bb.318:                              ;   in Loop: Header=BB6_144 Depth=2
	s_or_b32 exec_lo, exec_lo, s11
	v_lshrrev_b32_e32 v163, 21, v163
	s_delay_alu instid0(VALU_DEP_2) | instskip(SKIP_2) | instid1(VALU_DEP_2)
	v_cmp_gt_i32_e32 vcc_lo, 32, v161
	v_lshrrev_b32_e32 v162, 24, v162
	v_min_i32_e32 v164, 31, v161
	v_dual_cndmask_b32 v163, 3, v163 :: v_dual_and_b32 v162, 0x80, v162
	s_delay_alu instid0(VALU_DEP_1) | instskip(SKIP_1) | instid1(VALU_DEP_2)
	v_or_b32_e32 v161, v161, v163
	v_and_b32_e32 v165, 3, v163
	v_cmp_ne_u32_e32 vcc_lo, 0, v161
	v_lshlrev_b32_e32 v164, 2, v164
	s_delay_alu instid0(VALU_DEP_1) | instskip(NEXT) | instid1(VALU_DEP_1)
	v_or3_b32 v162, v164, v162, v165
	v_cndmask_b32_e32 v161, 0, v162, vcc_lo
.LBB6_319:                              ;   in Loop: Header=BB6_144 Depth=2
	s_or_b32 exec_lo, exec_lo, s25
.LBB6_320:                              ;   in Loop: Header=BB6_144 Depth=2
	s_delay_alu instid0(SALU_CYCLE_1) | instskip(SKIP_3) | instid1(VALU_DEP_1)
	s_or_b32 exec_lo, exec_lo, s24
	v_lshrrev_b32_e32 v163, 24, v50
	s_mov_b32 s11, 0
	s_mov_b32 s25, exec_lo
                                        ; implicit-def: $sgpr24
	v_cmpx_lt_i16_e64 0x7f, v163
	s_xor_b32 s25, exec_lo, s25
	s_cbranch_execnz .LBB6_1254
; %bb.321:                              ;   in Loop: Header=BB6_144 Depth=2
	s_or_saveexec_b32 s25, s25
	v_mov_b32_e32 v162, s24
	s_xor_b32 exec_lo, exec_lo, s25
	s_cbranch_execnz .LBB6_1257
.LBB6_322:                              ;   in Loop: Header=BB6_144 Depth=2
	s_or_b32 exec_lo, exec_lo, s25
	s_and_saveexec_b32 s24, s11
	s_cbranch_execz .LBB6_324
.LBB6_323:                              ;   in Loop: Header=BB6_144 Depth=2
	v_bfe_u32 v162, v50, 24, 2
	s_delay_alu instid0(VALU_DEP_1) | instskip(NEXT) | instid1(VALU_DEP_1)
	v_clz_i32_u32_e32 v164, v162
	v_min_u32_e32 v164, 32, v164
	s_delay_alu instid0(VALU_DEP_1) | instskip(SKIP_1) | instid1(VALU_DEP_2)
	v_subrev_nc_u32_e32 v165, 29, v164
	v_sub_nc_u32_e32 v164, 30, v164
	v_lshlrev_b32_e32 v163, v165, v163
	v_bfe_u32 v165, v50, 26, 5
	v_and_b32_e32 v50, 0x80000000, v50
	s_delay_alu instid0(VALU_DEP_2) | instskip(NEXT) | instid1(VALU_DEP_4)
	v_cmp_eq_u32_e32 vcc_lo, 0, v165
	v_dual_cndmask_b32 v164, v165, v164 :: v_dual_and_b32 v163, 3, v163
	s_delay_alu instid0(VALU_DEP_1) | instskip(NEXT) | instid1(VALU_DEP_2)
	v_cndmask_b32_e32 v162, v162, v163, vcc_lo
	v_lshl_add_u32 v163, v164, 23, 0x37800000
	s_delay_alu instid0(VALU_DEP_2) | instskip(NEXT) | instid1(VALU_DEP_1)
	v_lshlrev_b32_e32 v162, 21, v162
	v_or3_b32 v162, v50, v163, v162
.LBB6_324:                              ;   in Loop: Header=BB6_144 Depth=2
	s_or_b32 exec_lo, exec_lo, s24
	v_lshrrev_b32_e32 v50, 24, v38
	s_mov_b32 s11, 0
	s_mov_b32 s25, exec_lo
                                        ; implicit-def: $sgpr24
	s_delay_alu instid0(VALU_DEP_1)
	v_cmpx_lt_i16_e32 0x7f, v50
	s_xor_b32 s25, exec_lo, s25
	s_cbranch_execnz .LBB6_1258
; %bb.325:                              ;   in Loop: Header=BB6_144 Depth=2
	s_or_saveexec_b32 s25, s25
	v_mov_b32_e32 v163, s24
	s_xor_b32 exec_lo, exec_lo, s25
	s_cbranch_execnz .LBB6_1261
.LBB6_326:                              ;   in Loop: Header=BB6_144 Depth=2
	s_or_b32 exec_lo, exec_lo, s25
	s_and_saveexec_b32 s24, s11
	s_cbranch_execz .LBB6_328
.LBB6_327:                              ;   in Loop: Header=BB6_144 Depth=2
	v_bfe_u32 v163, v38, 24, 2
	s_delay_alu instid0(VALU_DEP_1) | instskip(NEXT) | instid1(VALU_DEP_1)
	v_clz_i32_u32_e32 v164, v163
	v_min_u32_e32 v164, 32, v164
	s_delay_alu instid0(VALU_DEP_1) | instskip(SKIP_1) | instid1(VALU_DEP_2)
	v_subrev_nc_u32_e32 v165, 29, v164
	v_sub_nc_u32_e32 v164, 30, v164
	v_lshlrev_b32_e32 v50, v165, v50
	v_bfe_u32 v165, v38, 26, 5
	v_and_b32_e32 v38, 0x80000000, v38
	s_delay_alu instid0(VALU_DEP_3) | instskip(NEXT) | instid1(VALU_DEP_3)
	v_and_b32_e32 v50, 3, v50
	v_cmp_eq_u32_e32 vcc_lo, 0, v165
	v_cndmask_b32_e32 v164, v165, v164, vcc_lo
	s_delay_alu instid0(VALU_DEP_3) | instskip(NEXT) | instid1(VALU_DEP_2)
	v_cndmask_b32_e32 v50, v163, v50, vcc_lo
	v_lshl_add_u32 v163, v164, 23, 0x37800000
	s_delay_alu instid0(VALU_DEP_2) | instskip(NEXT) | instid1(VALU_DEP_1)
	v_lshlrev_b32_e32 v50, 21, v50
	v_or3_b32 v163, v38, v163, v50
.LBB6_328:                              ;   in Loop: Header=BB6_144 Depth=2
	s_or_b32 exec_lo, exec_lo, s24
	s_delay_alu instid0(VALU_DEP_1) | instskip(NEXT) | instid1(VALU_DEP_1)
	v_mul_f32_e32 v50, v162, v163
	v_and_b32_e32 v38, 0x7f800000, v50
	s_delay_alu instid0(VALU_DEP_1)
	v_cmp_ne_u32_e32 vcc_lo, 0x7f800000, v38
	v_mov_b32_e32 v38, 0x80
	s_and_saveexec_b32 s24, vcc_lo
	s_cbranch_execz .LBB6_336
; %bb.329:                              ;   in Loop: Header=BB6_144 Depth=2
	v_mov_b32_e32 v38, 0
	s_mov_b32 s25, exec_lo
	v_cmpx_ne_u32_e32 0, v50
	s_cbranch_execz .LBB6_335
; %bb.330:                              ;   in Loop: Header=BB6_144 Depth=2
	v_bfe_u32 v38, v50, 23, 8
	s_delay_alu instid0(VALU_DEP_1) | instskip(SKIP_1) | instid1(VALU_DEP_2)
	v_sub_nc_u32_e32 v163, 0x70, v38
	v_cmp_gt_u32_e32 vcc_lo, 0x71, v38
	v_dual_cndmask_b32 v163, 0, v163 :: v_dual_and_b32 v162, 0x7fffff, v50
	s_delay_alu instid0(VALU_DEP_1) | instskip(SKIP_2) | instid1(VALU_DEP_4)
	v_or_b32_e32 v164, 0x800000, v162
	v_cmp_eq_u32_e32 vcc_lo, 0, v38
	v_add_nc_u32_e32 v38, 0xffffff91, v38
	v_cndmask_b32_e64 v163, v163, 0x6f, vcc_lo
	s_delay_alu instid0(VALU_DEP_4) | instskip(NEXT) | instid1(VALU_DEP_3)
	v_cndmask_b32_e32 v162, v164, v162, vcc_lo
	v_cndmask_b32_e64 v38, v38, 0xffffff92, vcc_lo
	s_delay_alu instid0(VALU_DEP_3) | instskip(NEXT) | instid1(VALU_DEP_3)
	v_lshl_add_u32 v164, 0x200000, v163, -1
	v_lshrrev_b32_e32 v165, v163, v162
	v_lshlrev_b32_e64 v167, v163, 0x100000
	s_delay_alu instid0(VALU_DEP_4) | instskip(NEXT) | instid1(VALU_DEP_4)
	v_add_nc_u32_e32 v163, v163, v38
	v_and_b32_e32 v162, v164, v162
	s_delay_alu instid0(VALU_DEP_4) | instskip(NEXT) | instid1(VALU_DEP_2)
	v_bfe_u32 v166, v165, 21, 1
	v_cmp_eq_u32_e64 s11, v162, v167
	s_delay_alu instid0(VALU_DEP_2) | instskip(NEXT) | instid1(VALU_DEP_1)
	v_add_nc_u32_e32 v164, -1, v166
	v_cndmask_b32_e64 v162, 0, v164, s11
	v_lshrrev_b32_e32 v164, 23, v165
	s_mov_b32 s11, exec_lo
	s_delay_alu instid0(VALU_DEP_2) | instskip(NEXT) | instid1(VALU_DEP_2)
	v_add_nc_u32_e32 v162, v162, v165
	v_xor_b32_e32 v164, 1, v164
	s_delay_alu instid0(VALU_DEP_2) | instskip(NEXT) | instid1(VALU_DEP_1)
	v_and_b32_e32 v38, 0x1fffff, v162
	v_add_nc_u32_e32 v162, v38, v165
                                        ; implicit-def: $vgpr38
	s_delay_alu instid0(VALU_DEP_3)
	v_cmpx_ne_u32_e64 v163, v164
	s_xor_b32 s11, exec_lo, s11
; %bb.331:                              ;   in Loop: Header=BB6_144 Depth=2
	s_delay_alu instid0(VALU_DEP_2) | instskip(SKIP_2) | instid1(VALU_DEP_2)
	v_cmp_lt_u32_e32 vcc_lo, 0xffffff, v162
	v_sub_nc_u32_e32 v38, v163, v164
	v_cndmask_b32_e64 v163, 0, 1, vcc_lo
	v_add_co_ci_u32_e32 v38, vcc_lo, 0, v38, vcc_lo
	s_delay_alu instid0(VALU_DEP_2)
	v_lshrrev_b32_e32 v162, v163, v162
; %bb.332:                              ;   in Loop: Header=BB6_144 Depth=2
	s_and_not1_saveexec_b32 s11, s11
; %bb.333:                              ;   in Loop: Header=BB6_144 Depth=2
	s_delay_alu instid0(VALU_DEP_1)
	v_bfe_u32 v38, v162, 23, 1
; %bb.334:                              ;   in Loop: Header=BB6_144 Depth=2
	s_or_b32 exec_lo, exec_lo, s11
	v_lshrrev_b32_e32 v162, 21, v162
	s_delay_alu instid0(VALU_DEP_2) | instskip(SKIP_2) | instid1(VALU_DEP_4)
	v_cmp_gt_i32_e32 vcc_lo, 32, v38
	v_lshrrev_b32_e32 v50, 24, v50
	v_min_i32_e32 v163, 31, v38
	v_cndmask_b32_e32 v162, 3, v162, vcc_lo
	s_delay_alu instid0(VALU_DEP_3) | instskip(NEXT) | instid1(VALU_DEP_3)
	v_and_b32_e32 v50, 0x80, v50
	v_lshlrev_b32_e32 v163, 2, v163
	s_delay_alu instid0(VALU_DEP_3) | instskip(SKIP_1) | instid1(VALU_DEP_2)
	v_and_b32_e32 v164, 3, v162
	v_or_b32_e32 v38, v38, v162
	v_or3_b32 v50, v163, v50, v164
	s_delay_alu instid0(VALU_DEP_2) | instskip(NEXT) | instid1(VALU_DEP_2)
	v_cmp_ne_u32_e32 vcc_lo, 0, v38
	v_cndmask_b32_e32 v38, 0, v50, vcc_lo
.LBB6_335:                              ;   in Loop: Header=BB6_144 Depth=2
	s_or_b32 exec_lo, exec_lo, s25
.LBB6_336:                              ;   in Loop: Header=BB6_144 Depth=2
	s_delay_alu instid0(SALU_CYCLE_1) | instskip(SKIP_3) | instid1(VALU_DEP_1)
	s_or_b32 exec_lo, exec_lo, s24
	v_and_b32_e32 v162, 0xff, v51
	s_mov_b32 s11, 0
	s_mov_b32 s25, exec_lo
                                        ; implicit-def: $sgpr24
	v_cmpx_lt_i16_e64 0x7f, v162
	s_xor_b32 s25, exec_lo, s25
	s_cbranch_execnz .LBB6_1262
; %bb.337:                              ;   in Loop: Header=BB6_144 Depth=2
	s_or_saveexec_b32 s25, s25
	v_mov_b32_e32 v50, s24
	s_xor_b32 exec_lo, exec_lo, s25
	s_cbranch_execnz .LBB6_1265
.LBB6_338:                              ;   in Loop: Header=BB6_144 Depth=2
	s_or_b32 exec_lo, exec_lo, s25
	s_and_saveexec_b32 s24, s11
	s_cbranch_execz .LBB6_340
.LBB6_339:                              ;   in Loop: Header=BB6_144 Depth=2
	v_and_b32_e32 v50, 3, v51
	v_bfe_u32 v164, v51, 2, 5
	v_lshlrev_b32_e32 v165, 24, v51
	s_delay_alu instid0(VALU_DEP_3) | instskip(NEXT) | instid1(VALU_DEP_3)
	v_clz_i32_u32_e32 v162, v50
	v_cmp_eq_u32_e32 vcc_lo, 0, v164
	s_delay_alu instid0(VALU_DEP_2) | instskip(NEXT) | instid1(VALU_DEP_1)
	v_min_u32_e32 v162, 32, v162
	v_subrev_nc_u32_e32 v163, 29, v162
	v_sub_nc_u32_e32 v162, 30, v162
	s_delay_alu instid0(VALU_DEP_1) | instskip(NEXT) | instid1(VALU_DEP_1)
	v_dual_cndmask_b32 v162, v164, v162 :: v_dual_lshlrev_b32 v163, v163, v51
	v_and_b32_e32 v163, 3, v163
	s_delay_alu instid0(VALU_DEP_2) | instskip(NEXT) | instid1(VALU_DEP_2)
	v_lshl_add_u32 v162, v162, 23, 0x37800000
	v_dual_cndmask_b32 v50, v50, v163 :: v_dual_and_b32 v163, 0x80000000, v165
	s_delay_alu instid0(VALU_DEP_1) | instskip(NEXT) | instid1(VALU_DEP_1)
	v_lshlrev_b32_e32 v50, 21, v50
	v_or3_b32 v50, v163, v162, v50
.LBB6_340:                              ;   in Loop: Header=BB6_144 Depth=2
	s_or_b32 exec_lo, exec_lo, s24
	v_and_b32_e32 v163, 0xff, v39
	s_mov_b32 s11, 0
	s_mov_b32 s25, exec_lo
                                        ; implicit-def: $sgpr24
	s_delay_alu instid0(VALU_DEP_1)
	v_cmpx_lt_i16_e64 0x7f, v163
	s_xor_b32 s25, exec_lo, s25
	s_cbranch_execnz .LBB6_1266
; %bb.341:                              ;   in Loop: Header=BB6_144 Depth=2
	s_or_saveexec_b32 s25, s25
	v_mov_b32_e32 v162, s24
	s_xor_b32 exec_lo, exec_lo, s25
	s_cbranch_execnz .LBB6_1269
.LBB6_342:                              ;   in Loop: Header=BB6_144 Depth=2
	s_or_b32 exec_lo, exec_lo, s25
	s_and_saveexec_b32 s24, s11
	s_cbranch_execz .LBB6_344
.LBB6_343:                              ;   in Loop: Header=BB6_144 Depth=2
	v_and_b32_e32 v162, 3, v39
	v_bfe_u32 v165, v39, 2, 5
	v_lshlrev_b32_e32 v166, 24, v39
	s_delay_alu instid0(VALU_DEP_3) | instskip(NEXT) | instid1(VALU_DEP_3)
	v_clz_i32_u32_e32 v163, v162
	v_cmp_eq_u32_e32 vcc_lo, 0, v165
	s_delay_alu instid0(VALU_DEP_2) | instskip(NEXT) | instid1(VALU_DEP_1)
	v_min_u32_e32 v163, 32, v163
	v_subrev_nc_u32_e32 v164, 29, v163
	v_sub_nc_u32_e32 v163, 30, v163
	s_delay_alu instid0(VALU_DEP_2) | instskip(NEXT) | instid1(VALU_DEP_1)
	v_lshlrev_b32_e32 v164, v164, v39
	v_dual_cndmask_b32 v163, v165, v163 :: v_dual_and_b32 v164, 3, v164
	s_delay_alu instid0(VALU_DEP_1) | instskip(NEXT) | instid1(VALU_DEP_2)
	v_lshl_add_u32 v163, v163, 23, 0x37800000
	v_cndmask_b32_e32 v162, v162, v164, vcc_lo
	v_and_b32_e32 v164, 0x80000000, v166
	s_delay_alu instid0(VALU_DEP_2) | instskip(NEXT) | instid1(VALU_DEP_1)
	v_lshlrev_b32_e32 v162, 21, v162
	v_or3_b32 v162, v164, v163, v162
.LBB6_344:                              ;   in Loop: Header=BB6_144 Depth=2
	s_or_b32 exec_lo, exec_lo, s24
	s_delay_alu instid0(VALU_DEP_1) | instskip(NEXT) | instid1(VALU_DEP_1)
	v_mul_f32_e32 v162, v50, v162
	v_and_b32_e32 v50, 0x7f800000, v162
	s_delay_alu instid0(VALU_DEP_1)
	v_cmp_ne_u32_e32 vcc_lo, 0x7f800000, v50
	v_mov_b32_e32 v50, 0x80
	s_and_saveexec_b32 s24, vcc_lo
	s_cbranch_execz .LBB6_352
; %bb.345:                              ;   in Loop: Header=BB6_144 Depth=2
	v_mov_b32_e32 v50, 0
	s_mov_b32 s25, exec_lo
	v_cmpx_ne_u32_e32 0, v162
	s_cbranch_execz .LBB6_351
; %bb.346:                              ;   in Loop: Header=BB6_144 Depth=2
	v_bfe_u32 v50, v162, 23, 8
	s_delay_alu instid0(VALU_DEP_1) | instskip(SKIP_1) | instid1(VALU_DEP_2)
	v_sub_nc_u32_e32 v164, 0x70, v50
	v_cmp_gt_u32_e32 vcc_lo, 0x71, v50
	v_dual_cndmask_b32 v164, 0, v164 :: v_dual_and_b32 v163, 0x7fffff, v162
	s_delay_alu instid0(VALU_DEP_1) | instskip(SKIP_2) | instid1(VALU_DEP_4)
	v_or_b32_e32 v165, 0x800000, v163
	v_cmp_eq_u32_e32 vcc_lo, 0, v50
	v_add_nc_u32_e32 v50, 0xffffff91, v50
	v_cndmask_b32_e64 v164, v164, 0x6f, vcc_lo
	s_delay_alu instid0(VALU_DEP_4) | instskip(NEXT) | instid1(VALU_DEP_3)
	v_cndmask_b32_e32 v163, v165, v163, vcc_lo
	v_cndmask_b32_e64 v50, v50, 0xffffff92, vcc_lo
	s_delay_alu instid0(VALU_DEP_3) | instskip(NEXT) | instid1(VALU_DEP_3)
	v_lshl_add_u32 v165, 0x200000, v164, -1
	v_lshrrev_b32_e32 v166, v164, v163
	v_lshlrev_b32_e64 v176, v164, 0x100000
	s_delay_alu instid0(VALU_DEP_4) | instskip(NEXT) | instid1(VALU_DEP_4)
	v_add_nc_u32_e32 v164, v164, v50
	v_and_b32_e32 v163, v165, v163
	s_delay_alu instid0(VALU_DEP_4) | instskip(NEXT) | instid1(VALU_DEP_2)
	v_bfe_u32 v167, v166, 21, 1
	v_cmp_eq_u32_e64 s11, v163, v176
	s_delay_alu instid0(VALU_DEP_2) | instskip(NEXT) | instid1(VALU_DEP_1)
	v_add_nc_u32_e32 v165, -1, v167
	v_cndmask_b32_e64 v163, 0, v165, s11
	v_lshrrev_b32_e32 v165, 23, v166
	s_mov_b32 s11, exec_lo
	s_delay_alu instid0(VALU_DEP_2) | instskip(NEXT) | instid1(VALU_DEP_2)
	v_add_nc_u32_e32 v163, v163, v166
	v_xor_b32_e32 v165, 1, v165
	s_delay_alu instid0(VALU_DEP_2) | instskip(NEXT) | instid1(VALU_DEP_1)
	v_and_b32_e32 v50, 0x1fffff, v163
	v_add_nc_u32_e32 v163, v50, v166
                                        ; implicit-def: $vgpr50
	s_delay_alu instid0(VALU_DEP_3)
	v_cmpx_ne_u32_e64 v164, v165
	s_xor_b32 s11, exec_lo, s11
; %bb.347:                              ;   in Loop: Header=BB6_144 Depth=2
	s_delay_alu instid0(VALU_DEP_2) | instskip(SKIP_2) | instid1(VALU_DEP_2)
	v_cmp_lt_u32_e32 vcc_lo, 0xffffff, v163
	v_sub_nc_u32_e32 v50, v164, v165
	v_cndmask_b32_e64 v164, 0, 1, vcc_lo
	v_add_co_ci_u32_e32 v50, vcc_lo, 0, v50, vcc_lo
	s_delay_alu instid0(VALU_DEP_2)
	v_lshrrev_b32_e32 v163, v164, v163
; %bb.348:                              ;   in Loop: Header=BB6_144 Depth=2
	s_and_not1_saveexec_b32 s11, s11
; %bb.349:                              ;   in Loop: Header=BB6_144 Depth=2
	s_delay_alu instid0(VALU_DEP_1)
	v_bfe_u32 v50, v163, 23, 1
; %bb.350:                              ;   in Loop: Header=BB6_144 Depth=2
	s_or_b32 exec_lo, exec_lo, s11
	v_lshrrev_b32_e32 v163, 21, v163
	s_delay_alu instid0(VALU_DEP_2) | instskip(SKIP_2) | instid1(VALU_DEP_2)
	v_cmp_gt_i32_e32 vcc_lo, 32, v50
	v_lshrrev_b32_e32 v162, 24, v162
	v_min_i32_e32 v164, 31, v50
	v_dual_cndmask_b32 v163, 3, v163 :: v_dual_and_b32 v162, 0x80, v162
	s_delay_alu instid0(VALU_DEP_2) | instskip(NEXT) | instid1(VALU_DEP_2)
	v_lshlrev_b32_e32 v164, 2, v164
	v_or_b32_e32 v50, v50, v163
	s_delay_alu instid0(VALU_DEP_1) | instskip(SKIP_1) | instid1(VALU_DEP_1)
	v_cmp_ne_u32_e32 vcc_lo, 0, v50
	v_and_b32_e32 v165, 3, v163
	v_or3_b32 v162, v164, v162, v165
	s_delay_alu instid0(VALU_DEP_1)
	v_cndmask_b32_e32 v50, 0, v162, vcc_lo
.LBB6_351:                              ;   in Loop: Header=BB6_144 Depth=2
	s_or_b32 exec_lo, exec_lo, s25
.LBB6_352:                              ;   in Loop: Header=BB6_144 Depth=2
	s_delay_alu instid0(SALU_CYCLE_1) | instskip(SKIP_3) | instid1(VALU_DEP_1)
	s_or_b32 exec_lo, exec_lo, s24
	v_lshrrev_b16 v163, 8, v51
	s_mov_b32 s11, 0
	s_mov_b32 s25, exec_lo
                                        ; implicit-def: $sgpr24
	v_cmpx_lt_i16_e64 0x7f, v163
	s_xor_b32 s25, exec_lo, s25
	s_cbranch_execnz .LBB6_1270
; %bb.353:                              ;   in Loop: Header=BB6_144 Depth=2
	s_or_saveexec_b32 s25, s25
	v_mov_b32_e32 v162, s24
	s_xor_b32 exec_lo, exec_lo, s25
	s_cbranch_execnz .LBB6_1273
.LBB6_354:                              ;   in Loop: Header=BB6_144 Depth=2
	s_or_b32 exec_lo, exec_lo, s25
	s_and_saveexec_b32 s24, s11
	s_cbranch_execz .LBB6_356
.LBB6_355:                              ;   in Loop: Header=BB6_144 Depth=2
	v_and_b32_e32 v162, 0xffff, v163
	s_delay_alu instid0(VALU_DEP_1) | instskip(NEXT) | instid1(VALU_DEP_1)
	v_and_b32_e32 v164, 3, v162
	v_clz_i32_u32_e32 v165, v164
	s_delay_alu instid0(VALU_DEP_1) | instskip(NEXT) | instid1(VALU_DEP_1)
	v_min_u32_e32 v165, 32, v165
	v_subrev_nc_u32_e32 v166, 29, v165
	v_sub_nc_u32_e32 v165, 30, v165
	s_delay_alu instid0(VALU_DEP_2) | instskip(SKIP_1) | instid1(VALU_DEP_2)
	v_lshlrev_b32_e32 v166, v166, v162
	v_bfe_u32 v162, v162, 2, 5
	v_and_b32_e32 v166, 3, v166
	s_delay_alu instid0(VALU_DEP_2) | instskip(SKIP_1) | instid1(VALU_DEP_1)
	v_cmp_eq_u32_e32 vcc_lo, 0, v162
	v_dual_cndmask_b32 v162, v162, v165 :: v_dual_lshlrev_b32 v163, 24, v163
	v_dual_cndmask_b32 v164, v164, v166 :: v_dual_and_b32 v163, 0x80000000, v163
	s_delay_alu instid0(VALU_DEP_2) | instskip(NEXT) | instid1(VALU_DEP_2)
	v_lshl_add_u32 v162, v162, 23, 0x37800000
	v_lshlrev_b32_e32 v164, 21, v164
	s_delay_alu instid0(VALU_DEP_1)
	v_or3_b32 v162, v163, v162, v164
.LBB6_356:                              ;   in Loop: Header=BB6_144 Depth=2
	s_or_b32 exec_lo, exec_lo, s24
	v_lshrrev_b16 v163, 8, v39
	s_mov_b32 s11, 0
	s_mov_b32 s25, exec_lo
                                        ; implicit-def: $sgpr24
	s_delay_alu instid0(VALU_DEP_1)
	v_cmpx_lt_i16_e64 0x7f, v163
	s_xor_b32 s25, exec_lo, s25
	s_cbranch_execnz .LBB6_1274
; %bb.357:                              ;   in Loop: Header=BB6_144 Depth=2
	s_or_saveexec_b32 s25, s25
	v_mov_b32_e32 v164, s24
	s_xor_b32 exec_lo, exec_lo, s25
	s_cbranch_execnz .LBB6_1277
.LBB6_358:                              ;   in Loop: Header=BB6_144 Depth=2
	s_or_b32 exec_lo, exec_lo, s25
	s_and_saveexec_b32 s24, s11
	s_cbranch_execz .LBB6_360
.LBB6_359:                              ;   in Loop: Header=BB6_144 Depth=2
	v_and_b32_e32 v164, 0xffff, v163
	v_lshlrev_b32_e32 v163, 24, v163
	s_delay_alu instid0(VALU_DEP_2) | instskip(NEXT) | instid1(VALU_DEP_2)
	v_and_b32_e32 v165, 3, v164
	v_and_b32_e32 v163, 0x80000000, v163
	s_delay_alu instid0(VALU_DEP_2) | instskip(NEXT) | instid1(VALU_DEP_1)
	v_clz_i32_u32_e32 v166, v165
	v_min_u32_e32 v166, 32, v166
	s_delay_alu instid0(VALU_DEP_1) | instskip(SKIP_1) | instid1(VALU_DEP_2)
	v_subrev_nc_u32_e32 v167, 29, v166
	v_sub_nc_u32_e32 v166, 30, v166
	v_lshlrev_b32_e32 v167, v167, v164
	v_bfe_u32 v164, v164, 2, 5
	s_delay_alu instid0(VALU_DEP_2) | instskip(NEXT) | instid1(VALU_DEP_2)
	v_and_b32_e32 v167, 3, v167
	v_cmp_eq_u32_e32 vcc_lo, 0, v164
	s_delay_alu instid0(VALU_DEP_2) | instskip(NEXT) | instid1(VALU_DEP_1)
	v_dual_cndmask_b32 v164, v164, v166 :: v_dual_cndmask_b32 v165, v165, v167
	v_lshl_add_u32 v164, v164, 23, 0x37800000
	s_delay_alu instid0(VALU_DEP_2) | instskip(NEXT) | instid1(VALU_DEP_1)
	v_lshlrev_b32_e32 v165, 21, v165
	v_or3_b32 v164, v163, v164, v165
.LBB6_360:                              ;   in Loop: Header=BB6_144 Depth=2
	s_or_b32 exec_lo, exec_lo, s24
	s_delay_alu instid0(VALU_DEP_1) | instskip(NEXT) | instid1(VALU_DEP_1)
	v_mul_f32_e32 v163, v162, v164
	v_and_b32_e32 v162, 0x7f800000, v163
	s_delay_alu instid0(VALU_DEP_1)
	v_cmp_ne_u32_e32 vcc_lo, 0x7f800000, v162
	v_mov_b32_e32 v162, 0x8000
	s_and_saveexec_b32 s24, vcc_lo
	s_cbranch_execz .LBB6_368
; %bb.361:                              ;   in Loop: Header=BB6_144 Depth=2
	v_mov_b32_e32 v162, 0
	s_mov_b32 s25, exec_lo
	v_cmpx_ne_u32_e32 0, v163
	s_cbranch_execz .LBB6_367
; %bb.362:                              ;   in Loop: Header=BB6_144 Depth=2
	v_bfe_u32 v162, v163, 23, 8
	s_delay_alu instid0(VALU_DEP_1) | instskip(SKIP_1) | instid1(VALU_DEP_2)
	v_sub_nc_u32_e32 v165, 0x70, v162
	v_cmp_gt_u32_e32 vcc_lo, 0x71, v162
	v_dual_cndmask_b32 v165, 0, v165 :: v_dual_and_b32 v164, 0x7fffff, v163
	s_delay_alu instid0(VALU_DEP_1) | instskip(SKIP_2) | instid1(VALU_DEP_4)
	v_or_b32_e32 v166, 0x800000, v164
	v_cmp_eq_u32_e32 vcc_lo, 0, v162
	v_add_nc_u32_e32 v162, 0xffffff91, v162
	v_cndmask_b32_e64 v165, v165, 0x6f, vcc_lo
	s_delay_alu instid0(VALU_DEP_2) | instskip(SKIP_1) | instid1(VALU_DEP_3)
	v_cndmask_b32_e64 v162, v162, 0xffffff92, vcc_lo
	v_cndmask_b32_e32 v164, v166, v164, vcc_lo
	v_lshl_add_u32 v166, 0x200000, v165, -1
	v_lshlrev_b32_e64 v177, v165, 0x100000
	s_delay_alu instid0(VALU_DEP_3) | instskip(SKIP_1) | instid1(VALU_DEP_4)
	v_lshrrev_b32_e32 v167, v165, v164
	v_add_nc_u32_e32 v165, v165, v162
	v_and_b32_e32 v164, v166, v164
	s_delay_alu instid0(VALU_DEP_3) | instskip(NEXT) | instid1(VALU_DEP_2)
	v_bfe_u32 v176, v167, 21, 1
	v_cmp_eq_u32_e64 s11, v164, v177
	s_delay_alu instid0(VALU_DEP_2) | instskip(NEXT) | instid1(VALU_DEP_1)
	v_add_nc_u32_e32 v166, -1, v176
	v_cndmask_b32_e64 v164, 0, v166, s11
	v_lshrrev_b32_e32 v166, 23, v167
	s_mov_b32 s11, exec_lo
	s_delay_alu instid0(VALU_DEP_2) | instskip(NEXT) | instid1(VALU_DEP_2)
	v_add_nc_u32_e32 v164, v164, v167
	v_xor_b32_e32 v166, 1, v166
	s_delay_alu instid0(VALU_DEP_2) | instskip(NEXT) | instid1(VALU_DEP_1)
	v_and_b32_e32 v162, 0x1fffff, v164
	v_add_nc_u32_e32 v164, v162, v167
                                        ; implicit-def: $vgpr162
	s_delay_alu instid0(VALU_DEP_3)
	v_cmpx_ne_u32_e64 v165, v166
	s_xor_b32 s11, exec_lo, s11
; %bb.363:                              ;   in Loop: Header=BB6_144 Depth=2
	s_delay_alu instid0(VALU_DEP_2) | instskip(SKIP_2) | instid1(VALU_DEP_2)
	v_cmp_lt_u32_e32 vcc_lo, 0xffffff, v164
	v_sub_nc_u32_e32 v162, v165, v166
	v_cndmask_b32_e64 v165, 0, 1, vcc_lo
	v_add_co_ci_u32_e32 v162, vcc_lo, 0, v162, vcc_lo
	s_delay_alu instid0(VALU_DEP_2)
	v_lshrrev_b32_e32 v164, v165, v164
; %bb.364:                              ;   in Loop: Header=BB6_144 Depth=2
	s_and_not1_saveexec_b32 s11, s11
; %bb.365:                              ;   in Loop: Header=BB6_144 Depth=2
	s_delay_alu instid0(VALU_DEP_1)
	v_bfe_u32 v162, v164, 23, 1
; %bb.366:                              ;   in Loop: Header=BB6_144 Depth=2
	s_or_b32 exec_lo, exec_lo, s11
	v_lshrrev_b32_e32 v164, 21, v164
	s_delay_alu instid0(VALU_DEP_2) | instskip(SKIP_2) | instid1(VALU_DEP_2)
	v_cmp_gt_i32_e32 vcc_lo, 32, v162
	v_min_i32_e32 v165, 31, v162
	v_lshrrev_b32_e32 v163, 24, v163
	v_dual_cndmask_b32 v164, 3, v164 :: v_dual_lshlrev_b32 v165, 2, v165
	s_delay_alu instid0(VALU_DEP_2) | instskip(NEXT) | instid1(VALU_DEP_2)
	v_and_b32_e32 v163, 0x80, v163
	v_or_b32_e32 v162, v162, v164
	v_and_b32_e32 v166, 3, v164
	s_delay_alu instid0(VALU_DEP_2) | instskip(SKIP_1) | instid1(VALU_DEP_1)
	v_cmp_ne_u32_e32 vcc_lo, 0, v162
	v_and_b32_e32 v165, 0xfc, v165
	v_or3_b32 v163, v163, v165, v166
	s_delay_alu instid0(VALU_DEP_1) | instskip(NEXT) | instid1(VALU_DEP_1)
	v_lshlrev_b32_e32 v163, 8, v163
	v_cndmask_b32_e32 v162, 0, v163, vcc_lo
.LBB6_367:                              ;   in Loop: Header=BB6_144 Depth=2
	s_or_b32 exec_lo, exec_lo, s25
.LBB6_368:                              ;   in Loop: Header=BB6_144 Depth=2
	s_delay_alu instid0(SALU_CYCLE_1) | instskip(SKIP_3) | instid1(VALU_DEP_1)
	s_or_b32 exec_lo, exec_lo, s24
	v_lshrrev_b32_e32 v164, 16, v51
	s_mov_b32 s11, 0
	s_mov_b32 s25, exec_lo
                                        ; implicit-def: $sgpr24
	v_and_b32_e32 v165, 0xff, v164
	s_delay_alu instid0(VALU_DEP_1)
	v_cmpx_lt_i16_e64 0x7f, v165
	s_xor_b32 s25, exec_lo, s25
	s_cbranch_execnz .LBB6_1278
; %bb.369:                              ;   in Loop: Header=BB6_144 Depth=2
	s_or_saveexec_b32 s25, s25
	v_mov_b32_e32 v163, s24
	s_xor_b32 exec_lo, exec_lo, s25
	s_cbranch_execnz .LBB6_1281
.LBB6_370:                              ;   in Loop: Header=BB6_144 Depth=2
	s_or_b32 exec_lo, exec_lo, s25
	s_and_saveexec_b32 s24, s11
	s_cbranch_execz .LBB6_372
.LBB6_371:                              ;   in Loop: Header=BB6_144 Depth=2
	v_bfe_u32 v163, v51, 16, 2
	v_lshlrev_b32_e32 v167, 8, v51
	s_delay_alu instid0(VALU_DEP_2) | instskip(NEXT) | instid1(VALU_DEP_1)
	v_clz_i32_u32_e32 v165, v163
	v_min_u32_e32 v165, 32, v165
	s_delay_alu instid0(VALU_DEP_1) | instskip(SKIP_1) | instid1(VALU_DEP_2)
	v_subrev_nc_u32_e32 v166, 29, v165
	v_sub_nc_u32_e32 v165, 30, v165
	v_lshlrev_b32_e32 v164, v166, v164
	v_bfe_u32 v166, v51, 18, 5
	s_delay_alu instid0(VALU_DEP_1) | instskip(NEXT) | instid1(VALU_DEP_3)
	v_cmp_eq_u32_e32 vcc_lo, 0, v166
	v_dual_cndmask_b32 v165, v166, v165 :: v_dual_and_b32 v164, 3, v164
	s_delay_alu instid0(VALU_DEP_1) | instskip(NEXT) | instid1(VALU_DEP_2)
	v_dual_cndmask_b32 v163, v163, v164 :: v_dual_and_b32 v164, 0x80000000, v167
	v_lshl_add_u32 v165, v165, 23, 0x37800000
	s_delay_alu instid0(VALU_DEP_2) | instskip(NEXT) | instid1(VALU_DEP_1)
	v_lshlrev_b32_e32 v163, 21, v163
	v_or3_b32 v163, v164, v165, v163
.LBB6_372:                              ;   in Loop: Header=BB6_144 Depth=2
	s_or_b32 exec_lo, exec_lo, s24
	v_lshrrev_b32_e32 v164, 16, v39
	s_mov_b32 s11, 0
	s_mov_b32 s25, exec_lo
                                        ; implicit-def: $sgpr24
	s_delay_alu instid0(VALU_DEP_1) | instskip(NEXT) | instid1(VALU_DEP_1)
	v_and_b32_e32 v166, 0xff, v164
	v_cmpx_lt_i16_e64 0x7f, v166
	s_xor_b32 s25, exec_lo, s25
	s_cbranch_execnz .LBB6_1282
; %bb.373:                              ;   in Loop: Header=BB6_144 Depth=2
	s_or_saveexec_b32 s25, s25
	v_mov_b32_e32 v165, s24
	s_xor_b32 exec_lo, exec_lo, s25
	s_cbranch_execnz .LBB6_1285
.LBB6_374:                              ;   in Loop: Header=BB6_144 Depth=2
	s_or_b32 exec_lo, exec_lo, s25
	s_and_saveexec_b32 s24, s11
	s_cbranch_execz .LBB6_376
.LBB6_375:                              ;   in Loop: Header=BB6_144 Depth=2
	v_bfe_u32 v165, v39, 16, 2
	v_lshlrev_b32_e32 v176, 8, v39
	s_delay_alu instid0(VALU_DEP_2) | instskip(NEXT) | instid1(VALU_DEP_1)
	v_clz_i32_u32_e32 v166, v165
	v_min_u32_e32 v166, 32, v166
	s_delay_alu instid0(VALU_DEP_1) | instskip(SKIP_1) | instid1(VALU_DEP_2)
	v_subrev_nc_u32_e32 v167, 29, v166
	v_sub_nc_u32_e32 v166, 30, v166
	v_lshlrev_b32_e32 v164, v167, v164
	v_bfe_u32 v167, v39, 18, 5
	s_delay_alu instid0(VALU_DEP_2) | instskip(NEXT) | instid1(VALU_DEP_2)
	v_and_b32_e32 v164, 3, v164
	v_cmp_eq_u32_e32 vcc_lo, 0, v167
	v_cndmask_b32_e32 v166, v167, v166, vcc_lo
	s_delay_alu instid0(VALU_DEP_3) | instskip(SKIP_1) | instid1(VALU_DEP_3)
	v_cndmask_b32_e32 v164, v165, v164, vcc_lo
	v_and_b32_e32 v165, 0x80000000, v176
	v_lshl_add_u32 v166, v166, 23, 0x37800000
	s_delay_alu instid0(VALU_DEP_3) | instskip(NEXT) | instid1(VALU_DEP_1)
	v_lshlrev_b32_e32 v164, 21, v164
	v_or3_b32 v165, v165, v166, v164
.LBB6_376:                              ;   in Loop: Header=BB6_144 Depth=2
	s_or_b32 exec_lo, exec_lo, s24
	s_delay_alu instid0(VALU_DEP_1) | instskip(NEXT) | instid1(VALU_DEP_1)
	v_mul_f32_e32 v164, v163, v165
	v_and_b32_e32 v163, 0x7f800000, v164
	s_delay_alu instid0(VALU_DEP_1)
	v_cmp_ne_u32_e32 vcc_lo, 0x7f800000, v163
	v_mov_b32_e32 v163, 0x80
	s_and_saveexec_b32 s24, vcc_lo
	s_cbranch_execz .LBB6_384
; %bb.377:                              ;   in Loop: Header=BB6_144 Depth=2
	v_mov_b32_e32 v163, 0
	s_mov_b32 s25, exec_lo
	v_cmpx_ne_u32_e32 0, v164
	s_cbranch_execz .LBB6_383
; %bb.378:                              ;   in Loop: Header=BB6_144 Depth=2
	v_bfe_u32 v163, v164, 23, 8
	s_delay_alu instid0(VALU_DEP_1) | instskip(SKIP_1) | instid1(VALU_DEP_2)
	v_sub_nc_u32_e32 v166, 0x70, v163
	v_cmp_gt_u32_e32 vcc_lo, 0x71, v163
	v_dual_cndmask_b32 v166, 0, v166 :: v_dual_and_b32 v165, 0x7fffff, v164
	s_delay_alu instid0(VALU_DEP_1) | instskip(SKIP_2) | instid1(VALU_DEP_4)
	v_or_b32_e32 v167, 0x800000, v165
	v_cmp_eq_u32_e32 vcc_lo, 0, v163
	v_add_nc_u32_e32 v163, 0xffffff91, v163
	v_cndmask_b32_e64 v166, v166, 0x6f, vcc_lo
	s_delay_alu instid0(VALU_DEP_2) | instskip(SKIP_1) | instid1(VALU_DEP_3)
	v_cndmask_b32_e64 v163, v163, 0xffffff92, vcc_lo
	v_cndmask_b32_e32 v165, v167, v165, vcc_lo
	v_lshl_add_u32 v167, 0x200000, v166, -1
	v_lshlrev_b32_e64 v178, v166, 0x100000
	s_delay_alu instid0(VALU_DEP_3) | instskip(SKIP_1) | instid1(VALU_DEP_4)
	v_lshrrev_b32_e32 v176, v166, v165
	v_add_nc_u32_e32 v166, v166, v163
	v_and_b32_e32 v165, v167, v165
	s_delay_alu instid0(VALU_DEP_3) | instskip(NEXT) | instid1(VALU_DEP_2)
	v_bfe_u32 v177, v176, 21, 1
	v_cmp_eq_u32_e64 s11, v165, v178
	s_delay_alu instid0(VALU_DEP_2) | instskip(NEXT) | instid1(VALU_DEP_1)
	v_add_nc_u32_e32 v167, -1, v177
	v_cndmask_b32_e64 v165, 0, v167, s11
	v_lshrrev_b32_e32 v167, 23, v176
	s_mov_b32 s11, exec_lo
	s_delay_alu instid0(VALU_DEP_2) | instskip(NEXT) | instid1(VALU_DEP_2)
	v_add_nc_u32_e32 v165, v165, v176
	v_xor_b32_e32 v167, 1, v167
	s_delay_alu instid0(VALU_DEP_2) | instskip(NEXT) | instid1(VALU_DEP_1)
	v_and_b32_e32 v163, 0x1fffff, v165
	v_add_nc_u32_e32 v165, v163, v176
                                        ; implicit-def: $vgpr163
	s_delay_alu instid0(VALU_DEP_3)
	v_cmpx_ne_u32_e64 v166, v167
	s_xor_b32 s11, exec_lo, s11
; %bb.379:                              ;   in Loop: Header=BB6_144 Depth=2
	s_delay_alu instid0(VALU_DEP_2) | instskip(SKIP_2) | instid1(VALU_DEP_2)
	v_cmp_lt_u32_e32 vcc_lo, 0xffffff, v165
	v_sub_nc_u32_e32 v163, v166, v167
	v_cndmask_b32_e64 v166, 0, 1, vcc_lo
	v_add_co_ci_u32_e32 v163, vcc_lo, 0, v163, vcc_lo
	s_delay_alu instid0(VALU_DEP_2)
	v_lshrrev_b32_e32 v165, v166, v165
; %bb.380:                              ;   in Loop: Header=BB6_144 Depth=2
	s_and_not1_saveexec_b32 s11, s11
; %bb.381:                              ;   in Loop: Header=BB6_144 Depth=2
	s_delay_alu instid0(VALU_DEP_1)
	v_bfe_u32 v163, v165, 23, 1
; %bb.382:                              ;   in Loop: Header=BB6_144 Depth=2
	s_or_b32 exec_lo, exec_lo, s11
	v_lshrrev_b32_e32 v165, 21, v165
	s_delay_alu instid0(VALU_DEP_2) | instskip(SKIP_2) | instid1(VALU_DEP_2)
	v_cmp_gt_i32_e32 vcc_lo, 32, v163
	v_min_i32_e32 v166, 31, v163
	v_lshrrev_b32_e32 v164, 24, v164
	v_dual_cndmask_b32 v165, 3, v165 :: v_dual_lshlrev_b32 v166, 2, v166
	s_delay_alu instid0(VALU_DEP_2) | instskip(NEXT) | instid1(VALU_DEP_2)
	v_and_b32_e32 v164, 0x80, v164
	v_or_b32_e32 v163, v163, v165
	v_and_b32_e32 v167, 3, v165
	s_delay_alu instid0(VALU_DEP_2) | instskip(SKIP_1) | instid1(VALU_DEP_1)
	v_cmp_ne_u32_e32 vcc_lo, 0, v163
	v_and_b32_e32 v166, 0xfc, v166
	v_or3_b32 v164, v166, v164, v167
	s_delay_alu instid0(VALU_DEP_1)
	v_cndmask_b32_e32 v163, 0, v164, vcc_lo
.LBB6_383:                              ;   in Loop: Header=BB6_144 Depth=2
	s_or_b32 exec_lo, exec_lo, s25
.LBB6_384:                              ;   in Loop: Header=BB6_144 Depth=2
	s_delay_alu instid0(SALU_CYCLE_1) | instskip(SKIP_3) | instid1(VALU_DEP_1)
	s_or_b32 exec_lo, exec_lo, s24
	v_lshrrev_b32_e32 v165, 24, v51
	s_mov_b32 s11, 0
	s_mov_b32 s25, exec_lo
                                        ; implicit-def: $sgpr24
	v_cmpx_lt_i16_e64 0x7f, v165
	s_xor_b32 s25, exec_lo, s25
	s_cbranch_execnz .LBB6_1286
; %bb.385:                              ;   in Loop: Header=BB6_144 Depth=2
	s_or_saveexec_b32 s25, s25
	v_mov_b32_e32 v164, s24
	s_xor_b32 exec_lo, exec_lo, s25
	s_cbranch_execnz .LBB6_1289
.LBB6_386:                              ;   in Loop: Header=BB6_144 Depth=2
	s_or_b32 exec_lo, exec_lo, s25
	s_and_saveexec_b32 s24, s11
	s_cbranch_execz .LBB6_388
.LBB6_387:                              ;   in Loop: Header=BB6_144 Depth=2
	v_bfe_u32 v164, v51, 24, 2
	s_delay_alu instid0(VALU_DEP_1) | instskip(NEXT) | instid1(VALU_DEP_1)
	v_clz_i32_u32_e32 v166, v164
	v_min_u32_e32 v166, 32, v166
	s_delay_alu instid0(VALU_DEP_1) | instskip(SKIP_1) | instid1(VALU_DEP_2)
	v_subrev_nc_u32_e32 v167, 29, v166
	v_sub_nc_u32_e32 v166, 30, v166
	v_lshlrev_b32_e32 v165, v167, v165
	v_bfe_u32 v167, v51, 26, 5
	v_and_b32_e32 v51, 0x80000000, v51
	s_delay_alu instid0(VALU_DEP_2) | instskip(NEXT) | instid1(VALU_DEP_4)
	v_cmp_eq_u32_e32 vcc_lo, 0, v167
	v_dual_cndmask_b32 v166, v167, v166 :: v_dual_and_b32 v165, 3, v165
	s_delay_alu instid0(VALU_DEP_1) | instskip(NEXT) | instid1(VALU_DEP_2)
	v_cndmask_b32_e32 v164, v164, v165, vcc_lo
	v_lshl_add_u32 v165, v166, 23, 0x37800000
	s_delay_alu instid0(VALU_DEP_2) | instskip(NEXT) | instid1(VALU_DEP_1)
	v_lshlrev_b32_e32 v164, 21, v164
	v_or3_b32 v164, v51, v165, v164
.LBB6_388:                              ;   in Loop: Header=BB6_144 Depth=2
	s_or_b32 exec_lo, exec_lo, s24
	v_lshrrev_b32_e32 v51, 24, v39
	s_mov_b32 s11, 0
	s_mov_b32 s25, exec_lo
                                        ; implicit-def: $sgpr24
	s_delay_alu instid0(VALU_DEP_1)
	v_cmpx_lt_i16_e32 0x7f, v51
	s_xor_b32 s25, exec_lo, s25
	s_cbranch_execnz .LBB6_1290
; %bb.389:                              ;   in Loop: Header=BB6_144 Depth=2
	s_or_saveexec_b32 s25, s25
	v_mov_b32_e32 v165, s24
	s_xor_b32 exec_lo, exec_lo, s25
	s_cbranch_execnz .LBB6_1293
.LBB6_390:                              ;   in Loop: Header=BB6_144 Depth=2
	s_or_b32 exec_lo, exec_lo, s25
	s_and_saveexec_b32 s24, s11
	s_cbranch_execz .LBB6_392
.LBB6_391:                              ;   in Loop: Header=BB6_144 Depth=2
	v_bfe_u32 v165, v39, 24, 2
	s_delay_alu instid0(VALU_DEP_1) | instskip(NEXT) | instid1(VALU_DEP_1)
	v_clz_i32_u32_e32 v166, v165
	v_min_u32_e32 v166, 32, v166
	s_delay_alu instid0(VALU_DEP_1) | instskip(SKIP_1) | instid1(VALU_DEP_2)
	v_subrev_nc_u32_e32 v167, 29, v166
	v_sub_nc_u32_e32 v166, 30, v166
	v_lshlrev_b32_e32 v51, v167, v51
	v_bfe_u32 v167, v39, 26, 5
	v_and_b32_e32 v39, 0x80000000, v39
	s_delay_alu instid0(VALU_DEP_2) | instskip(NEXT) | instid1(VALU_DEP_4)
	v_cmp_eq_u32_e32 vcc_lo, 0, v167
	v_dual_cndmask_b32 v166, v167, v166 :: v_dual_and_b32 v51, 3, v51
	s_delay_alu instid0(VALU_DEP_1) | instskip(NEXT) | instid1(VALU_DEP_2)
	v_cndmask_b32_e32 v51, v165, v51, vcc_lo
	v_lshl_add_u32 v165, v166, 23, 0x37800000
	s_delay_alu instid0(VALU_DEP_2) | instskip(NEXT) | instid1(VALU_DEP_1)
	v_lshlrev_b32_e32 v51, 21, v51
	v_or3_b32 v165, v39, v165, v51
.LBB6_392:                              ;   in Loop: Header=BB6_144 Depth=2
	s_or_b32 exec_lo, exec_lo, s24
	s_delay_alu instid0(VALU_DEP_1) | instskip(NEXT) | instid1(VALU_DEP_1)
	v_mul_f32_e32 v51, v164, v165
	v_and_b32_e32 v39, 0x7f800000, v51
	s_delay_alu instid0(VALU_DEP_1)
	v_cmp_ne_u32_e32 vcc_lo, 0x7f800000, v39
	v_mov_b32_e32 v39, 0x8000
	s_and_saveexec_b32 s24, vcc_lo
	s_cbranch_execz .LBB6_400
; %bb.393:                              ;   in Loop: Header=BB6_144 Depth=2
	v_mov_b32_e32 v39, 0
	s_mov_b32 s25, exec_lo
	v_cmpx_ne_u32_e32 0, v51
	s_cbranch_execz .LBB6_399
; %bb.394:                              ;   in Loop: Header=BB6_144 Depth=2
	v_bfe_u32 v39, v51, 23, 8
	s_delay_alu instid0(VALU_DEP_1) | instskip(SKIP_1) | instid1(VALU_DEP_2)
	v_sub_nc_u32_e32 v165, 0x70, v39
	v_cmp_gt_u32_e32 vcc_lo, 0x71, v39
	v_dual_cndmask_b32 v165, 0, v165 :: v_dual_and_b32 v164, 0x7fffff, v51
	s_delay_alu instid0(VALU_DEP_1) | instskip(SKIP_2) | instid1(VALU_DEP_4)
	v_or_b32_e32 v166, 0x800000, v164
	v_cmp_eq_u32_e32 vcc_lo, 0, v39
	v_add_nc_u32_e32 v39, 0xffffff91, v39
	v_cndmask_b32_e64 v165, v165, 0x6f, vcc_lo
	s_delay_alu instid0(VALU_DEP_4) | instskip(NEXT) | instid1(VALU_DEP_3)
	v_cndmask_b32_e32 v164, v166, v164, vcc_lo
	v_cndmask_b32_e64 v39, v39, 0xffffff92, vcc_lo
	s_delay_alu instid0(VALU_DEP_3) | instskip(NEXT) | instid1(VALU_DEP_3)
	v_lshl_add_u32 v166, 0x200000, v165, -1
	v_lshrrev_b32_e32 v167, v165, v164
	v_lshlrev_b32_e64 v177, v165, 0x100000
	s_delay_alu instid0(VALU_DEP_4) | instskip(NEXT) | instid1(VALU_DEP_4)
	v_add_nc_u32_e32 v165, v165, v39
	v_and_b32_e32 v164, v166, v164
	s_delay_alu instid0(VALU_DEP_4) | instskip(NEXT) | instid1(VALU_DEP_2)
	v_bfe_u32 v176, v167, 21, 1
	v_cmp_eq_u32_e64 s11, v164, v177
	s_delay_alu instid0(VALU_DEP_2) | instskip(NEXT) | instid1(VALU_DEP_1)
	v_add_nc_u32_e32 v166, -1, v176
	v_cndmask_b32_e64 v164, 0, v166, s11
	v_lshrrev_b32_e32 v166, 23, v167
	s_mov_b32 s11, exec_lo
	s_delay_alu instid0(VALU_DEP_2) | instskip(NEXT) | instid1(VALU_DEP_2)
	v_add_nc_u32_e32 v164, v164, v167
	v_xor_b32_e32 v166, 1, v166
	s_delay_alu instid0(VALU_DEP_2) | instskip(NEXT) | instid1(VALU_DEP_1)
	v_and_b32_e32 v39, 0x1fffff, v164
	v_add_nc_u32_e32 v164, v39, v167
                                        ; implicit-def: $vgpr39
	s_delay_alu instid0(VALU_DEP_3)
	v_cmpx_ne_u32_e64 v165, v166
	s_xor_b32 s11, exec_lo, s11
; %bb.395:                              ;   in Loop: Header=BB6_144 Depth=2
	s_delay_alu instid0(VALU_DEP_2) | instskip(SKIP_2) | instid1(VALU_DEP_2)
	v_cmp_lt_u32_e32 vcc_lo, 0xffffff, v164
	v_sub_nc_u32_e32 v39, v165, v166
	v_cndmask_b32_e64 v165, 0, 1, vcc_lo
	v_add_co_ci_u32_e32 v39, vcc_lo, 0, v39, vcc_lo
	s_delay_alu instid0(VALU_DEP_2)
	v_lshrrev_b32_e32 v164, v165, v164
; %bb.396:                              ;   in Loop: Header=BB6_144 Depth=2
	s_and_not1_saveexec_b32 s11, s11
; %bb.397:                              ;   in Loop: Header=BB6_144 Depth=2
	s_delay_alu instid0(VALU_DEP_1)
	v_bfe_u32 v39, v164, 23, 1
; %bb.398:                              ;   in Loop: Header=BB6_144 Depth=2
	s_or_b32 exec_lo, exec_lo, s11
	v_lshrrev_b32_e32 v164, 21, v164
	s_delay_alu instid0(VALU_DEP_2) | instskip(SKIP_2) | instid1(VALU_DEP_2)
	v_cmp_gt_i32_e32 vcc_lo, 32, v39
	v_min_i32_e32 v165, 31, v39
	v_lshrrev_b32_e32 v51, 24, v51
	v_dual_cndmask_b32 v164, 3, v164 :: v_dual_lshlrev_b32 v165, 2, v165
	s_delay_alu instid0(VALU_DEP_2) | instskip(NEXT) | instid1(VALU_DEP_2)
	v_and_b32_e32 v51, 0x80, v51
	v_or_b32_e32 v39, v39, v164
	s_delay_alu instid0(VALU_DEP_3) | instskip(NEXT) | instid1(VALU_DEP_2)
	v_and_b32_e32 v165, 0xfc, v165
	v_cmp_ne_u32_e32 vcc_lo, 0, v39
	v_and_b32_e32 v166, 3, v164
	s_delay_alu instid0(VALU_DEP_1) | instskip(NEXT) | instid1(VALU_DEP_1)
	v_or3_b32 v51, v51, v165, v166
	v_lshlrev_b32_e32 v51, 8, v51
	s_delay_alu instid0(VALU_DEP_1)
	v_cndmask_b32_e32 v39, 0, v51, vcc_lo
.LBB6_399:                              ;   in Loop: Header=BB6_144 Depth=2
	s_or_b32 exec_lo, exec_lo, s25
.LBB6_400:                              ;   in Loop: Header=BB6_144 Depth=2
	s_delay_alu instid0(SALU_CYCLE_1) | instskip(SKIP_3) | instid1(VALU_DEP_1)
	s_or_b32 exec_lo, exec_lo, s24
	v_and_b32_e32 v164, 0xff, v32
	s_mov_b32 s11, 0
	s_mov_b32 s25, exec_lo
                                        ; implicit-def: $sgpr24
	v_cmpx_lt_i16_e64 0x7f, v164
	s_xor_b32 s25, exec_lo, s25
	s_cbranch_execnz .LBB6_1294
; %bb.401:                              ;   in Loop: Header=BB6_144 Depth=2
	s_or_saveexec_b32 s25, s25
	v_mov_b32_e32 v51, s24
	s_xor_b32 exec_lo, exec_lo, s25
	s_cbranch_execnz .LBB6_1297
.LBB6_402:                              ;   in Loop: Header=BB6_144 Depth=2
	s_or_b32 exec_lo, exec_lo, s25
	s_and_saveexec_b32 s24, s11
	s_cbranch_execz .LBB6_404
.LBB6_403:                              ;   in Loop: Header=BB6_144 Depth=2
	v_and_b32_e32 v51, 3, v32
	v_bfe_u32 v166, v32, 2, 5
	v_lshlrev_b32_e32 v167, 24, v32
	s_delay_alu instid0(VALU_DEP_3) | instskip(NEXT) | instid1(VALU_DEP_3)
	v_clz_i32_u32_e32 v164, v51
	v_cmp_eq_u32_e32 vcc_lo, 0, v166
	s_delay_alu instid0(VALU_DEP_2) | instskip(NEXT) | instid1(VALU_DEP_1)
	v_min_u32_e32 v164, 32, v164
	v_subrev_nc_u32_e32 v165, 29, v164
	v_sub_nc_u32_e32 v164, 30, v164
	s_delay_alu instid0(VALU_DEP_2) | instskip(NEXT) | instid1(VALU_DEP_1)
	v_lshlrev_b32_e32 v165, v165, v32
	v_dual_cndmask_b32 v164, v166, v164 :: v_dual_and_b32 v165, 3, v165
	s_delay_alu instid0(VALU_DEP_1) | instskip(NEXT) | instid1(VALU_DEP_2)
	v_lshl_add_u32 v164, v164, 23, 0x37800000
	v_cndmask_b32_e32 v51, v51, v165, vcc_lo
	v_and_b32_e32 v165, 0x80000000, v167
	s_delay_alu instid0(VALU_DEP_2) | instskip(NEXT) | instid1(VALU_DEP_1)
	v_lshlrev_b32_e32 v51, 21, v51
	v_or3_b32 v51, v165, v164, v51
.LBB6_404:                              ;   in Loop: Header=BB6_144 Depth=2
	s_or_b32 exec_lo, exec_lo, s24
	s_waitcnt vmcnt(2)
	v_and_b32_e32 v165, 0xff, v26
	s_mov_b32 s11, 0
	s_mov_b32 s25, exec_lo
                                        ; implicit-def: $sgpr24
	s_delay_alu instid0(VALU_DEP_1)
	v_cmpx_lt_i16_e64 0x7f, v165
	s_xor_b32 s25, exec_lo, s25
	s_cbranch_execnz .LBB6_1298
; %bb.405:                              ;   in Loop: Header=BB6_144 Depth=2
	s_or_saveexec_b32 s25, s25
	v_mov_b32_e32 v164, s24
	s_xor_b32 exec_lo, exec_lo, s25
	s_cbranch_execnz .LBB6_1301
.LBB6_406:                              ;   in Loop: Header=BB6_144 Depth=2
	s_or_b32 exec_lo, exec_lo, s25
	s_and_saveexec_b32 s24, s11
	s_cbranch_execz .LBB6_408
.LBB6_407:                              ;   in Loop: Header=BB6_144 Depth=2
	v_bfe_u32 v167, v26, 2, 5
	v_lshlrev_b32_e32 v176, 24, v26
	s_delay_alu instid0(VALU_DEP_2) | instskip(SKIP_1) | instid1(VALU_DEP_1)
	v_cmp_eq_u32_e32 vcc_lo, 0, v167
	v_and_b32_e32 v164, 3, v26
	v_clz_i32_u32_e32 v165, v164
	s_delay_alu instid0(VALU_DEP_1) | instskip(NEXT) | instid1(VALU_DEP_1)
	v_min_u32_e32 v165, 32, v165
	v_subrev_nc_u32_e32 v166, 29, v165
	v_sub_nc_u32_e32 v165, 30, v165
	s_delay_alu instid0(VALU_DEP_1) | instskip(NEXT) | instid1(VALU_DEP_1)
	v_dual_cndmask_b32 v165, v167, v165 :: v_dual_lshlrev_b32 v166, v166, v26
	v_and_b32_e32 v166, 3, v166
	s_delay_alu instid0(VALU_DEP_2) | instskip(NEXT) | instid1(VALU_DEP_2)
	v_lshl_add_u32 v165, v165, 23, 0x37800000
	v_cndmask_b32_e32 v164, v164, v166, vcc_lo
	v_and_b32_e32 v166, 0x80000000, v176
	s_delay_alu instid0(VALU_DEP_2) | instskip(NEXT) | instid1(VALU_DEP_1)
	v_lshlrev_b32_e32 v164, 21, v164
	v_or3_b32 v164, v166, v165, v164
.LBB6_408:                              ;   in Loop: Header=BB6_144 Depth=2
	s_or_b32 exec_lo, exec_lo, s24
	s_delay_alu instid0(VALU_DEP_1) | instskip(NEXT) | instid1(VALU_DEP_1)
	v_mul_f32_e32 v164, v51, v164
	v_and_b32_e32 v51, 0x7f800000, v164
	s_delay_alu instid0(VALU_DEP_1)
	v_cmp_ne_u32_e32 vcc_lo, 0x7f800000, v51
	v_mov_b32_e32 v51, 0x80
	s_and_saveexec_b32 s24, vcc_lo
	s_cbranch_execz .LBB6_416
; %bb.409:                              ;   in Loop: Header=BB6_144 Depth=2
	v_mov_b32_e32 v51, 0
	s_mov_b32 s25, exec_lo
	v_cmpx_ne_u32_e32 0, v164
	s_cbranch_execz .LBB6_415
; %bb.410:                              ;   in Loop: Header=BB6_144 Depth=2
	v_bfe_u32 v51, v164, 23, 8
	s_delay_alu instid0(VALU_DEP_1) | instskip(SKIP_1) | instid1(VALU_DEP_2)
	v_sub_nc_u32_e32 v166, 0x70, v51
	v_cmp_gt_u32_e32 vcc_lo, 0x71, v51
	v_dual_cndmask_b32 v166, 0, v166 :: v_dual_and_b32 v165, 0x7fffff, v164
	s_delay_alu instid0(VALU_DEP_1) | instskip(SKIP_2) | instid1(VALU_DEP_4)
	v_or_b32_e32 v167, 0x800000, v165
	v_cmp_eq_u32_e32 vcc_lo, 0, v51
	v_add_nc_u32_e32 v51, 0xffffff91, v51
	v_cndmask_b32_e64 v166, v166, 0x6f, vcc_lo
	s_delay_alu instid0(VALU_DEP_2) | instskip(SKIP_1) | instid1(VALU_DEP_3)
	v_cndmask_b32_e64 v51, v51, 0xffffff92, vcc_lo
	v_cndmask_b32_e32 v165, v167, v165, vcc_lo
	v_lshl_add_u32 v167, 0x200000, v166, -1
	v_lshlrev_b32_e64 v178, v166, 0x100000
	s_delay_alu instid0(VALU_DEP_3) | instskip(SKIP_1) | instid1(VALU_DEP_4)
	v_lshrrev_b32_e32 v176, v166, v165
	v_add_nc_u32_e32 v166, v166, v51
	v_and_b32_e32 v165, v167, v165
	s_delay_alu instid0(VALU_DEP_3) | instskip(NEXT) | instid1(VALU_DEP_2)
	v_bfe_u32 v177, v176, 21, 1
	v_cmp_eq_u32_e64 s11, v165, v178
	s_delay_alu instid0(VALU_DEP_2) | instskip(NEXT) | instid1(VALU_DEP_1)
	v_add_nc_u32_e32 v167, -1, v177
	v_cndmask_b32_e64 v165, 0, v167, s11
	v_lshrrev_b32_e32 v167, 23, v176
	s_mov_b32 s11, exec_lo
	s_delay_alu instid0(VALU_DEP_2) | instskip(NEXT) | instid1(VALU_DEP_2)
	v_add_nc_u32_e32 v165, v165, v176
	v_xor_b32_e32 v167, 1, v167
	s_delay_alu instid0(VALU_DEP_2) | instskip(NEXT) | instid1(VALU_DEP_1)
	v_and_b32_e32 v51, 0x1fffff, v165
	v_add_nc_u32_e32 v165, v51, v176
                                        ; implicit-def: $vgpr51
	s_delay_alu instid0(VALU_DEP_3)
	v_cmpx_ne_u32_e64 v166, v167
	s_xor_b32 s11, exec_lo, s11
; %bb.411:                              ;   in Loop: Header=BB6_144 Depth=2
	s_delay_alu instid0(VALU_DEP_2) | instskip(SKIP_2) | instid1(VALU_DEP_2)
	v_cmp_lt_u32_e32 vcc_lo, 0xffffff, v165
	v_sub_nc_u32_e32 v51, v166, v167
	v_cndmask_b32_e64 v166, 0, 1, vcc_lo
	v_add_co_ci_u32_e32 v51, vcc_lo, 0, v51, vcc_lo
	s_delay_alu instid0(VALU_DEP_2)
	v_lshrrev_b32_e32 v165, v166, v165
; %bb.412:                              ;   in Loop: Header=BB6_144 Depth=2
	s_and_not1_saveexec_b32 s11, s11
; %bb.413:                              ;   in Loop: Header=BB6_144 Depth=2
	s_delay_alu instid0(VALU_DEP_1)
	v_bfe_u32 v51, v165, 23, 1
; %bb.414:                              ;   in Loop: Header=BB6_144 Depth=2
	s_or_b32 exec_lo, exec_lo, s11
	v_lshrrev_b32_e32 v165, 21, v165
	s_delay_alu instid0(VALU_DEP_2) | instskip(SKIP_2) | instid1(VALU_DEP_2)
	v_cmp_gt_i32_e32 vcc_lo, 32, v51
	v_lshrrev_b32_e32 v164, 24, v164
	v_min_i32_e32 v166, 31, v51
	v_dual_cndmask_b32 v165, 3, v165 :: v_dual_and_b32 v164, 0x80, v164
	s_delay_alu instid0(VALU_DEP_1) | instskip(SKIP_1) | instid1(VALU_DEP_2)
	v_or_b32_e32 v51, v51, v165
	v_and_b32_e32 v167, 3, v165
	v_cmp_ne_u32_e32 vcc_lo, 0, v51
	v_lshlrev_b32_e32 v166, 2, v166
	s_delay_alu instid0(VALU_DEP_1) | instskip(NEXT) | instid1(VALU_DEP_1)
	v_or3_b32 v164, v166, v164, v167
	v_cndmask_b32_e32 v51, 0, v164, vcc_lo
.LBB6_415:                              ;   in Loop: Header=BB6_144 Depth=2
	s_or_b32 exec_lo, exec_lo, s25
.LBB6_416:                              ;   in Loop: Header=BB6_144 Depth=2
	s_delay_alu instid0(SALU_CYCLE_1) | instskip(SKIP_3) | instid1(VALU_DEP_1)
	s_or_b32 exec_lo, exec_lo, s24
	v_lshrrev_b16 v165, 8, v32
	s_mov_b32 s11, 0
	s_mov_b32 s25, exec_lo
                                        ; implicit-def: $sgpr24
	v_cmpx_lt_i16_e64 0x7f, v165
	s_xor_b32 s25, exec_lo, s25
	s_cbranch_execnz .LBB6_1302
; %bb.417:                              ;   in Loop: Header=BB6_144 Depth=2
	s_or_saveexec_b32 s25, s25
	v_mov_b32_e32 v164, s24
	s_xor_b32 exec_lo, exec_lo, s25
	s_cbranch_execnz .LBB6_1305
.LBB6_418:                              ;   in Loop: Header=BB6_144 Depth=2
	s_or_b32 exec_lo, exec_lo, s25
	s_and_saveexec_b32 s24, s11
	s_cbranch_execz .LBB6_420
.LBB6_419:                              ;   in Loop: Header=BB6_144 Depth=2
	v_and_b32_e32 v164, 0xffff, v165
	s_delay_alu instid0(VALU_DEP_1) | instskip(NEXT) | instid1(VALU_DEP_1)
	v_and_b32_e32 v166, 3, v164
	v_clz_i32_u32_e32 v167, v166
	s_delay_alu instid0(VALU_DEP_1) | instskip(NEXT) | instid1(VALU_DEP_1)
	v_min_u32_e32 v167, 32, v167
	v_subrev_nc_u32_e32 v176, 29, v167
	v_sub_nc_u32_e32 v167, 30, v167
	s_delay_alu instid0(VALU_DEP_2) | instskip(SKIP_1) | instid1(VALU_DEP_2)
	v_lshlrev_b32_e32 v176, v176, v164
	v_bfe_u32 v164, v164, 2, 5
	v_and_b32_e32 v176, 3, v176
	s_delay_alu instid0(VALU_DEP_2) | instskip(SKIP_1) | instid1(VALU_DEP_1)
	v_cmp_eq_u32_e32 vcc_lo, 0, v164
	v_dual_cndmask_b32 v164, v164, v167 :: v_dual_lshlrev_b32 v165, 24, v165
	v_dual_cndmask_b32 v166, v166, v176 :: v_dual_and_b32 v165, 0x80000000, v165
	s_delay_alu instid0(VALU_DEP_2) | instskip(NEXT) | instid1(VALU_DEP_2)
	v_lshl_add_u32 v164, v164, 23, 0x37800000
	v_lshlrev_b32_e32 v166, 21, v166
	s_delay_alu instid0(VALU_DEP_1)
	v_or3_b32 v164, v165, v164, v166
.LBB6_420:                              ;   in Loop: Header=BB6_144 Depth=2
	s_or_b32 exec_lo, exec_lo, s24
	v_lshrrev_b16 v165, 8, v26
	s_mov_b32 s11, 0
	s_mov_b32 s25, exec_lo
                                        ; implicit-def: $sgpr24
	s_delay_alu instid0(VALU_DEP_1)
	v_cmpx_lt_i16_e64 0x7f, v165
	s_xor_b32 s25, exec_lo, s25
	s_cbranch_execnz .LBB6_1306
; %bb.421:                              ;   in Loop: Header=BB6_144 Depth=2
	s_or_saveexec_b32 s25, s25
	v_mov_b32_e32 v166, s24
	s_xor_b32 exec_lo, exec_lo, s25
	s_cbranch_execnz .LBB6_1309
.LBB6_422:                              ;   in Loop: Header=BB6_144 Depth=2
	s_or_b32 exec_lo, exec_lo, s25
	s_and_saveexec_b32 s24, s11
	s_cbranch_execz .LBB6_424
.LBB6_423:                              ;   in Loop: Header=BB6_144 Depth=2
	v_and_b32_e32 v166, 0xffff, v165
	v_lshlrev_b32_e32 v165, 24, v165
	s_delay_alu instid0(VALU_DEP_2) | instskip(NEXT) | instid1(VALU_DEP_2)
	v_and_b32_e32 v167, 3, v166
	v_and_b32_e32 v165, 0x80000000, v165
	s_delay_alu instid0(VALU_DEP_2) | instskip(NEXT) | instid1(VALU_DEP_1)
	v_clz_i32_u32_e32 v176, v167
	v_min_u32_e32 v176, 32, v176
	s_delay_alu instid0(VALU_DEP_1) | instskip(SKIP_1) | instid1(VALU_DEP_2)
	v_subrev_nc_u32_e32 v177, 29, v176
	v_sub_nc_u32_e32 v176, 30, v176
	v_lshlrev_b32_e32 v177, v177, v166
	v_bfe_u32 v166, v166, 2, 5
	s_delay_alu instid0(VALU_DEP_2) | instskip(NEXT) | instid1(VALU_DEP_2)
	v_and_b32_e32 v177, 3, v177
	v_cmp_eq_u32_e32 vcc_lo, 0, v166
	s_delay_alu instid0(VALU_DEP_2) | instskip(NEXT) | instid1(VALU_DEP_1)
	v_dual_cndmask_b32 v166, v166, v176 :: v_dual_cndmask_b32 v167, v167, v177
	v_lshl_add_u32 v166, v166, 23, 0x37800000
	s_delay_alu instid0(VALU_DEP_2) | instskip(NEXT) | instid1(VALU_DEP_1)
	v_lshlrev_b32_e32 v167, 21, v167
	v_or3_b32 v166, v165, v166, v167
.LBB6_424:                              ;   in Loop: Header=BB6_144 Depth=2
	s_or_b32 exec_lo, exec_lo, s24
	s_delay_alu instid0(VALU_DEP_1) | instskip(NEXT) | instid1(VALU_DEP_1)
	v_mul_f32_e32 v165, v164, v166
	v_and_b32_e32 v164, 0x7f800000, v165
	s_delay_alu instid0(VALU_DEP_1)
	v_cmp_ne_u32_e32 vcc_lo, 0x7f800000, v164
	v_mov_b32_e32 v164, 0x80
	s_and_saveexec_b32 s24, vcc_lo
	s_cbranch_execz .LBB6_432
; %bb.425:                              ;   in Loop: Header=BB6_144 Depth=2
	v_mov_b32_e32 v164, 0
	s_mov_b32 s25, exec_lo
	v_cmpx_ne_u32_e32 0, v165
	s_cbranch_execz .LBB6_431
; %bb.426:                              ;   in Loop: Header=BB6_144 Depth=2
	v_bfe_u32 v164, v165, 23, 8
	s_delay_alu instid0(VALU_DEP_1) | instskip(SKIP_1) | instid1(VALU_DEP_2)
	v_sub_nc_u32_e32 v167, 0x70, v164
	v_cmp_gt_u32_e32 vcc_lo, 0x71, v164
	v_dual_cndmask_b32 v167, 0, v167 :: v_dual_and_b32 v166, 0x7fffff, v165
	s_delay_alu instid0(VALU_DEP_1) | instskip(SKIP_2) | instid1(VALU_DEP_4)
	v_or_b32_e32 v176, 0x800000, v166
	v_cmp_eq_u32_e32 vcc_lo, 0, v164
	v_add_nc_u32_e32 v164, 0xffffff91, v164
	v_cndmask_b32_e64 v167, v167, 0x6f, vcc_lo
	s_delay_alu instid0(VALU_DEP_2) | instskip(SKIP_1) | instid1(VALU_DEP_3)
	v_cndmask_b32_e64 v164, v164, 0xffffff92, vcc_lo
	v_cndmask_b32_e32 v166, v176, v166, vcc_lo
	v_lshl_add_u32 v176, 0x200000, v167, -1
	v_lshlrev_b32_e64 v179, v167, 0x100000
	s_delay_alu instid0(VALU_DEP_3) | instskip(SKIP_1) | instid1(VALU_DEP_4)
	v_lshrrev_b32_e32 v177, v167, v166
	v_add_nc_u32_e32 v167, v167, v164
	v_and_b32_e32 v166, v176, v166
	s_delay_alu instid0(VALU_DEP_3) | instskip(NEXT) | instid1(VALU_DEP_2)
	v_bfe_u32 v178, v177, 21, 1
	v_cmp_eq_u32_e64 s11, v166, v179
	s_delay_alu instid0(VALU_DEP_2) | instskip(NEXT) | instid1(VALU_DEP_1)
	v_add_nc_u32_e32 v176, -1, v178
	v_cndmask_b32_e64 v166, 0, v176, s11
	v_lshrrev_b32_e32 v176, 23, v177
	s_mov_b32 s11, exec_lo
	s_delay_alu instid0(VALU_DEP_2) | instskip(NEXT) | instid1(VALU_DEP_2)
	v_add_nc_u32_e32 v166, v166, v177
	v_xor_b32_e32 v176, 1, v176
	s_delay_alu instid0(VALU_DEP_2) | instskip(NEXT) | instid1(VALU_DEP_1)
	v_and_b32_e32 v164, 0x1fffff, v166
	v_add_nc_u32_e32 v166, v164, v177
                                        ; implicit-def: $vgpr164
	s_delay_alu instid0(VALU_DEP_3)
	v_cmpx_ne_u32_e64 v167, v176
	s_xor_b32 s11, exec_lo, s11
; %bb.427:                              ;   in Loop: Header=BB6_144 Depth=2
	s_delay_alu instid0(VALU_DEP_2) | instskip(SKIP_2) | instid1(VALU_DEP_2)
	v_cmp_lt_u32_e32 vcc_lo, 0xffffff, v166
	v_sub_nc_u32_e32 v164, v167, v176
	v_cndmask_b32_e64 v167, 0, 1, vcc_lo
	v_add_co_ci_u32_e32 v164, vcc_lo, 0, v164, vcc_lo
	s_delay_alu instid0(VALU_DEP_2)
	v_lshrrev_b32_e32 v166, v167, v166
; %bb.428:                              ;   in Loop: Header=BB6_144 Depth=2
	s_and_not1_saveexec_b32 s11, s11
; %bb.429:                              ;   in Loop: Header=BB6_144 Depth=2
	s_delay_alu instid0(VALU_DEP_1)
	v_bfe_u32 v164, v166, 23, 1
; %bb.430:                              ;   in Loop: Header=BB6_144 Depth=2
	s_or_b32 exec_lo, exec_lo, s11
	v_lshrrev_b32_e32 v166, 21, v166
	s_delay_alu instid0(VALU_DEP_2) | instskip(SKIP_2) | instid1(VALU_DEP_2)
	v_cmp_gt_i32_e32 vcc_lo, 32, v164
	v_lshrrev_b32_e32 v165, 24, v165
	v_min_i32_e32 v167, 31, v164
	v_dual_cndmask_b32 v166, 3, v166 :: v_dual_and_b32 v165, 0x80, v165
	s_delay_alu instid0(VALU_DEP_1) | instskip(SKIP_1) | instid1(VALU_DEP_2)
	v_or_b32_e32 v164, v164, v166
	v_and_b32_e32 v176, 3, v166
	v_cmp_ne_u32_e32 vcc_lo, 0, v164
	v_lshlrev_b32_e32 v167, 2, v167
	s_delay_alu instid0(VALU_DEP_1) | instskip(NEXT) | instid1(VALU_DEP_1)
	v_or3_b32 v165, v167, v165, v176
	v_cndmask_b32_e32 v164, 0, v165, vcc_lo
.LBB6_431:                              ;   in Loop: Header=BB6_144 Depth=2
	s_or_b32 exec_lo, exec_lo, s25
.LBB6_432:                              ;   in Loop: Header=BB6_144 Depth=2
	s_delay_alu instid0(SALU_CYCLE_1) | instskip(SKIP_3) | instid1(VALU_DEP_1)
	s_or_b32 exec_lo, exec_lo, s24
	v_lshrrev_b32_e32 v166, 16, v32
	s_mov_b32 s11, 0
	s_mov_b32 s25, exec_lo
                                        ; implicit-def: $sgpr24
	v_and_b32_e32 v167, 0xff, v166
	s_delay_alu instid0(VALU_DEP_1)
	v_cmpx_lt_i16_e64 0x7f, v167
	s_xor_b32 s25, exec_lo, s25
	s_cbranch_execnz .LBB6_1310
; %bb.433:                              ;   in Loop: Header=BB6_144 Depth=2
	s_or_saveexec_b32 s25, s25
	v_mov_b32_e32 v165, s24
	s_xor_b32 exec_lo, exec_lo, s25
	s_cbranch_execnz .LBB6_1313
.LBB6_434:                              ;   in Loop: Header=BB6_144 Depth=2
	s_or_b32 exec_lo, exec_lo, s25
	s_and_saveexec_b32 s24, s11
	s_cbranch_execz .LBB6_436
.LBB6_435:                              ;   in Loop: Header=BB6_144 Depth=2
	v_bfe_u32 v165, v32, 16, 2
	v_lshlrev_b32_e32 v177, 8, v32
	s_delay_alu instid0(VALU_DEP_2) | instskip(NEXT) | instid1(VALU_DEP_1)
	v_clz_i32_u32_e32 v167, v165
	v_min_u32_e32 v167, 32, v167
	s_delay_alu instid0(VALU_DEP_1) | instskip(SKIP_1) | instid1(VALU_DEP_2)
	v_subrev_nc_u32_e32 v176, 29, v167
	v_sub_nc_u32_e32 v167, 30, v167
	v_lshlrev_b32_e32 v166, v176, v166
	v_bfe_u32 v176, v32, 18, 5
	s_delay_alu instid0(VALU_DEP_1) | instskip(NEXT) | instid1(VALU_DEP_3)
	v_cmp_eq_u32_e32 vcc_lo, 0, v176
	v_dual_cndmask_b32 v167, v176, v167 :: v_dual_and_b32 v166, 3, v166
	s_delay_alu instid0(VALU_DEP_1) | instskip(NEXT) | instid1(VALU_DEP_2)
	v_dual_cndmask_b32 v165, v165, v166 :: v_dual_and_b32 v166, 0x80000000, v177
	v_lshl_add_u32 v167, v167, 23, 0x37800000
	s_delay_alu instid0(VALU_DEP_2) | instskip(NEXT) | instid1(VALU_DEP_1)
	v_lshlrev_b32_e32 v165, 21, v165
	v_or3_b32 v165, v166, v167, v165
.LBB6_436:                              ;   in Loop: Header=BB6_144 Depth=2
	s_or_b32 exec_lo, exec_lo, s24
	v_lshrrev_b32_e32 v166, 16, v26
	s_mov_b32 s11, 0
	s_mov_b32 s25, exec_lo
                                        ; implicit-def: $sgpr24
	s_delay_alu instid0(VALU_DEP_1) | instskip(NEXT) | instid1(VALU_DEP_1)
	v_and_b32_e32 v176, 0xff, v166
	v_cmpx_lt_i16_e64 0x7f, v176
	s_xor_b32 s25, exec_lo, s25
	s_cbranch_execnz .LBB6_1314
; %bb.437:                              ;   in Loop: Header=BB6_144 Depth=2
	s_or_saveexec_b32 s25, s25
	v_mov_b32_e32 v167, s24
	s_xor_b32 exec_lo, exec_lo, s25
	s_cbranch_execnz .LBB6_1317
.LBB6_438:                              ;   in Loop: Header=BB6_144 Depth=2
	s_or_b32 exec_lo, exec_lo, s25
	s_and_saveexec_b32 s24, s11
	s_cbranch_execz .LBB6_440
.LBB6_439:                              ;   in Loop: Header=BB6_144 Depth=2
	v_bfe_u32 v167, v26, 16, 2
	v_lshlrev_b32_e32 v178, 8, v26
	s_delay_alu instid0(VALU_DEP_2) | instskip(NEXT) | instid1(VALU_DEP_1)
	v_clz_i32_u32_e32 v176, v167
	v_min_u32_e32 v176, 32, v176
	s_delay_alu instid0(VALU_DEP_1) | instskip(SKIP_1) | instid1(VALU_DEP_2)
	v_subrev_nc_u32_e32 v177, 29, v176
	v_sub_nc_u32_e32 v176, 30, v176
	v_lshlrev_b32_e32 v166, v177, v166
	v_bfe_u32 v177, v26, 18, 5
	s_delay_alu instid0(VALU_DEP_2) | instskip(NEXT) | instid1(VALU_DEP_2)
	v_and_b32_e32 v166, 3, v166
	v_cmp_eq_u32_e32 vcc_lo, 0, v177
	v_cndmask_b32_e32 v176, v177, v176, vcc_lo
	s_delay_alu instid0(VALU_DEP_3) | instskip(SKIP_1) | instid1(VALU_DEP_3)
	v_cndmask_b32_e32 v166, v167, v166, vcc_lo
	v_and_b32_e32 v167, 0x80000000, v178
	v_lshl_add_u32 v176, v176, 23, 0x37800000
	s_delay_alu instid0(VALU_DEP_3) | instskip(NEXT) | instid1(VALU_DEP_1)
	v_lshlrev_b32_e32 v166, 21, v166
	v_or3_b32 v167, v167, v176, v166
.LBB6_440:                              ;   in Loop: Header=BB6_144 Depth=2
	s_or_b32 exec_lo, exec_lo, s24
	s_delay_alu instid0(VALU_DEP_1) | instskip(NEXT) | instid1(VALU_DEP_1)
	v_mul_f32_e32 v166, v165, v167
	v_and_b32_e32 v165, 0x7f800000, v166
	s_delay_alu instid0(VALU_DEP_1)
	v_cmp_ne_u32_e32 vcc_lo, 0x7f800000, v165
	v_mov_b32_e32 v165, 0x80
	s_and_saveexec_b32 s24, vcc_lo
	s_cbranch_execz .LBB6_448
; %bb.441:                              ;   in Loop: Header=BB6_144 Depth=2
	v_mov_b32_e32 v165, 0
	s_mov_b32 s25, exec_lo
	v_cmpx_ne_u32_e32 0, v166
	s_cbranch_execz .LBB6_447
; %bb.442:                              ;   in Loop: Header=BB6_144 Depth=2
	v_bfe_u32 v165, v166, 23, 8
	s_delay_alu instid0(VALU_DEP_1) | instskip(SKIP_1) | instid1(VALU_DEP_2)
	v_sub_nc_u32_e32 v176, 0x70, v165
	v_cmp_gt_u32_e32 vcc_lo, 0x71, v165
	v_dual_cndmask_b32 v176, 0, v176 :: v_dual_and_b32 v167, 0x7fffff, v166
	s_delay_alu instid0(VALU_DEP_1) | instskip(SKIP_2) | instid1(VALU_DEP_4)
	v_or_b32_e32 v177, 0x800000, v167
	v_cmp_eq_u32_e32 vcc_lo, 0, v165
	v_add_nc_u32_e32 v165, 0xffffff91, v165
	v_cndmask_b32_e64 v176, v176, 0x6f, vcc_lo
	s_delay_alu instid0(VALU_DEP_2) | instskip(SKIP_1) | instid1(VALU_DEP_3)
	v_cndmask_b32_e64 v165, v165, 0xffffff92, vcc_lo
	v_cndmask_b32_e32 v167, v177, v167, vcc_lo
	v_lshl_add_u32 v177, 0x200000, v176, -1
	v_lshlrev_b32_e64 v180, v176, 0x100000
	s_delay_alu instid0(VALU_DEP_3) | instskip(SKIP_1) | instid1(VALU_DEP_4)
	v_lshrrev_b32_e32 v178, v176, v167
	v_add_nc_u32_e32 v176, v176, v165
	v_and_b32_e32 v167, v177, v167
	s_delay_alu instid0(VALU_DEP_3) | instskip(NEXT) | instid1(VALU_DEP_2)
	v_bfe_u32 v179, v178, 21, 1
	v_cmp_eq_u32_e64 s11, v167, v180
	s_delay_alu instid0(VALU_DEP_2) | instskip(NEXT) | instid1(VALU_DEP_1)
	v_add_nc_u32_e32 v177, -1, v179
	v_cndmask_b32_e64 v167, 0, v177, s11
	v_lshrrev_b32_e32 v177, 23, v178
	s_mov_b32 s11, exec_lo
	s_delay_alu instid0(VALU_DEP_2) | instskip(NEXT) | instid1(VALU_DEP_2)
	v_add_nc_u32_e32 v167, v167, v178
	v_xor_b32_e32 v177, 1, v177
	s_delay_alu instid0(VALU_DEP_2) | instskip(NEXT) | instid1(VALU_DEP_1)
	v_and_b32_e32 v165, 0x1fffff, v167
	v_add_nc_u32_e32 v167, v165, v178
                                        ; implicit-def: $vgpr165
	s_delay_alu instid0(VALU_DEP_3)
	v_cmpx_ne_u32_e64 v176, v177
	s_xor_b32 s11, exec_lo, s11
; %bb.443:                              ;   in Loop: Header=BB6_144 Depth=2
	s_delay_alu instid0(VALU_DEP_2) | instskip(SKIP_2) | instid1(VALU_DEP_2)
	v_cmp_lt_u32_e32 vcc_lo, 0xffffff, v167
	v_sub_nc_u32_e32 v165, v176, v177
	v_cndmask_b32_e64 v176, 0, 1, vcc_lo
	v_add_co_ci_u32_e32 v165, vcc_lo, 0, v165, vcc_lo
	s_delay_alu instid0(VALU_DEP_2)
	v_lshrrev_b32_e32 v167, v176, v167
; %bb.444:                              ;   in Loop: Header=BB6_144 Depth=2
	s_and_not1_saveexec_b32 s11, s11
; %bb.445:                              ;   in Loop: Header=BB6_144 Depth=2
	s_delay_alu instid0(VALU_DEP_1)
	v_bfe_u32 v165, v167, 23, 1
; %bb.446:                              ;   in Loop: Header=BB6_144 Depth=2
	s_or_b32 exec_lo, exec_lo, s11
	v_lshrrev_b32_e32 v167, 21, v167
	s_delay_alu instid0(VALU_DEP_2) | instskip(SKIP_2) | instid1(VALU_DEP_2)
	v_cmp_gt_i32_e32 vcc_lo, 32, v165
	v_lshrrev_b32_e32 v166, 24, v166
	v_min_i32_e32 v176, 31, v165
	v_dual_cndmask_b32 v167, 3, v167 :: v_dual_and_b32 v166, 0x80, v166
	s_delay_alu instid0(VALU_DEP_1) | instskip(SKIP_1) | instid1(VALU_DEP_2)
	v_or_b32_e32 v165, v165, v167
	v_and_b32_e32 v177, 3, v167
	v_cmp_ne_u32_e32 vcc_lo, 0, v165
	v_lshlrev_b32_e32 v176, 2, v176
	s_delay_alu instid0(VALU_DEP_1) | instskip(NEXT) | instid1(VALU_DEP_1)
	v_or3_b32 v166, v176, v166, v177
	v_cndmask_b32_e32 v165, 0, v166, vcc_lo
.LBB6_447:                              ;   in Loop: Header=BB6_144 Depth=2
	s_or_b32 exec_lo, exec_lo, s25
.LBB6_448:                              ;   in Loop: Header=BB6_144 Depth=2
	s_delay_alu instid0(SALU_CYCLE_1) | instskip(SKIP_3) | instid1(VALU_DEP_1)
	s_or_b32 exec_lo, exec_lo, s24
	v_lshrrev_b32_e32 v167, 24, v32
	s_mov_b32 s11, 0
	s_mov_b32 s25, exec_lo
                                        ; implicit-def: $sgpr24
	v_cmpx_lt_i16_e64 0x7f, v167
	s_xor_b32 s25, exec_lo, s25
	s_cbranch_execnz .LBB6_1318
; %bb.449:                              ;   in Loop: Header=BB6_144 Depth=2
	s_or_saveexec_b32 s25, s25
	v_mov_b32_e32 v166, s24
	s_xor_b32 exec_lo, exec_lo, s25
	s_cbranch_execnz .LBB6_1321
.LBB6_450:                              ;   in Loop: Header=BB6_144 Depth=2
	s_or_b32 exec_lo, exec_lo, s25
	s_and_saveexec_b32 s24, s11
	s_cbranch_execz .LBB6_452
.LBB6_451:                              ;   in Loop: Header=BB6_144 Depth=2
	v_bfe_u32 v166, v32, 24, 2
	s_delay_alu instid0(VALU_DEP_1) | instskip(NEXT) | instid1(VALU_DEP_1)
	v_clz_i32_u32_e32 v176, v166
	v_min_u32_e32 v176, 32, v176
	s_delay_alu instid0(VALU_DEP_1) | instskip(SKIP_1) | instid1(VALU_DEP_2)
	v_subrev_nc_u32_e32 v177, 29, v176
	v_sub_nc_u32_e32 v176, 30, v176
	v_lshlrev_b32_e32 v167, v177, v167
	v_bfe_u32 v177, v32, 26, 5
	v_and_b32_e32 v32, 0x80000000, v32
	s_delay_alu instid0(VALU_DEP_2) | instskip(NEXT) | instid1(VALU_DEP_4)
	v_cmp_eq_u32_e32 vcc_lo, 0, v177
	v_dual_cndmask_b32 v176, v177, v176 :: v_dual_and_b32 v167, 3, v167
	s_delay_alu instid0(VALU_DEP_1) | instskip(NEXT) | instid1(VALU_DEP_2)
	v_cndmask_b32_e32 v166, v166, v167, vcc_lo
	v_lshl_add_u32 v167, v176, 23, 0x37800000
	s_delay_alu instid0(VALU_DEP_2) | instskip(NEXT) | instid1(VALU_DEP_1)
	v_lshlrev_b32_e32 v166, 21, v166
	v_or3_b32 v166, v32, v167, v166
.LBB6_452:                              ;   in Loop: Header=BB6_144 Depth=2
	s_or_b32 exec_lo, exec_lo, s24
	v_lshrrev_b32_e32 v32, 24, v26
	s_mov_b32 s11, 0
	s_mov_b32 s25, exec_lo
                                        ; implicit-def: $sgpr24
	s_delay_alu instid0(VALU_DEP_1)
	v_cmpx_lt_i16_e32 0x7f, v32
	s_xor_b32 s25, exec_lo, s25
	s_cbranch_execnz .LBB6_1322
; %bb.453:                              ;   in Loop: Header=BB6_144 Depth=2
	s_or_saveexec_b32 s25, s25
	v_mov_b32_e32 v167, s24
	s_xor_b32 exec_lo, exec_lo, s25
	s_cbranch_execnz .LBB6_1325
.LBB6_454:                              ;   in Loop: Header=BB6_144 Depth=2
	s_or_b32 exec_lo, exec_lo, s25
	s_and_saveexec_b32 s24, s11
	s_cbranch_execz .LBB6_456
.LBB6_455:                              ;   in Loop: Header=BB6_144 Depth=2
	v_bfe_u32 v167, v26, 24, 2
	s_delay_alu instid0(VALU_DEP_1) | instskip(NEXT) | instid1(VALU_DEP_1)
	v_clz_i32_u32_e32 v176, v167
	v_min_u32_e32 v176, 32, v176
	s_delay_alu instid0(VALU_DEP_1) | instskip(SKIP_1) | instid1(VALU_DEP_2)
	v_subrev_nc_u32_e32 v177, 29, v176
	v_sub_nc_u32_e32 v176, 30, v176
	v_lshlrev_b32_e32 v32, v177, v32
	v_bfe_u32 v177, v26, 26, 5
	v_and_b32_e32 v26, 0x80000000, v26
	s_delay_alu instid0(VALU_DEP_3) | instskip(NEXT) | instid1(VALU_DEP_3)
	v_and_b32_e32 v32, 3, v32
	v_cmp_eq_u32_e32 vcc_lo, 0, v177
	v_cndmask_b32_e32 v176, v177, v176, vcc_lo
	s_delay_alu instid0(VALU_DEP_3) | instskip(NEXT) | instid1(VALU_DEP_2)
	v_cndmask_b32_e32 v32, v167, v32, vcc_lo
	v_lshl_add_u32 v167, v176, 23, 0x37800000
	s_delay_alu instid0(VALU_DEP_2) | instskip(NEXT) | instid1(VALU_DEP_1)
	v_lshlrev_b32_e32 v32, 21, v32
	v_or3_b32 v167, v26, v167, v32
.LBB6_456:                              ;   in Loop: Header=BB6_144 Depth=2
	s_or_b32 exec_lo, exec_lo, s24
	s_delay_alu instid0(VALU_DEP_1) | instskip(NEXT) | instid1(VALU_DEP_1)
	v_mul_f32_e32 v32, v166, v167
	v_and_b32_e32 v26, 0x7f800000, v32
	s_delay_alu instid0(VALU_DEP_1)
	v_cmp_ne_u32_e32 vcc_lo, 0x7f800000, v26
	v_mov_b32_e32 v26, 0x80
	s_and_saveexec_b32 s24, vcc_lo
	s_cbranch_execz .LBB6_464
; %bb.457:                              ;   in Loop: Header=BB6_144 Depth=2
	v_mov_b32_e32 v26, 0
	s_mov_b32 s25, exec_lo
	v_cmpx_ne_u32_e32 0, v32
	s_cbranch_execz .LBB6_463
; %bb.458:                              ;   in Loop: Header=BB6_144 Depth=2
	v_bfe_u32 v26, v32, 23, 8
	s_delay_alu instid0(VALU_DEP_1) | instskip(SKIP_1) | instid1(VALU_DEP_2)
	v_sub_nc_u32_e32 v167, 0x70, v26
	v_cmp_gt_u32_e32 vcc_lo, 0x71, v26
	v_dual_cndmask_b32 v167, 0, v167 :: v_dual_and_b32 v166, 0x7fffff, v32
	s_delay_alu instid0(VALU_DEP_1) | instskip(SKIP_2) | instid1(VALU_DEP_4)
	v_or_b32_e32 v176, 0x800000, v166
	v_cmp_eq_u32_e32 vcc_lo, 0, v26
	v_add_nc_u32_e32 v26, 0xffffff91, v26
	v_cndmask_b32_e64 v167, v167, 0x6f, vcc_lo
	s_delay_alu instid0(VALU_DEP_4) | instskip(NEXT) | instid1(VALU_DEP_3)
	v_cndmask_b32_e32 v166, v176, v166, vcc_lo
	v_cndmask_b32_e64 v26, v26, 0xffffff92, vcc_lo
	s_delay_alu instid0(VALU_DEP_3) | instskip(NEXT) | instid1(VALU_DEP_3)
	v_lshl_add_u32 v176, 0x200000, v167, -1
	v_lshrrev_b32_e32 v177, v167, v166
	v_lshlrev_b32_e64 v179, v167, 0x100000
	s_delay_alu instid0(VALU_DEP_4) | instskip(NEXT) | instid1(VALU_DEP_4)
	v_add_nc_u32_e32 v167, v167, v26
	v_and_b32_e32 v166, v176, v166
	s_delay_alu instid0(VALU_DEP_4) | instskip(NEXT) | instid1(VALU_DEP_2)
	v_bfe_u32 v178, v177, 21, 1
	v_cmp_eq_u32_e64 s11, v166, v179
	s_delay_alu instid0(VALU_DEP_2) | instskip(NEXT) | instid1(VALU_DEP_1)
	v_add_nc_u32_e32 v176, -1, v178
	v_cndmask_b32_e64 v166, 0, v176, s11
	v_lshrrev_b32_e32 v176, 23, v177
	s_mov_b32 s11, exec_lo
	s_delay_alu instid0(VALU_DEP_2) | instskip(NEXT) | instid1(VALU_DEP_2)
	v_add_nc_u32_e32 v166, v166, v177
	v_xor_b32_e32 v176, 1, v176
	s_delay_alu instid0(VALU_DEP_2) | instskip(NEXT) | instid1(VALU_DEP_1)
	v_and_b32_e32 v26, 0x1fffff, v166
	v_add_nc_u32_e32 v166, v26, v177
                                        ; implicit-def: $vgpr26
	s_delay_alu instid0(VALU_DEP_3)
	v_cmpx_ne_u32_e64 v167, v176
	s_xor_b32 s11, exec_lo, s11
; %bb.459:                              ;   in Loop: Header=BB6_144 Depth=2
	s_delay_alu instid0(VALU_DEP_2) | instskip(SKIP_2) | instid1(VALU_DEP_2)
	v_cmp_lt_u32_e32 vcc_lo, 0xffffff, v166
	v_sub_nc_u32_e32 v26, v167, v176
	v_cndmask_b32_e64 v167, 0, 1, vcc_lo
	v_add_co_ci_u32_e32 v26, vcc_lo, 0, v26, vcc_lo
	s_delay_alu instid0(VALU_DEP_2)
	v_lshrrev_b32_e32 v166, v167, v166
; %bb.460:                              ;   in Loop: Header=BB6_144 Depth=2
	s_and_not1_saveexec_b32 s11, s11
; %bb.461:                              ;   in Loop: Header=BB6_144 Depth=2
	s_delay_alu instid0(VALU_DEP_1)
	v_bfe_u32 v26, v166, 23, 1
; %bb.462:                              ;   in Loop: Header=BB6_144 Depth=2
	s_or_b32 exec_lo, exec_lo, s11
	v_lshrrev_b32_e32 v166, 21, v166
	s_delay_alu instid0(VALU_DEP_2) | instskip(SKIP_2) | instid1(VALU_DEP_4)
	v_cmp_gt_i32_e32 vcc_lo, 32, v26
	v_lshrrev_b32_e32 v32, 24, v32
	v_min_i32_e32 v167, 31, v26
	v_cndmask_b32_e32 v166, 3, v166, vcc_lo
	s_delay_alu instid0(VALU_DEP_3) | instskip(NEXT) | instid1(VALU_DEP_3)
	v_and_b32_e32 v32, 0x80, v32
	v_lshlrev_b32_e32 v167, 2, v167
	s_delay_alu instid0(VALU_DEP_3) | instskip(SKIP_1) | instid1(VALU_DEP_2)
	v_and_b32_e32 v176, 3, v166
	v_or_b32_e32 v26, v26, v166
	v_or3_b32 v32, v167, v32, v176
	s_delay_alu instid0(VALU_DEP_2) | instskip(NEXT) | instid1(VALU_DEP_2)
	v_cmp_ne_u32_e32 vcc_lo, 0, v26
	v_cndmask_b32_e32 v26, 0, v32, vcc_lo
.LBB6_463:                              ;   in Loop: Header=BB6_144 Depth=2
	s_or_b32 exec_lo, exec_lo, s25
.LBB6_464:                              ;   in Loop: Header=BB6_144 Depth=2
	s_delay_alu instid0(SALU_CYCLE_1) | instskip(SKIP_3) | instid1(VALU_DEP_1)
	s_or_b32 exec_lo, exec_lo, s24
	v_and_b32_e32 v166, 0xff, v33
	s_mov_b32 s11, 0
	s_mov_b32 s25, exec_lo
                                        ; implicit-def: $sgpr24
	v_cmpx_lt_i16_e64 0x7f, v166
	s_xor_b32 s25, exec_lo, s25
	s_cbranch_execnz .LBB6_1326
; %bb.465:                              ;   in Loop: Header=BB6_144 Depth=2
	s_or_saveexec_b32 s25, s25
	v_mov_b32_e32 v32, s24
	s_xor_b32 exec_lo, exec_lo, s25
	s_cbranch_execnz .LBB6_1329
.LBB6_466:                              ;   in Loop: Header=BB6_144 Depth=2
	s_or_b32 exec_lo, exec_lo, s25
	s_and_saveexec_b32 s24, s11
	s_cbranch_execz .LBB6_468
.LBB6_467:                              ;   in Loop: Header=BB6_144 Depth=2
	v_and_b32_e32 v32, 3, v33
	v_bfe_u32 v176, v33, 2, 5
	s_delay_alu instid0(VALU_DEP_2) | instskip(NEXT) | instid1(VALU_DEP_2)
	v_clz_i32_u32_e32 v166, v32
	v_cmp_eq_u32_e32 vcc_lo, 0, v176
	s_delay_alu instid0(VALU_DEP_2) | instskip(NEXT) | instid1(VALU_DEP_1)
	v_min_u32_e32 v166, 32, v166
	v_subrev_nc_u32_e32 v167, 29, v166
	v_sub_nc_u32_e32 v166, 30, v166
	s_delay_alu instid0(VALU_DEP_1) | instskip(NEXT) | instid1(VALU_DEP_1)
	v_dual_cndmask_b32 v166, v176, v166 :: v_dual_lshlrev_b32 v167, v167, v33
	v_and_b32_e32 v167, 3, v167
	v_lshlrev_b32_e32 v177, 24, v33
	s_delay_alu instid0(VALU_DEP_3) | instskip(NEXT) | instid1(VALU_DEP_2)
	v_lshl_add_u32 v166, v166, 23, 0x37800000
	v_dual_cndmask_b32 v32, v32, v167 :: v_dual_and_b32 v167, 0x80000000, v177
	s_delay_alu instid0(VALU_DEP_1) | instskip(NEXT) | instid1(VALU_DEP_1)
	v_lshlrev_b32_e32 v32, 21, v32
	v_or3_b32 v32, v167, v166, v32
.LBB6_468:                              ;   in Loop: Header=BB6_144 Depth=2
	s_or_b32 exec_lo, exec_lo, s24
	v_and_b32_e32 v167, 0xff, v27
	s_mov_b32 s11, 0
	s_mov_b32 s25, exec_lo
                                        ; implicit-def: $sgpr24
	s_delay_alu instid0(VALU_DEP_1)
	v_cmpx_lt_i16_e64 0x7f, v167
	s_xor_b32 s25, exec_lo, s25
	s_cbranch_execnz .LBB6_1330
; %bb.469:                              ;   in Loop: Header=BB6_144 Depth=2
	s_or_saveexec_b32 s25, s25
	v_mov_b32_e32 v166, s24
	s_xor_b32 exec_lo, exec_lo, s25
	s_cbranch_execnz .LBB6_1333
.LBB6_470:                              ;   in Loop: Header=BB6_144 Depth=2
	s_or_b32 exec_lo, exec_lo, s25
	s_and_saveexec_b32 s24, s11
	s_cbranch_execz .LBB6_472
.LBB6_471:                              ;   in Loop: Header=BB6_144 Depth=2
	v_and_b32_e32 v166, 3, v27
	v_bfe_u32 v177, v27, 2, 5
	v_lshlrev_b32_e32 v178, 24, v27
	s_delay_alu instid0(VALU_DEP_3) | instskip(NEXT) | instid1(VALU_DEP_3)
	v_clz_i32_u32_e32 v167, v166
	v_cmp_eq_u32_e32 vcc_lo, 0, v177
	s_delay_alu instid0(VALU_DEP_2) | instskip(NEXT) | instid1(VALU_DEP_1)
	v_min_u32_e32 v167, 32, v167
	v_subrev_nc_u32_e32 v176, 29, v167
	v_sub_nc_u32_e32 v167, 30, v167
	s_delay_alu instid0(VALU_DEP_2) | instskip(NEXT) | instid1(VALU_DEP_1)
	v_lshlrev_b32_e32 v176, v176, v27
	v_dual_cndmask_b32 v167, v177, v167 :: v_dual_and_b32 v176, 3, v176
	s_delay_alu instid0(VALU_DEP_1) | instskip(NEXT) | instid1(VALU_DEP_2)
	v_lshl_add_u32 v167, v167, 23, 0x37800000
	v_cndmask_b32_e32 v166, v166, v176, vcc_lo
	v_and_b32_e32 v176, 0x80000000, v178
	s_delay_alu instid0(VALU_DEP_2) | instskip(NEXT) | instid1(VALU_DEP_1)
	v_lshlrev_b32_e32 v166, 21, v166
	v_or3_b32 v166, v176, v167, v166
.LBB6_472:                              ;   in Loop: Header=BB6_144 Depth=2
	s_or_b32 exec_lo, exec_lo, s24
	s_delay_alu instid0(VALU_DEP_1) | instskip(NEXT) | instid1(VALU_DEP_1)
	v_mul_f32_e32 v166, v32, v166
	v_and_b32_e32 v32, 0x7f800000, v166
	s_delay_alu instid0(VALU_DEP_1)
	v_cmp_ne_u32_e32 vcc_lo, 0x7f800000, v32
	v_mov_b32_e32 v32, 0x80
	s_and_saveexec_b32 s24, vcc_lo
	s_cbranch_execz .LBB6_480
; %bb.473:                              ;   in Loop: Header=BB6_144 Depth=2
	v_mov_b32_e32 v32, 0
	s_mov_b32 s25, exec_lo
	v_cmpx_ne_u32_e32 0, v166
	s_cbranch_execz .LBB6_479
; %bb.474:                              ;   in Loop: Header=BB6_144 Depth=2
	v_bfe_u32 v32, v166, 23, 8
	s_delay_alu instid0(VALU_DEP_1) | instskip(SKIP_1) | instid1(VALU_DEP_2)
	v_sub_nc_u32_e32 v176, 0x70, v32
	v_cmp_gt_u32_e32 vcc_lo, 0x71, v32
	v_dual_cndmask_b32 v176, 0, v176 :: v_dual_and_b32 v167, 0x7fffff, v166
	s_delay_alu instid0(VALU_DEP_1) | instskip(SKIP_2) | instid1(VALU_DEP_4)
	v_or_b32_e32 v177, 0x800000, v167
	v_cmp_eq_u32_e32 vcc_lo, 0, v32
	v_add_nc_u32_e32 v32, 0xffffff91, v32
	v_cndmask_b32_e64 v176, v176, 0x6f, vcc_lo
	s_delay_alu instid0(VALU_DEP_4) | instskip(NEXT) | instid1(VALU_DEP_3)
	v_cndmask_b32_e32 v167, v177, v167, vcc_lo
	v_cndmask_b32_e64 v32, v32, 0xffffff92, vcc_lo
	s_delay_alu instid0(VALU_DEP_3) | instskip(NEXT) | instid1(VALU_DEP_3)
	v_lshl_add_u32 v177, 0x200000, v176, -1
	v_lshrrev_b32_e32 v178, v176, v167
	v_lshlrev_b32_e64 v180, v176, 0x100000
	s_delay_alu instid0(VALU_DEP_4) | instskip(NEXT) | instid1(VALU_DEP_4)
	v_add_nc_u32_e32 v176, v176, v32
	v_and_b32_e32 v167, v177, v167
	s_delay_alu instid0(VALU_DEP_4) | instskip(NEXT) | instid1(VALU_DEP_2)
	v_bfe_u32 v179, v178, 21, 1
	v_cmp_eq_u32_e64 s11, v167, v180
	s_delay_alu instid0(VALU_DEP_2) | instskip(NEXT) | instid1(VALU_DEP_1)
	v_add_nc_u32_e32 v177, -1, v179
	v_cndmask_b32_e64 v167, 0, v177, s11
	v_lshrrev_b32_e32 v177, 23, v178
	s_mov_b32 s11, exec_lo
	s_delay_alu instid0(VALU_DEP_2) | instskip(NEXT) | instid1(VALU_DEP_2)
	v_add_nc_u32_e32 v167, v167, v178
	v_xor_b32_e32 v177, 1, v177
	s_delay_alu instid0(VALU_DEP_2) | instskip(NEXT) | instid1(VALU_DEP_1)
	v_and_b32_e32 v32, 0x1fffff, v167
	v_add_nc_u32_e32 v167, v32, v178
                                        ; implicit-def: $vgpr32
	s_delay_alu instid0(VALU_DEP_3)
	v_cmpx_ne_u32_e64 v176, v177
	s_xor_b32 s11, exec_lo, s11
; %bb.475:                              ;   in Loop: Header=BB6_144 Depth=2
	s_delay_alu instid0(VALU_DEP_2) | instskip(SKIP_2) | instid1(VALU_DEP_2)
	v_cmp_lt_u32_e32 vcc_lo, 0xffffff, v167
	v_sub_nc_u32_e32 v32, v176, v177
	v_cndmask_b32_e64 v176, 0, 1, vcc_lo
	v_add_co_ci_u32_e32 v32, vcc_lo, 0, v32, vcc_lo
	s_delay_alu instid0(VALU_DEP_2)
	v_lshrrev_b32_e32 v167, v176, v167
; %bb.476:                              ;   in Loop: Header=BB6_144 Depth=2
	s_and_not1_saveexec_b32 s11, s11
; %bb.477:                              ;   in Loop: Header=BB6_144 Depth=2
	s_delay_alu instid0(VALU_DEP_1)
	v_bfe_u32 v32, v167, 23, 1
; %bb.478:                              ;   in Loop: Header=BB6_144 Depth=2
	s_or_b32 exec_lo, exec_lo, s11
	v_lshrrev_b32_e32 v167, 21, v167
	s_delay_alu instid0(VALU_DEP_2) | instskip(SKIP_2) | instid1(VALU_DEP_2)
	v_cmp_gt_i32_e32 vcc_lo, 32, v32
	v_lshrrev_b32_e32 v166, 24, v166
	v_min_i32_e32 v176, 31, v32
	v_dual_cndmask_b32 v167, 3, v167 :: v_dual_and_b32 v166, 0x80, v166
	s_delay_alu instid0(VALU_DEP_2) | instskip(NEXT) | instid1(VALU_DEP_2)
	v_lshlrev_b32_e32 v176, 2, v176
	v_or_b32_e32 v32, v32, v167
	s_delay_alu instid0(VALU_DEP_1) | instskip(SKIP_1) | instid1(VALU_DEP_1)
	v_cmp_ne_u32_e32 vcc_lo, 0, v32
	v_and_b32_e32 v177, 3, v167
	v_or3_b32 v166, v176, v166, v177
	s_delay_alu instid0(VALU_DEP_1)
	v_cndmask_b32_e32 v32, 0, v166, vcc_lo
.LBB6_479:                              ;   in Loop: Header=BB6_144 Depth=2
	s_or_b32 exec_lo, exec_lo, s25
.LBB6_480:                              ;   in Loop: Header=BB6_144 Depth=2
	s_delay_alu instid0(SALU_CYCLE_1) | instskip(SKIP_3) | instid1(VALU_DEP_1)
	s_or_b32 exec_lo, exec_lo, s24
	v_lshrrev_b16 v167, 8, v33
	s_mov_b32 s11, 0
	s_mov_b32 s25, exec_lo
                                        ; implicit-def: $sgpr24
	v_cmpx_lt_i16_e64 0x7f, v167
	s_xor_b32 s25, exec_lo, s25
	s_cbranch_execnz .LBB6_1334
; %bb.481:                              ;   in Loop: Header=BB6_144 Depth=2
	s_or_saveexec_b32 s25, s25
	v_mov_b32_e32 v166, s24
	s_xor_b32 exec_lo, exec_lo, s25
	s_cbranch_execnz .LBB6_1337
.LBB6_482:                              ;   in Loop: Header=BB6_144 Depth=2
	s_or_b32 exec_lo, exec_lo, s25
	s_and_saveexec_b32 s24, s11
	s_cbranch_execz .LBB6_484
.LBB6_483:                              ;   in Loop: Header=BB6_144 Depth=2
	v_and_b32_e32 v166, 0xffff, v167
	s_delay_alu instid0(VALU_DEP_1) | instskip(NEXT) | instid1(VALU_DEP_1)
	v_and_b32_e32 v176, 3, v166
	v_clz_i32_u32_e32 v177, v176
	s_delay_alu instid0(VALU_DEP_1) | instskip(NEXT) | instid1(VALU_DEP_1)
	v_min_u32_e32 v177, 32, v177
	v_subrev_nc_u32_e32 v178, 29, v177
	v_sub_nc_u32_e32 v177, 30, v177
	s_delay_alu instid0(VALU_DEP_2) | instskip(SKIP_1) | instid1(VALU_DEP_2)
	v_lshlrev_b32_e32 v178, v178, v166
	v_bfe_u32 v166, v166, 2, 5
	v_and_b32_e32 v178, 3, v178
	s_delay_alu instid0(VALU_DEP_2) | instskip(SKIP_1) | instid1(VALU_DEP_1)
	v_cmp_eq_u32_e32 vcc_lo, 0, v166
	v_dual_cndmask_b32 v166, v166, v177 :: v_dual_lshlrev_b32 v167, 24, v167
	v_dual_cndmask_b32 v176, v176, v178 :: v_dual_and_b32 v167, 0x80000000, v167
	s_delay_alu instid0(VALU_DEP_2) | instskip(NEXT) | instid1(VALU_DEP_2)
	v_lshl_add_u32 v166, v166, 23, 0x37800000
	v_lshlrev_b32_e32 v176, 21, v176
	s_delay_alu instid0(VALU_DEP_1)
	v_or3_b32 v166, v167, v166, v176
.LBB6_484:                              ;   in Loop: Header=BB6_144 Depth=2
	s_or_b32 exec_lo, exec_lo, s24
	v_lshrrev_b16 v167, 8, v27
	s_mov_b32 s11, 0
	s_mov_b32 s25, exec_lo
                                        ; implicit-def: $sgpr24
	s_delay_alu instid0(VALU_DEP_1)
	v_cmpx_lt_i16_e64 0x7f, v167
	s_xor_b32 s25, exec_lo, s25
	s_cbranch_execnz .LBB6_1338
; %bb.485:                              ;   in Loop: Header=BB6_144 Depth=2
	s_or_saveexec_b32 s25, s25
	v_mov_b32_e32 v176, s24
	s_xor_b32 exec_lo, exec_lo, s25
	s_cbranch_execnz .LBB6_1341
.LBB6_486:                              ;   in Loop: Header=BB6_144 Depth=2
	s_or_b32 exec_lo, exec_lo, s25
	s_and_saveexec_b32 s24, s11
	s_cbranch_execz .LBB6_488
.LBB6_487:                              ;   in Loop: Header=BB6_144 Depth=2
	v_and_b32_e32 v176, 0xffff, v167
	v_lshlrev_b32_e32 v167, 24, v167
	s_delay_alu instid0(VALU_DEP_2) | instskip(NEXT) | instid1(VALU_DEP_2)
	v_and_b32_e32 v177, 3, v176
	v_and_b32_e32 v167, 0x80000000, v167
	s_delay_alu instid0(VALU_DEP_2) | instskip(NEXT) | instid1(VALU_DEP_1)
	v_clz_i32_u32_e32 v178, v177
	v_min_u32_e32 v178, 32, v178
	s_delay_alu instid0(VALU_DEP_1) | instskip(SKIP_1) | instid1(VALU_DEP_2)
	v_subrev_nc_u32_e32 v179, 29, v178
	v_sub_nc_u32_e32 v178, 30, v178
	v_lshlrev_b32_e32 v179, v179, v176
	v_bfe_u32 v176, v176, 2, 5
	s_delay_alu instid0(VALU_DEP_2) | instskip(NEXT) | instid1(VALU_DEP_2)
	v_and_b32_e32 v179, 3, v179
	v_cmp_eq_u32_e32 vcc_lo, 0, v176
	s_delay_alu instid0(VALU_DEP_2) | instskip(NEXT) | instid1(VALU_DEP_1)
	v_dual_cndmask_b32 v176, v176, v178 :: v_dual_cndmask_b32 v177, v177, v179
	v_lshl_add_u32 v176, v176, 23, 0x37800000
	s_delay_alu instid0(VALU_DEP_2) | instskip(NEXT) | instid1(VALU_DEP_1)
	v_lshlrev_b32_e32 v177, 21, v177
	v_or3_b32 v176, v167, v176, v177
.LBB6_488:                              ;   in Loop: Header=BB6_144 Depth=2
	s_or_b32 exec_lo, exec_lo, s24
	s_delay_alu instid0(VALU_DEP_1) | instskip(NEXT) | instid1(VALU_DEP_1)
	v_mul_f32_e32 v167, v166, v176
	v_and_b32_e32 v166, 0x7f800000, v167
	s_delay_alu instid0(VALU_DEP_1)
	v_cmp_ne_u32_e32 vcc_lo, 0x7f800000, v166
	v_mov_b32_e32 v166, 0x8000
	s_and_saveexec_b32 s24, vcc_lo
	s_cbranch_execz .LBB6_496
; %bb.489:                              ;   in Loop: Header=BB6_144 Depth=2
	v_mov_b32_e32 v166, 0
	s_mov_b32 s25, exec_lo
	v_cmpx_ne_u32_e32 0, v167
	s_cbranch_execz .LBB6_495
; %bb.490:                              ;   in Loop: Header=BB6_144 Depth=2
	v_bfe_u32 v166, v167, 23, 8
	s_delay_alu instid0(VALU_DEP_1) | instskip(SKIP_1) | instid1(VALU_DEP_2)
	v_sub_nc_u32_e32 v177, 0x70, v166
	v_cmp_gt_u32_e32 vcc_lo, 0x71, v166
	v_dual_cndmask_b32 v177, 0, v177 :: v_dual_and_b32 v176, 0x7fffff, v167
	s_delay_alu instid0(VALU_DEP_1) | instskip(SKIP_2) | instid1(VALU_DEP_4)
	v_or_b32_e32 v178, 0x800000, v176
	v_cmp_eq_u32_e32 vcc_lo, 0, v166
	v_add_nc_u32_e32 v166, 0xffffff91, v166
	v_cndmask_b32_e64 v177, v177, 0x6f, vcc_lo
	s_delay_alu instid0(VALU_DEP_2) | instskip(SKIP_1) | instid1(VALU_DEP_3)
	v_cndmask_b32_e64 v166, v166, 0xffffff92, vcc_lo
	v_cndmask_b32_e32 v176, v178, v176, vcc_lo
	v_lshl_add_u32 v178, 0x200000, v177, -1
	v_lshlrev_b32_e64 v181, v177, 0x100000
	s_delay_alu instid0(VALU_DEP_3) | instskip(SKIP_1) | instid1(VALU_DEP_4)
	v_lshrrev_b32_e32 v179, v177, v176
	v_add_nc_u32_e32 v177, v177, v166
	v_and_b32_e32 v176, v178, v176
	s_delay_alu instid0(VALU_DEP_3) | instskip(NEXT) | instid1(VALU_DEP_2)
	v_bfe_u32 v180, v179, 21, 1
	v_cmp_eq_u32_e64 s11, v176, v181
	s_delay_alu instid0(VALU_DEP_2) | instskip(NEXT) | instid1(VALU_DEP_1)
	v_add_nc_u32_e32 v178, -1, v180
	v_cndmask_b32_e64 v176, 0, v178, s11
	v_lshrrev_b32_e32 v178, 23, v179
	s_mov_b32 s11, exec_lo
	s_delay_alu instid0(VALU_DEP_2) | instskip(NEXT) | instid1(VALU_DEP_2)
	v_add_nc_u32_e32 v176, v176, v179
	v_xor_b32_e32 v178, 1, v178
	s_delay_alu instid0(VALU_DEP_2) | instskip(NEXT) | instid1(VALU_DEP_1)
	v_and_b32_e32 v166, 0x1fffff, v176
	v_add_nc_u32_e32 v176, v166, v179
                                        ; implicit-def: $vgpr166
	s_delay_alu instid0(VALU_DEP_3)
	v_cmpx_ne_u32_e64 v177, v178
	s_xor_b32 s11, exec_lo, s11
; %bb.491:                              ;   in Loop: Header=BB6_144 Depth=2
	s_delay_alu instid0(VALU_DEP_2) | instskip(SKIP_2) | instid1(VALU_DEP_2)
	v_cmp_lt_u32_e32 vcc_lo, 0xffffff, v176
	v_sub_nc_u32_e32 v166, v177, v178
	v_cndmask_b32_e64 v177, 0, 1, vcc_lo
	v_add_co_ci_u32_e32 v166, vcc_lo, 0, v166, vcc_lo
	s_delay_alu instid0(VALU_DEP_2)
	v_lshrrev_b32_e32 v176, v177, v176
; %bb.492:                              ;   in Loop: Header=BB6_144 Depth=2
	s_and_not1_saveexec_b32 s11, s11
; %bb.493:                              ;   in Loop: Header=BB6_144 Depth=2
	s_delay_alu instid0(VALU_DEP_1)
	v_bfe_u32 v166, v176, 23, 1
; %bb.494:                              ;   in Loop: Header=BB6_144 Depth=2
	s_or_b32 exec_lo, exec_lo, s11
	v_lshrrev_b32_e32 v176, 21, v176
	s_delay_alu instid0(VALU_DEP_2) | instskip(SKIP_2) | instid1(VALU_DEP_2)
	v_cmp_gt_i32_e32 vcc_lo, 32, v166
	v_min_i32_e32 v177, 31, v166
	v_lshrrev_b32_e32 v167, 24, v167
	v_dual_cndmask_b32 v176, 3, v176 :: v_dual_lshlrev_b32 v177, 2, v177
	s_delay_alu instid0(VALU_DEP_2) | instskip(NEXT) | instid1(VALU_DEP_2)
	v_and_b32_e32 v167, 0x80, v167
	v_or_b32_e32 v166, v166, v176
	v_and_b32_e32 v178, 3, v176
	s_delay_alu instid0(VALU_DEP_2) | instskip(SKIP_1) | instid1(VALU_DEP_1)
	v_cmp_ne_u32_e32 vcc_lo, 0, v166
	v_and_b32_e32 v177, 0xfc, v177
	v_or3_b32 v167, v167, v177, v178
	s_delay_alu instid0(VALU_DEP_1) | instskip(NEXT) | instid1(VALU_DEP_1)
	v_lshlrev_b32_e32 v167, 8, v167
	v_cndmask_b32_e32 v166, 0, v167, vcc_lo
.LBB6_495:                              ;   in Loop: Header=BB6_144 Depth=2
	s_or_b32 exec_lo, exec_lo, s25
.LBB6_496:                              ;   in Loop: Header=BB6_144 Depth=2
	s_delay_alu instid0(SALU_CYCLE_1) | instskip(SKIP_3) | instid1(VALU_DEP_1)
	s_or_b32 exec_lo, exec_lo, s24
	v_lshrrev_b32_e32 v176, 16, v33
	s_mov_b32 s11, 0
	s_mov_b32 s25, exec_lo
                                        ; implicit-def: $sgpr24
	v_and_b32_e32 v177, 0xff, v176
	s_delay_alu instid0(VALU_DEP_1)
	v_cmpx_lt_i16_e64 0x7f, v177
	s_xor_b32 s25, exec_lo, s25
	s_cbranch_execnz .LBB6_1342
; %bb.497:                              ;   in Loop: Header=BB6_144 Depth=2
	s_or_saveexec_b32 s25, s25
	v_mov_b32_e32 v167, s24
	s_xor_b32 exec_lo, exec_lo, s25
	s_cbranch_execnz .LBB6_1345
.LBB6_498:                              ;   in Loop: Header=BB6_144 Depth=2
	s_or_b32 exec_lo, exec_lo, s25
	s_and_saveexec_b32 s24, s11
	s_cbranch_execz .LBB6_500
.LBB6_499:                              ;   in Loop: Header=BB6_144 Depth=2
	v_bfe_u32 v167, v33, 16, 2
	v_lshlrev_b32_e32 v179, 8, v33
	s_delay_alu instid0(VALU_DEP_2) | instskip(NEXT) | instid1(VALU_DEP_1)
	v_clz_i32_u32_e32 v177, v167
	v_min_u32_e32 v177, 32, v177
	s_delay_alu instid0(VALU_DEP_1) | instskip(SKIP_1) | instid1(VALU_DEP_2)
	v_subrev_nc_u32_e32 v178, 29, v177
	v_sub_nc_u32_e32 v177, 30, v177
	v_lshlrev_b32_e32 v176, v178, v176
	v_bfe_u32 v178, v33, 18, 5
	s_delay_alu instid0(VALU_DEP_1) | instskip(NEXT) | instid1(VALU_DEP_3)
	v_cmp_eq_u32_e32 vcc_lo, 0, v178
	v_dual_cndmask_b32 v177, v178, v177 :: v_dual_and_b32 v176, 3, v176
	s_delay_alu instid0(VALU_DEP_1) | instskip(NEXT) | instid1(VALU_DEP_2)
	v_dual_cndmask_b32 v167, v167, v176 :: v_dual_and_b32 v176, 0x80000000, v179
	v_lshl_add_u32 v177, v177, 23, 0x37800000
	s_delay_alu instid0(VALU_DEP_2) | instskip(NEXT) | instid1(VALU_DEP_1)
	v_lshlrev_b32_e32 v167, 21, v167
	v_or3_b32 v167, v176, v177, v167
.LBB6_500:                              ;   in Loop: Header=BB6_144 Depth=2
	s_or_b32 exec_lo, exec_lo, s24
	v_lshrrev_b32_e32 v176, 16, v27
	s_mov_b32 s11, 0
	s_mov_b32 s25, exec_lo
                                        ; implicit-def: $sgpr24
	s_delay_alu instid0(VALU_DEP_1) | instskip(NEXT) | instid1(VALU_DEP_1)
	v_and_b32_e32 v178, 0xff, v176
	v_cmpx_lt_i16_e64 0x7f, v178
	s_xor_b32 s25, exec_lo, s25
	s_cbranch_execnz .LBB6_1346
; %bb.501:                              ;   in Loop: Header=BB6_144 Depth=2
	s_or_saveexec_b32 s25, s25
	v_mov_b32_e32 v177, s24
	s_xor_b32 exec_lo, exec_lo, s25
	s_cbranch_execnz .LBB6_1349
.LBB6_502:                              ;   in Loop: Header=BB6_144 Depth=2
	s_or_b32 exec_lo, exec_lo, s25
	s_and_saveexec_b32 s24, s11
	s_cbranch_execz .LBB6_504
.LBB6_503:                              ;   in Loop: Header=BB6_144 Depth=2
	v_bfe_u32 v177, v27, 16, 2
	v_lshlrev_b32_e32 v180, 8, v27
	s_delay_alu instid0(VALU_DEP_2) | instskip(NEXT) | instid1(VALU_DEP_1)
	v_clz_i32_u32_e32 v178, v177
	v_min_u32_e32 v178, 32, v178
	s_delay_alu instid0(VALU_DEP_1) | instskip(SKIP_1) | instid1(VALU_DEP_2)
	v_subrev_nc_u32_e32 v179, 29, v178
	v_sub_nc_u32_e32 v178, 30, v178
	v_lshlrev_b32_e32 v176, v179, v176
	v_bfe_u32 v179, v27, 18, 5
	s_delay_alu instid0(VALU_DEP_2) | instskip(NEXT) | instid1(VALU_DEP_2)
	v_and_b32_e32 v176, 3, v176
	v_cmp_eq_u32_e32 vcc_lo, 0, v179
	v_cndmask_b32_e32 v178, v179, v178, vcc_lo
	s_delay_alu instid0(VALU_DEP_3) | instskip(SKIP_1) | instid1(VALU_DEP_3)
	v_cndmask_b32_e32 v176, v177, v176, vcc_lo
	v_and_b32_e32 v177, 0x80000000, v180
	v_lshl_add_u32 v178, v178, 23, 0x37800000
	s_delay_alu instid0(VALU_DEP_3) | instskip(NEXT) | instid1(VALU_DEP_1)
	v_lshlrev_b32_e32 v176, 21, v176
	v_or3_b32 v177, v177, v178, v176
.LBB6_504:                              ;   in Loop: Header=BB6_144 Depth=2
	s_or_b32 exec_lo, exec_lo, s24
	s_delay_alu instid0(VALU_DEP_1) | instskip(NEXT) | instid1(VALU_DEP_1)
	v_mul_f32_e32 v176, v167, v177
	v_and_b32_e32 v167, 0x7f800000, v176
	s_delay_alu instid0(VALU_DEP_1)
	v_cmp_ne_u32_e32 vcc_lo, 0x7f800000, v167
	v_mov_b32_e32 v167, 0x80
	s_and_saveexec_b32 s24, vcc_lo
	s_cbranch_execz .LBB6_512
; %bb.505:                              ;   in Loop: Header=BB6_144 Depth=2
	v_mov_b32_e32 v167, 0
	s_mov_b32 s25, exec_lo
	v_cmpx_ne_u32_e32 0, v176
	s_cbranch_execz .LBB6_511
; %bb.506:                              ;   in Loop: Header=BB6_144 Depth=2
	v_bfe_u32 v167, v176, 23, 8
	s_delay_alu instid0(VALU_DEP_1) | instskip(SKIP_1) | instid1(VALU_DEP_2)
	v_sub_nc_u32_e32 v178, 0x70, v167
	v_cmp_gt_u32_e32 vcc_lo, 0x71, v167
	v_dual_cndmask_b32 v178, 0, v178 :: v_dual_and_b32 v177, 0x7fffff, v176
	s_delay_alu instid0(VALU_DEP_1) | instskip(SKIP_2) | instid1(VALU_DEP_4)
	v_or_b32_e32 v179, 0x800000, v177
	v_cmp_eq_u32_e32 vcc_lo, 0, v167
	v_add_nc_u32_e32 v167, 0xffffff91, v167
	v_cndmask_b32_e64 v178, v178, 0x6f, vcc_lo
	s_delay_alu instid0(VALU_DEP_2) | instskip(SKIP_1) | instid1(VALU_DEP_3)
	v_cndmask_b32_e64 v167, v167, 0xffffff92, vcc_lo
	v_cndmask_b32_e32 v177, v179, v177, vcc_lo
	v_lshl_add_u32 v179, 0x200000, v178, -1
	v_lshlrev_b32_e64 v182, v178, 0x100000
	s_delay_alu instid0(VALU_DEP_3) | instskip(SKIP_1) | instid1(VALU_DEP_4)
	v_lshrrev_b32_e32 v180, v178, v177
	v_add_nc_u32_e32 v178, v178, v167
	v_and_b32_e32 v177, v179, v177
	s_delay_alu instid0(VALU_DEP_3) | instskip(NEXT) | instid1(VALU_DEP_2)
	v_bfe_u32 v181, v180, 21, 1
	v_cmp_eq_u32_e64 s11, v177, v182
	s_delay_alu instid0(VALU_DEP_2) | instskip(NEXT) | instid1(VALU_DEP_1)
	v_add_nc_u32_e32 v179, -1, v181
	v_cndmask_b32_e64 v177, 0, v179, s11
	v_lshrrev_b32_e32 v179, 23, v180
	s_mov_b32 s11, exec_lo
	s_delay_alu instid0(VALU_DEP_2) | instskip(NEXT) | instid1(VALU_DEP_2)
	v_add_nc_u32_e32 v177, v177, v180
	v_xor_b32_e32 v179, 1, v179
	s_delay_alu instid0(VALU_DEP_2) | instskip(NEXT) | instid1(VALU_DEP_1)
	v_and_b32_e32 v167, 0x1fffff, v177
	v_add_nc_u32_e32 v177, v167, v180
                                        ; implicit-def: $vgpr167
	s_delay_alu instid0(VALU_DEP_3)
	v_cmpx_ne_u32_e64 v178, v179
	s_xor_b32 s11, exec_lo, s11
; %bb.507:                              ;   in Loop: Header=BB6_144 Depth=2
	s_delay_alu instid0(VALU_DEP_2) | instskip(SKIP_2) | instid1(VALU_DEP_2)
	v_cmp_lt_u32_e32 vcc_lo, 0xffffff, v177
	v_sub_nc_u32_e32 v167, v178, v179
	v_cndmask_b32_e64 v178, 0, 1, vcc_lo
	v_add_co_ci_u32_e32 v167, vcc_lo, 0, v167, vcc_lo
	s_delay_alu instid0(VALU_DEP_2)
	v_lshrrev_b32_e32 v177, v178, v177
; %bb.508:                              ;   in Loop: Header=BB6_144 Depth=2
	s_and_not1_saveexec_b32 s11, s11
; %bb.509:                              ;   in Loop: Header=BB6_144 Depth=2
	s_delay_alu instid0(VALU_DEP_1)
	v_bfe_u32 v167, v177, 23, 1
; %bb.510:                              ;   in Loop: Header=BB6_144 Depth=2
	s_or_b32 exec_lo, exec_lo, s11
	v_lshrrev_b32_e32 v177, 21, v177
	s_delay_alu instid0(VALU_DEP_2) | instskip(SKIP_2) | instid1(VALU_DEP_2)
	v_cmp_gt_i32_e32 vcc_lo, 32, v167
	v_min_i32_e32 v178, 31, v167
	v_lshrrev_b32_e32 v176, 24, v176
	v_dual_cndmask_b32 v177, 3, v177 :: v_dual_lshlrev_b32 v178, 2, v178
	s_delay_alu instid0(VALU_DEP_2) | instskip(NEXT) | instid1(VALU_DEP_2)
	v_and_b32_e32 v176, 0x80, v176
	v_or_b32_e32 v167, v167, v177
	v_and_b32_e32 v179, 3, v177
	s_delay_alu instid0(VALU_DEP_2) | instskip(SKIP_1) | instid1(VALU_DEP_1)
	v_cmp_ne_u32_e32 vcc_lo, 0, v167
	v_and_b32_e32 v178, 0xfc, v178
	v_or3_b32 v176, v178, v176, v179
	s_delay_alu instid0(VALU_DEP_1)
	v_cndmask_b32_e32 v167, 0, v176, vcc_lo
.LBB6_511:                              ;   in Loop: Header=BB6_144 Depth=2
	s_or_b32 exec_lo, exec_lo, s25
.LBB6_512:                              ;   in Loop: Header=BB6_144 Depth=2
	s_delay_alu instid0(SALU_CYCLE_1) | instskip(SKIP_3) | instid1(VALU_DEP_1)
	s_or_b32 exec_lo, exec_lo, s24
	v_lshrrev_b32_e32 v177, 24, v33
	s_mov_b32 s11, 0
	s_mov_b32 s25, exec_lo
                                        ; implicit-def: $sgpr24
	v_cmpx_lt_i16_e64 0x7f, v177
	s_xor_b32 s25, exec_lo, s25
	s_cbranch_execnz .LBB6_1350
; %bb.513:                              ;   in Loop: Header=BB6_144 Depth=2
	s_or_saveexec_b32 s25, s25
	v_mov_b32_e32 v176, s24
	s_xor_b32 exec_lo, exec_lo, s25
	s_cbranch_execnz .LBB6_1353
.LBB6_514:                              ;   in Loop: Header=BB6_144 Depth=2
	s_or_b32 exec_lo, exec_lo, s25
	s_and_saveexec_b32 s24, s11
	s_cbranch_execz .LBB6_516
.LBB6_515:                              ;   in Loop: Header=BB6_144 Depth=2
	v_bfe_u32 v176, v33, 24, 2
	s_delay_alu instid0(VALU_DEP_1) | instskip(NEXT) | instid1(VALU_DEP_1)
	v_clz_i32_u32_e32 v178, v176
	v_min_u32_e32 v178, 32, v178
	s_delay_alu instid0(VALU_DEP_1) | instskip(SKIP_1) | instid1(VALU_DEP_2)
	v_subrev_nc_u32_e32 v179, 29, v178
	v_sub_nc_u32_e32 v178, 30, v178
	v_lshlrev_b32_e32 v177, v179, v177
	v_bfe_u32 v179, v33, 26, 5
	v_and_b32_e32 v33, 0x80000000, v33
	s_delay_alu instid0(VALU_DEP_2) | instskip(NEXT) | instid1(VALU_DEP_4)
	v_cmp_eq_u32_e32 vcc_lo, 0, v179
	v_dual_cndmask_b32 v178, v179, v178 :: v_dual_and_b32 v177, 3, v177
	s_delay_alu instid0(VALU_DEP_1) | instskip(NEXT) | instid1(VALU_DEP_2)
	v_cndmask_b32_e32 v176, v176, v177, vcc_lo
	v_lshl_add_u32 v177, v178, 23, 0x37800000
	s_delay_alu instid0(VALU_DEP_2) | instskip(NEXT) | instid1(VALU_DEP_1)
	v_lshlrev_b32_e32 v176, 21, v176
	v_or3_b32 v176, v33, v177, v176
.LBB6_516:                              ;   in Loop: Header=BB6_144 Depth=2
	s_or_b32 exec_lo, exec_lo, s24
	v_lshrrev_b32_e32 v33, 24, v27
	s_mov_b32 s11, 0
	s_mov_b32 s25, exec_lo
                                        ; implicit-def: $sgpr24
	s_delay_alu instid0(VALU_DEP_1)
	v_cmpx_lt_i16_e32 0x7f, v33
	s_xor_b32 s25, exec_lo, s25
	s_cbranch_execnz .LBB6_1354
; %bb.517:                              ;   in Loop: Header=BB6_144 Depth=2
	s_or_saveexec_b32 s25, s25
	v_mov_b32_e32 v177, s24
	s_xor_b32 exec_lo, exec_lo, s25
	s_cbranch_execnz .LBB6_1357
.LBB6_518:                              ;   in Loop: Header=BB6_144 Depth=2
	s_or_b32 exec_lo, exec_lo, s25
	s_and_saveexec_b32 s24, s11
	s_cbranch_execz .LBB6_520
.LBB6_519:                              ;   in Loop: Header=BB6_144 Depth=2
	v_bfe_u32 v177, v27, 24, 2
	s_delay_alu instid0(VALU_DEP_1) | instskip(NEXT) | instid1(VALU_DEP_1)
	v_clz_i32_u32_e32 v178, v177
	v_min_u32_e32 v178, 32, v178
	s_delay_alu instid0(VALU_DEP_1) | instskip(SKIP_1) | instid1(VALU_DEP_2)
	v_subrev_nc_u32_e32 v179, 29, v178
	v_sub_nc_u32_e32 v178, 30, v178
	v_lshlrev_b32_e32 v33, v179, v33
	v_bfe_u32 v179, v27, 26, 5
	v_and_b32_e32 v27, 0x80000000, v27
	s_delay_alu instid0(VALU_DEP_2) | instskip(NEXT) | instid1(VALU_DEP_4)
	v_cmp_eq_u32_e32 vcc_lo, 0, v179
	v_dual_cndmask_b32 v178, v179, v178 :: v_dual_and_b32 v33, 3, v33
	s_delay_alu instid0(VALU_DEP_1) | instskip(NEXT) | instid1(VALU_DEP_2)
	v_cndmask_b32_e32 v33, v177, v33, vcc_lo
	v_lshl_add_u32 v177, v178, 23, 0x37800000
	s_delay_alu instid0(VALU_DEP_2) | instskip(NEXT) | instid1(VALU_DEP_1)
	v_lshlrev_b32_e32 v33, 21, v33
	v_or3_b32 v177, v27, v177, v33
.LBB6_520:                              ;   in Loop: Header=BB6_144 Depth=2
	s_or_b32 exec_lo, exec_lo, s24
	s_delay_alu instid0(VALU_DEP_1) | instskip(NEXT) | instid1(VALU_DEP_1)
	v_mul_f32_e32 v33, v176, v177
	v_and_b32_e32 v27, 0x7f800000, v33
	s_delay_alu instid0(VALU_DEP_1)
	v_cmp_ne_u32_e32 vcc_lo, 0x7f800000, v27
	v_mov_b32_e32 v27, 0x8000
	s_and_saveexec_b32 s24, vcc_lo
	s_cbranch_execz .LBB6_528
; %bb.521:                              ;   in Loop: Header=BB6_144 Depth=2
	v_mov_b32_e32 v27, 0
	s_mov_b32 s25, exec_lo
	v_cmpx_ne_u32_e32 0, v33
	s_cbranch_execz .LBB6_527
; %bb.522:                              ;   in Loop: Header=BB6_144 Depth=2
	v_bfe_u32 v27, v33, 23, 8
	v_and_b32_e32 v176, 0x7fffff, v33
	s_delay_alu instid0(VALU_DEP_2) | instskip(SKIP_1) | instid1(VALU_DEP_3)
	v_sub_nc_u32_e32 v177, 0x70, v27
	v_cmp_gt_u32_e32 vcc_lo, 0x71, v27
	v_or_b32_e32 v178, 0x800000, v176
	s_delay_alu instid0(VALU_DEP_3) | instskip(SKIP_1) | instid1(VALU_DEP_3)
	v_cndmask_b32_e32 v177, 0, v177, vcc_lo
	v_cmp_eq_u32_e32 vcc_lo, 0, v27
	v_dual_cndmask_b32 v176, v178, v176 :: v_dual_add_nc_u32 v27, 0xffffff91, v27
	s_delay_alu instid0(VALU_DEP_3) | instskip(NEXT) | instid1(VALU_DEP_2)
	v_cndmask_b32_e64 v177, v177, 0x6f, vcc_lo
	v_cndmask_b32_e64 v27, v27, 0xffffff92, vcc_lo
	s_delay_alu instid0(VALU_DEP_2) | instskip(SKIP_2) | instid1(VALU_DEP_4)
	v_lshrrev_b32_e32 v179, v177, v176
	v_lshl_add_u32 v178, 0x200000, v177, -1
	v_lshlrev_b32_e64 v181, v177, 0x100000
	v_add_nc_u32_e32 v177, v177, v27
	s_delay_alu instid0(VALU_DEP_4) | instskip(NEXT) | instid1(VALU_DEP_4)
	v_bfe_u32 v180, v179, 21, 1
	v_and_b32_e32 v176, v178, v176
	s_delay_alu instid0(VALU_DEP_2) | instskip(NEXT) | instid1(VALU_DEP_2)
	v_add_nc_u32_e32 v178, -1, v180
	v_cmp_eq_u32_e64 s11, v176, v181
	s_delay_alu instid0(VALU_DEP_1) | instskip(SKIP_2) | instid1(VALU_DEP_2)
	v_cndmask_b32_e64 v176, 0, v178, s11
	v_lshrrev_b32_e32 v178, 23, v179
	s_mov_b32 s11, exec_lo
	v_add_nc_u32_e32 v176, v176, v179
	s_delay_alu instid0(VALU_DEP_2) | instskip(NEXT) | instid1(VALU_DEP_2)
	v_xor_b32_e32 v178, 1, v178
	v_and_b32_e32 v27, 0x1fffff, v176
	s_delay_alu instid0(VALU_DEP_1) | instskip(NEXT) | instid1(VALU_DEP_3)
	v_add_nc_u32_e32 v176, v27, v179
                                        ; implicit-def: $vgpr27
	v_cmpx_ne_u32_e64 v177, v178
	s_xor_b32 s11, exec_lo, s11
; %bb.523:                              ;   in Loop: Header=BB6_144 Depth=2
	s_delay_alu instid0(VALU_DEP_2) | instskip(SKIP_2) | instid1(VALU_DEP_2)
	v_cmp_lt_u32_e32 vcc_lo, 0xffffff, v176
	v_sub_nc_u32_e32 v27, v177, v178
	v_cndmask_b32_e64 v177, 0, 1, vcc_lo
	v_add_co_ci_u32_e32 v27, vcc_lo, 0, v27, vcc_lo
	s_delay_alu instid0(VALU_DEP_2)
	v_lshrrev_b32_e32 v176, v177, v176
; %bb.524:                              ;   in Loop: Header=BB6_144 Depth=2
	s_and_not1_saveexec_b32 s11, s11
; %bb.525:                              ;   in Loop: Header=BB6_144 Depth=2
	s_delay_alu instid0(VALU_DEP_1)
	v_bfe_u32 v27, v176, 23, 1
; %bb.526:                              ;   in Loop: Header=BB6_144 Depth=2
	s_or_b32 exec_lo, exec_lo, s11
	v_lshrrev_b32_e32 v176, 21, v176
	s_delay_alu instid0(VALU_DEP_2) | instskip(SKIP_2) | instid1(VALU_DEP_2)
	v_cmp_gt_i32_e32 vcc_lo, 32, v27
	v_min_i32_e32 v177, 31, v27
	v_lshrrev_b32_e32 v33, 24, v33
	v_dual_cndmask_b32 v176, 3, v176 :: v_dual_lshlrev_b32 v177, 2, v177
	s_delay_alu instid0(VALU_DEP_2) | instskip(NEXT) | instid1(VALU_DEP_2)
	v_and_b32_e32 v33, 0x80, v33
	v_or_b32_e32 v27, v27, v176
	s_delay_alu instid0(VALU_DEP_3) | instskip(NEXT) | instid1(VALU_DEP_2)
	v_and_b32_e32 v177, 0xfc, v177
	v_cmp_ne_u32_e32 vcc_lo, 0, v27
	v_and_b32_e32 v178, 3, v176
	s_delay_alu instid0(VALU_DEP_1) | instskip(NEXT) | instid1(VALU_DEP_1)
	v_or3_b32 v33, v33, v177, v178
	v_lshlrev_b32_e32 v33, 8, v33
	s_delay_alu instid0(VALU_DEP_1)
	v_cndmask_b32_e32 v27, 0, v33, vcc_lo
.LBB6_527:                              ;   in Loop: Header=BB6_144 Depth=2
	s_or_b32 exec_lo, exec_lo, s25
.LBB6_528:                              ;   in Loop: Header=BB6_144 Depth=2
	s_delay_alu instid0(SALU_CYCLE_1) | instskip(SKIP_3) | instid1(VALU_DEP_1)
	s_or_b32 exec_lo, exec_lo, s24
	v_and_b32_e32 v176, 0xff, v34
	s_mov_b32 s11, 0
	s_mov_b32 s25, exec_lo
                                        ; implicit-def: $sgpr24
	v_cmpx_lt_i16_e64 0x7f, v176
	s_xor_b32 s25, exec_lo, s25
	s_cbranch_execnz .LBB6_1358
; %bb.529:                              ;   in Loop: Header=BB6_144 Depth=2
	s_or_saveexec_b32 s25, s25
	v_mov_b32_e32 v33, s24
	s_xor_b32 exec_lo, exec_lo, s25
	s_cbranch_execnz .LBB6_1361
.LBB6_530:                              ;   in Loop: Header=BB6_144 Depth=2
	s_or_b32 exec_lo, exec_lo, s25
	s_and_saveexec_b32 s24, s11
	s_cbranch_execz .LBB6_532
.LBB6_531:                              ;   in Loop: Header=BB6_144 Depth=2
	v_bfe_u32 v178, v34, 2, 5
	v_lshlrev_b32_e32 v179, 24, v34
	s_delay_alu instid0(VALU_DEP_2) | instskip(SKIP_1) | instid1(VALU_DEP_1)
	v_cmp_eq_u32_e32 vcc_lo, 0, v178
	v_and_b32_e32 v33, 3, v34
	v_clz_i32_u32_e32 v176, v33
	s_delay_alu instid0(VALU_DEP_1) | instskip(NEXT) | instid1(VALU_DEP_1)
	v_min_u32_e32 v176, 32, v176
	v_subrev_nc_u32_e32 v177, 29, v176
	v_sub_nc_u32_e32 v176, 30, v176
	s_delay_alu instid0(VALU_DEP_1) | instskip(NEXT) | instid1(VALU_DEP_1)
	v_dual_cndmask_b32 v176, v178, v176 :: v_dual_lshlrev_b32 v177, v177, v34
	v_and_b32_e32 v177, 3, v177
	s_delay_alu instid0(VALU_DEP_2) | instskip(NEXT) | instid1(VALU_DEP_2)
	v_lshl_add_u32 v176, v176, 23, 0x37800000
	v_cndmask_b32_e32 v33, v33, v177, vcc_lo
	v_and_b32_e32 v177, 0x80000000, v179
	s_delay_alu instid0(VALU_DEP_2) | instskip(NEXT) | instid1(VALU_DEP_1)
	v_lshlrev_b32_e32 v33, 21, v33
	v_or3_b32 v33, v177, v176, v33
.LBB6_532:                              ;   in Loop: Header=BB6_144 Depth=2
	s_or_b32 exec_lo, exec_lo, s24
	v_and_b32_e32 v177, 0xff, v28
	s_mov_b32 s11, 0
	s_mov_b32 s25, exec_lo
                                        ; implicit-def: $sgpr24
	s_delay_alu instid0(VALU_DEP_1)
	v_cmpx_lt_i16_e64 0x7f, v177
	s_xor_b32 s25, exec_lo, s25
	s_cbranch_execnz .LBB6_1362
; %bb.533:                              ;   in Loop: Header=BB6_144 Depth=2
	s_or_saveexec_b32 s25, s25
	v_mov_b32_e32 v176, s24
	s_xor_b32 exec_lo, exec_lo, s25
	s_cbranch_execnz .LBB6_1365
.LBB6_534:                              ;   in Loop: Header=BB6_144 Depth=2
	s_or_b32 exec_lo, exec_lo, s25
	s_and_saveexec_b32 s24, s11
	s_cbranch_execz .LBB6_536
.LBB6_535:                              ;   in Loop: Header=BB6_144 Depth=2
	v_bfe_u32 v179, v28, 2, 5
	v_lshlrev_b32_e32 v180, 24, v28
	s_delay_alu instid0(VALU_DEP_2) | instskip(SKIP_1) | instid1(VALU_DEP_1)
	v_cmp_eq_u32_e32 vcc_lo, 0, v179
	v_and_b32_e32 v176, 3, v28
	v_clz_i32_u32_e32 v177, v176
	s_delay_alu instid0(VALU_DEP_1) | instskip(NEXT) | instid1(VALU_DEP_1)
	v_min_u32_e32 v177, 32, v177
	v_subrev_nc_u32_e32 v178, 29, v177
	v_sub_nc_u32_e32 v177, 30, v177
	s_delay_alu instid0(VALU_DEP_1) | instskip(NEXT) | instid1(VALU_DEP_1)
	v_dual_cndmask_b32 v177, v179, v177 :: v_dual_lshlrev_b32 v178, v178, v28
	v_and_b32_e32 v178, 3, v178
	s_delay_alu instid0(VALU_DEP_2) | instskip(NEXT) | instid1(VALU_DEP_2)
	v_lshl_add_u32 v177, v177, 23, 0x37800000
	v_cndmask_b32_e32 v176, v176, v178, vcc_lo
	v_and_b32_e32 v178, 0x80000000, v180
	s_delay_alu instid0(VALU_DEP_2) | instskip(NEXT) | instid1(VALU_DEP_1)
	v_lshlrev_b32_e32 v176, 21, v176
	v_or3_b32 v176, v178, v177, v176
.LBB6_536:                              ;   in Loop: Header=BB6_144 Depth=2
	s_or_b32 exec_lo, exec_lo, s24
	s_delay_alu instid0(VALU_DEP_1) | instskip(NEXT) | instid1(VALU_DEP_1)
	v_mul_f32_e32 v176, v33, v176
	v_and_b32_e32 v33, 0x7f800000, v176
	s_delay_alu instid0(VALU_DEP_1)
	v_cmp_ne_u32_e32 vcc_lo, 0x7f800000, v33
	v_mov_b32_e32 v33, 0x80
	s_and_saveexec_b32 s24, vcc_lo
	s_cbranch_execz .LBB6_544
; %bb.537:                              ;   in Loop: Header=BB6_144 Depth=2
	v_mov_b32_e32 v33, 0
	s_mov_b32 s25, exec_lo
	v_cmpx_ne_u32_e32 0, v176
	s_cbranch_execz .LBB6_543
; %bb.538:                              ;   in Loop: Header=BB6_144 Depth=2
	v_bfe_u32 v33, v176, 23, 8
	s_delay_alu instid0(VALU_DEP_1) | instskip(SKIP_1) | instid1(VALU_DEP_2)
	v_sub_nc_u32_e32 v178, 0x70, v33
	v_cmp_gt_u32_e32 vcc_lo, 0x71, v33
	v_dual_cndmask_b32 v178, 0, v178 :: v_dual_and_b32 v177, 0x7fffff, v176
	s_delay_alu instid0(VALU_DEP_1) | instskip(SKIP_2) | instid1(VALU_DEP_4)
	v_or_b32_e32 v179, 0x800000, v177
	v_cmp_eq_u32_e32 vcc_lo, 0, v33
	v_add_nc_u32_e32 v33, 0xffffff91, v33
	v_cndmask_b32_e64 v178, v178, 0x6f, vcc_lo
	s_delay_alu instid0(VALU_DEP_4) | instskip(NEXT) | instid1(VALU_DEP_3)
	v_cndmask_b32_e32 v177, v179, v177, vcc_lo
	v_cndmask_b32_e64 v33, v33, 0xffffff92, vcc_lo
	s_delay_alu instid0(VALU_DEP_3) | instskip(NEXT) | instid1(VALU_DEP_3)
	v_lshl_add_u32 v179, 0x200000, v178, -1
	v_lshrrev_b32_e32 v180, v178, v177
	v_lshlrev_b32_e64 v182, v178, 0x100000
	s_delay_alu instid0(VALU_DEP_4) | instskip(NEXT) | instid1(VALU_DEP_4)
	v_add_nc_u32_e32 v178, v178, v33
	v_and_b32_e32 v177, v179, v177
	s_delay_alu instid0(VALU_DEP_4) | instskip(NEXT) | instid1(VALU_DEP_2)
	v_bfe_u32 v181, v180, 21, 1
	v_cmp_eq_u32_e64 s11, v177, v182
	s_delay_alu instid0(VALU_DEP_2) | instskip(NEXT) | instid1(VALU_DEP_1)
	v_add_nc_u32_e32 v179, -1, v181
	v_cndmask_b32_e64 v177, 0, v179, s11
	v_lshrrev_b32_e32 v179, 23, v180
	s_mov_b32 s11, exec_lo
	s_delay_alu instid0(VALU_DEP_2) | instskip(NEXT) | instid1(VALU_DEP_2)
	v_add_nc_u32_e32 v177, v177, v180
	v_xor_b32_e32 v179, 1, v179
	s_delay_alu instid0(VALU_DEP_2) | instskip(NEXT) | instid1(VALU_DEP_1)
	v_and_b32_e32 v33, 0x1fffff, v177
	v_add_nc_u32_e32 v177, v33, v180
                                        ; implicit-def: $vgpr33
	s_delay_alu instid0(VALU_DEP_3)
	v_cmpx_ne_u32_e64 v178, v179
	s_xor_b32 s11, exec_lo, s11
; %bb.539:                              ;   in Loop: Header=BB6_144 Depth=2
	s_delay_alu instid0(VALU_DEP_2) | instskip(SKIP_2) | instid1(VALU_DEP_2)
	v_cmp_lt_u32_e32 vcc_lo, 0xffffff, v177
	v_sub_nc_u32_e32 v33, v178, v179
	v_cndmask_b32_e64 v178, 0, 1, vcc_lo
	v_add_co_ci_u32_e32 v33, vcc_lo, 0, v33, vcc_lo
	s_delay_alu instid0(VALU_DEP_2)
	v_lshrrev_b32_e32 v177, v178, v177
; %bb.540:                              ;   in Loop: Header=BB6_144 Depth=2
	s_and_not1_saveexec_b32 s11, s11
; %bb.541:                              ;   in Loop: Header=BB6_144 Depth=2
	s_delay_alu instid0(VALU_DEP_1)
	v_bfe_u32 v33, v177, 23, 1
; %bb.542:                              ;   in Loop: Header=BB6_144 Depth=2
	s_or_b32 exec_lo, exec_lo, s11
	v_lshrrev_b32_e32 v177, 21, v177
	s_delay_alu instid0(VALU_DEP_2) | instskip(SKIP_2) | instid1(VALU_DEP_2)
	v_cmp_gt_i32_e32 vcc_lo, 32, v33
	v_lshrrev_b32_e32 v176, 24, v176
	v_min_i32_e32 v178, 31, v33
	v_dual_cndmask_b32 v177, 3, v177 :: v_dual_and_b32 v176, 0x80, v176
	s_delay_alu instid0(VALU_DEP_1) | instskip(SKIP_1) | instid1(VALU_DEP_2)
	v_or_b32_e32 v33, v33, v177
	v_and_b32_e32 v179, 3, v177
	v_cmp_ne_u32_e32 vcc_lo, 0, v33
	v_lshlrev_b32_e32 v178, 2, v178
	s_delay_alu instid0(VALU_DEP_1) | instskip(NEXT) | instid1(VALU_DEP_1)
	v_or3_b32 v176, v178, v176, v179
	v_cndmask_b32_e32 v33, 0, v176, vcc_lo
.LBB6_543:                              ;   in Loop: Header=BB6_144 Depth=2
	s_or_b32 exec_lo, exec_lo, s25
.LBB6_544:                              ;   in Loop: Header=BB6_144 Depth=2
	s_delay_alu instid0(SALU_CYCLE_1) | instskip(SKIP_3) | instid1(VALU_DEP_1)
	s_or_b32 exec_lo, exec_lo, s24
	v_lshrrev_b16 v177, 8, v34
	s_mov_b32 s11, 0
	s_mov_b32 s25, exec_lo
                                        ; implicit-def: $sgpr24
	v_cmpx_lt_i16_e64 0x7f, v177
	s_xor_b32 s25, exec_lo, s25
	s_cbranch_execnz .LBB6_1366
; %bb.545:                              ;   in Loop: Header=BB6_144 Depth=2
	s_or_saveexec_b32 s25, s25
	v_mov_b32_e32 v176, s24
	s_xor_b32 exec_lo, exec_lo, s25
	s_cbranch_execnz .LBB6_1369
.LBB6_546:                              ;   in Loop: Header=BB6_144 Depth=2
	s_or_b32 exec_lo, exec_lo, s25
	s_and_saveexec_b32 s24, s11
	s_cbranch_execz .LBB6_548
.LBB6_547:                              ;   in Loop: Header=BB6_144 Depth=2
	v_and_b32_e32 v176, 0xffff, v177
	s_delay_alu instid0(VALU_DEP_1) | instskip(NEXT) | instid1(VALU_DEP_1)
	v_and_b32_e32 v178, 3, v176
	v_clz_i32_u32_e32 v179, v178
	s_delay_alu instid0(VALU_DEP_1) | instskip(NEXT) | instid1(VALU_DEP_1)
	v_min_u32_e32 v179, 32, v179
	v_subrev_nc_u32_e32 v180, 29, v179
	v_sub_nc_u32_e32 v179, 30, v179
	s_delay_alu instid0(VALU_DEP_2) | instskip(SKIP_1) | instid1(VALU_DEP_2)
	v_lshlrev_b32_e32 v180, v180, v176
	v_bfe_u32 v176, v176, 2, 5
	v_and_b32_e32 v180, 3, v180
	s_delay_alu instid0(VALU_DEP_2) | instskip(SKIP_1) | instid1(VALU_DEP_1)
	v_cmp_eq_u32_e32 vcc_lo, 0, v176
	v_dual_cndmask_b32 v176, v176, v179 :: v_dual_lshlrev_b32 v177, 24, v177
	v_dual_cndmask_b32 v178, v178, v180 :: v_dual_and_b32 v177, 0x80000000, v177
	s_delay_alu instid0(VALU_DEP_2) | instskip(NEXT) | instid1(VALU_DEP_2)
	v_lshl_add_u32 v176, v176, 23, 0x37800000
	v_lshlrev_b32_e32 v178, 21, v178
	s_delay_alu instid0(VALU_DEP_1)
	v_or3_b32 v176, v177, v176, v178
.LBB6_548:                              ;   in Loop: Header=BB6_144 Depth=2
	s_or_b32 exec_lo, exec_lo, s24
	v_lshrrev_b16 v177, 8, v28
	s_mov_b32 s11, 0
	s_mov_b32 s25, exec_lo
                                        ; implicit-def: $sgpr24
	s_delay_alu instid0(VALU_DEP_1)
	v_cmpx_lt_i16_e64 0x7f, v177
	s_xor_b32 s25, exec_lo, s25
	s_cbranch_execnz .LBB6_1370
; %bb.549:                              ;   in Loop: Header=BB6_144 Depth=2
	s_or_saveexec_b32 s25, s25
	v_mov_b32_e32 v178, s24
	s_xor_b32 exec_lo, exec_lo, s25
	s_cbranch_execnz .LBB6_1373
.LBB6_550:                              ;   in Loop: Header=BB6_144 Depth=2
	s_or_b32 exec_lo, exec_lo, s25
	s_and_saveexec_b32 s24, s11
	s_cbranch_execz .LBB6_552
.LBB6_551:                              ;   in Loop: Header=BB6_144 Depth=2
	v_and_b32_e32 v178, 0xffff, v177
	v_lshlrev_b32_e32 v177, 24, v177
	s_delay_alu instid0(VALU_DEP_2) | instskip(NEXT) | instid1(VALU_DEP_2)
	v_and_b32_e32 v179, 3, v178
	v_and_b32_e32 v177, 0x80000000, v177
	s_delay_alu instid0(VALU_DEP_2) | instskip(NEXT) | instid1(VALU_DEP_1)
	v_clz_i32_u32_e32 v180, v179
	v_min_u32_e32 v180, 32, v180
	s_delay_alu instid0(VALU_DEP_1) | instskip(SKIP_1) | instid1(VALU_DEP_2)
	v_subrev_nc_u32_e32 v181, 29, v180
	v_sub_nc_u32_e32 v180, 30, v180
	v_lshlrev_b32_e32 v181, v181, v178
	v_bfe_u32 v178, v178, 2, 5
	s_delay_alu instid0(VALU_DEP_2) | instskip(NEXT) | instid1(VALU_DEP_2)
	v_and_b32_e32 v181, 3, v181
	v_cmp_eq_u32_e32 vcc_lo, 0, v178
	s_delay_alu instid0(VALU_DEP_2) | instskip(NEXT) | instid1(VALU_DEP_1)
	v_dual_cndmask_b32 v178, v178, v180 :: v_dual_cndmask_b32 v179, v179, v181
	v_lshl_add_u32 v178, v178, 23, 0x37800000
	s_delay_alu instid0(VALU_DEP_2) | instskip(NEXT) | instid1(VALU_DEP_1)
	v_lshlrev_b32_e32 v179, 21, v179
	v_or3_b32 v178, v177, v178, v179
.LBB6_552:                              ;   in Loop: Header=BB6_144 Depth=2
	s_or_b32 exec_lo, exec_lo, s24
	s_delay_alu instid0(VALU_DEP_1) | instskip(NEXT) | instid1(VALU_DEP_1)
	v_mul_f32_e32 v177, v176, v178
	v_and_b32_e32 v176, 0x7f800000, v177
	s_delay_alu instid0(VALU_DEP_1)
	v_cmp_ne_u32_e32 vcc_lo, 0x7f800000, v176
	v_mov_b32_e32 v176, 0x80
	s_and_saveexec_b32 s24, vcc_lo
	s_cbranch_execz .LBB6_560
; %bb.553:                              ;   in Loop: Header=BB6_144 Depth=2
	v_mov_b32_e32 v176, 0
	s_mov_b32 s25, exec_lo
	v_cmpx_ne_u32_e32 0, v177
	s_cbranch_execz .LBB6_559
; %bb.554:                              ;   in Loop: Header=BB6_144 Depth=2
	v_bfe_u32 v176, v177, 23, 8
	s_delay_alu instid0(VALU_DEP_1) | instskip(SKIP_1) | instid1(VALU_DEP_2)
	v_sub_nc_u32_e32 v179, 0x70, v176
	v_cmp_gt_u32_e32 vcc_lo, 0x71, v176
	v_dual_cndmask_b32 v179, 0, v179 :: v_dual_and_b32 v178, 0x7fffff, v177
	s_delay_alu instid0(VALU_DEP_1) | instskip(SKIP_2) | instid1(VALU_DEP_4)
	v_or_b32_e32 v180, 0x800000, v178
	v_cmp_eq_u32_e32 vcc_lo, 0, v176
	v_add_nc_u32_e32 v176, 0xffffff91, v176
	v_cndmask_b32_e64 v179, v179, 0x6f, vcc_lo
	s_delay_alu instid0(VALU_DEP_2) | instskip(SKIP_1) | instid1(VALU_DEP_3)
	v_cndmask_b32_e64 v176, v176, 0xffffff92, vcc_lo
	v_cndmask_b32_e32 v178, v180, v178, vcc_lo
	v_lshl_add_u32 v180, 0x200000, v179, -1
	v_lshlrev_b32_e64 v183, v179, 0x100000
	s_delay_alu instid0(VALU_DEP_3) | instskip(SKIP_1) | instid1(VALU_DEP_4)
	v_lshrrev_b32_e32 v181, v179, v178
	v_add_nc_u32_e32 v179, v179, v176
	v_and_b32_e32 v178, v180, v178
	s_delay_alu instid0(VALU_DEP_3) | instskip(NEXT) | instid1(VALU_DEP_2)
	v_bfe_u32 v182, v181, 21, 1
	v_cmp_eq_u32_e64 s11, v178, v183
	s_delay_alu instid0(VALU_DEP_2) | instskip(NEXT) | instid1(VALU_DEP_1)
	v_add_nc_u32_e32 v180, -1, v182
	v_cndmask_b32_e64 v178, 0, v180, s11
	v_lshrrev_b32_e32 v180, 23, v181
	s_mov_b32 s11, exec_lo
	s_delay_alu instid0(VALU_DEP_2) | instskip(NEXT) | instid1(VALU_DEP_2)
	v_add_nc_u32_e32 v178, v178, v181
	v_xor_b32_e32 v180, 1, v180
	s_delay_alu instid0(VALU_DEP_2) | instskip(NEXT) | instid1(VALU_DEP_1)
	v_and_b32_e32 v176, 0x1fffff, v178
	v_add_nc_u32_e32 v178, v176, v181
                                        ; implicit-def: $vgpr176
	s_delay_alu instid0(VALU_DEP_3)
	v_cmpx_ne_u32_e64 v179, v180
	s_xor_b32 s11, exec_lo, s11
; %bb.555:                              ;   in Loop: Header=BB6_144 Depth=2
	s_delay_alu instid0(VALU_DEP_2) | instskip(SKIP_2) | instid1(VALU_DEP_2)
	v_cmp_lt_u32_e32 vcc_lo, 0xffffff, v178
	v_sub_nc_u32_e32 v176, v179, v180
	v_cndmask_b32_e64 v179, 0, 1, vcc_lo
	v_add_co_ci_u32_e32 v176, vcc_lo, 0, v176, vcc_lo
	s_delay_alu instid0(VALU_DEP_2)
	v_lshrrev_b32_e32 v178, v179, v178
; %bb.556:                              ;   in Loop: Header=BB6_144 Depth=2
	s_and_not1_saveexec_b32 s11, s11
; %bb.557:                              ;   in Loop: Header=BB6_144 Depth=2
	s_delay_alu instid0(VALU_DEP_1)
	v_bfe_u32 v176, v178, 23, 1
; %bb.558:                              ;   in Loop: Header=BB6_144 Depth=2
	s_or_b32 exec_lo, exec_lo, s11
	v_lshrrev_b32_e32 v178, 21, v178
	s_delay_alu instid0(VALU_DEP_2) | instskip(SKIP_2) | instid1(VALU_DEP_2)
	v_cmp_gt_i32_e32 vcc_lo, 32, v176
	v_lshrrev_b32_e32 v177, 24, v177
	v_min_i32_e32 v179, 31, v176
	v_dual_cndmask_b32 v178, 3, v178 :: v_dual_and_b32 v177, 0x80, v177
	s_delay_alu instid0(VALU_DEP_1) | instskip(SKIP_1) | instid1(VALU_DEP_2)
	v_or_b32_e32 v176, v176, v178
	v_and_b32_e32 v180, 3, v178
	v_cmp_ne_u32_e32 vcc_lo, 0, v176
	v_lshlrev_b32_e32 v179, 2, v179
	s_delay_alu instid0(VALU_DEP_1) | instskip(NEXT) | instid1(VALU_DEP_1)
	v_or3_b32 v177, v179, v177, v180
	v_cndmask_b32_e32 v176, 0, v177, vcc_lo
.LBB6_559:                              ;   in Loop: Header=BB6_144 Depth=2
	s_or_b32 exec_lo, exec_lo, s25
.LBB6_560:                              ;   in Loop: Header=BB6_144 Depth=2
	s_delay_alu instid0(SALU_CYCLE_1) | instskip(SKIP_3) | instid1(VALU_DEP_1)
	s_or_b32 exec_lo, exec_lo, s24
	v_lshrrev_b32_e32 v178, 16, v34
	s_mov_b32 s11, 0
	s_mov_b32 s25, exec_lo
                                        ; implicit-def: $sgpr24
	v_and_b32_e32 v179, 0xff, v178
	s_delay_alu instid0(VALU_DEP_1)
	v_cmpx_lt_i16_e64 0x7f, v179
	s_xor_b32 s25, exec_lo, s25
	s_cbranch_execnz .LBB6_1374
; %bb.561:                              ;   in Loop: Header=BB6_144 Depth=2
	s_or_saveexec_b32 s25, s25
	v_mov_b32_e32 v177, s24
	s_xor_b32 exec_lo, exec_lo, s25
	s_cbranch_execnz .LBB6_1377
.LBB6_562:                              ;   in Loop: Header=BB6_144 Depth=2
	s_or_b32 exec_lo, exec_lo, s25
	s_and_saveexec_b32 s24, s11
	s_cbranch_execz .LBB6_564
.LBB6_563:                              ;   in Loop: Header=BB6_144 Depth=2
	v_bfe_u32 v177, v34, 16, 2
	v_lshlrev_b32_e32 v181, 8, v34
	s_delay_alu instid0(VALU_DEP_2) | instskip(NEXT) | instid1(VALU_DEP_1)
	v_clz_i32_u32_e32 v179, v177
	v_min_u32_e32 v179, 32, v179
	s_delay_alu instid0(VALU_DEP_1) | instskip(SKIP_1) | instid1(VALU_DEP_2)
	v_subrev_nc_u32_e32 v180, 29, v179
	v_sub_nc_u32_e32 v179, 30, v179
	v_lshlrev_b32_e32 v178, v180, v178
	v_bfe_u32 v180, v34, 18, 5
	s_delay_alu instid0(VALU_DEP_1) | instskip(NEXT) | instid1(VALU_DEP_3)
	v_cmp_eq_u32_e32 vcc_lo, 0, v180
	v_dual_cndmask_b32 v179, v180, v179 :: v_dual_and_b32 v178, 3, v178
	s_delay_alu instid0(VALU_DEP_1) | instskip(NEXT) | instid1(VALU_DEP_2)
	v_dual_cndmask_b32 v177, v177, v178 :: v_dual_and_b32 v178, 0x80000000, v181
	v_lshl_add_u32 v179, v179, 23, 0x37800000
	s_delay_alu instid0(VALU_DEP_2) | instskip(NEXT) | instid1(VALU_DEP_1)
	v_lshlrev_b32_e32 v177, 21, v177
	v_or3_b32 v177, v178, v179, v177
.LBB6_564:                              ;   in Loop: Header=BB6_144 Depth=2
	s_or_b32 exec_lo, exec_lo, s24
	v_lshrrev_b32_e32 v178, 16, v28
	s_mov_b32 s11, 0
	s_mov_b32 s25, exec_lo
                                        ; implicit-def: $sgpr24
	s_delay_alu instid0(VALU_DEP_1) | instskip(NEXT) | instid1(VALU_DEP_1)
	v_and_b32_e32 v180, 0xff, v178
	v_cmpx_lt_i16_e64 0x7f, v180
	s_xor_b32 s25, exec_lo, s25
	s_cbranch_execnz .LBB6_1378
; %bb.565:                              ;   in Loop: Header=BB6_144 Depth=2
	s_or_saveexec_b32 s25, s25
	v_mov_b32_e32 v179, s24
	s_xor_b32 exec_lo, exec_lo, s25
	s_cbranch_execnz .LBB6_1381
.LBB6_566:                              ;   in Loop: Header=BB6_144 Depth=2
	s_or_b32 exec_lo, exec_lo, s25
	s_and_saveexec_b32 s24, s11
	s_cbranch_execz .LBB6_568
.LBB6_567:                              ;   in Loop: Header=BB6_144 Depth=2
	v_bfe_u32 v179, v28, 16, 2
	v_lshlrev_b32_e32 v182, 8, v28
	s_delay_alu instid0(VALU_DEP_2) | instskip(NEXT) | instid1(VALU_DEP_1)
	v_clz_i32_u32_e32 v180, v179
	v_min_u32_e32 v180, 32, v180
	s_delay_alu instid0(VALU_DEP_1) | instskip(SKIP_1) | instid1(VALU_DEP_2)
	v_subrev_nc_u32_e32 v181, 29, v180
	v_sub_nc_u32_e32 v180, 30, v180
	v_lshlrev_b32_e32 v178, v181, v178
	v_bfe_u32 v181, v28, 18, 5
	s_delay_alu instid0(VALU_DEP_2) | instskip(NEXT) | instid1(VALU_DEP_2)
	v_and_b32_e32 v178, 3, v178
	v_cmp_eq_u32_e32 vcc_lo, 0, v181
	v_cndmask_b32_e32 v180, v181, v180, vcc_lo
	s_delay_alu instid0(VALU_DEP_3) | instskip(SKIP_1) | instid1(VALU_DEP_3)
	v_cndmask_b32_e32 v178, v179, v178, vcc_lo
	v_and_b32_e32 v179, 0x80000000, v182
	v_lshl_add_u32 v180, v180, 23, 0x37800000
	s_delay_alu instid0(VALU_DEP_3) | instskip(NEXT) | instid1(VALU_DEP_1)
	v_lshlrev_b32_e32 v178, 21, v178
	v_or3_b32 v179, v179, v180, v178
.LBB6_568:                              ;   in Loop: Header=BB6_144 Depth=2
	s_or_b32 exec_lo, exec_lo, s24
	s_delay_alu instid0(VALU_DEP_1) | instskip(NEXT) | instid1(VALU_DEP_1)
	v_mul_f32_e32 v178, v177, v179
	v_and_b32_e32 v177, 0x7f800000, v178
	s_delay_alu instid0(VALU_DEP_1)
	v_cmp_ne_u32_e32 vcc_lo, 0x7f800000, v177
	v_mov_b32_e32 v177, 0x80
	s_and_saveexec_b32 s24, vcc_lo
	s_cbranch_execz .LBB6_576
; %bb.569:                              ;   in Loop: Header=BB6_144 Depth=2
	v_mov_b32_e32 v177, 0
	s_mov_b32 s25, exec_lo
	v_cmpx_ne_u32_e32 0, v178
	s_cbranch_execz .LBB6_575
; %bb.570:                              ;   in Loop: Header=BB6_144 Depth=2
	v_bfe_u32 v177, v178, 23, 8
	s_delay_alu instid0(VALU_DEP_1) | instskip(SKIP_1) | instid1(VALU_DEP_2)
	v_sub_nc_u32_e32 v180, 0x70, v177
	v_cmp_gt_u32_e32 vcc_lo, 0x71, v177
	v_dual_cndmask_b32 v180, 0, v180 :: v_dual_and_b32 v179, 0x7fffff, v178
	s_delay_alu instid0(VALU_DEP_1) | instskip(SKIP_2) | instid1(VALU_DEP_4)
	v_or_b32_e32 v181, 0x800000, v179
	v_cmp_eq_u32_e32 vcc_lo, 0, v177
	v_add_nc_u32_e32 v177, 0xffffff91, v177
	v_cndmask_b32_e64 v180, v180, 0x6f, vcc_lo
	s_delay_alu instid0(VALU_DEP_2) | instskip(SKIP_1) | instid1(VALU_DEP_3)
	v_cndmask_b32_e64 v177, v177, 0xffffff92, vcc_lo
	v_cndmask_b32_e32 v179, v181, v179, vcc_lo
	v_lshl_add_u32 v181, 0x200000, v180, -1
	v_lshlrev_b32_e64 v40, v180, 0x100000
	s_delay_alu instid0(VALU_DEP_3) | instskip(SKIP_1) | instid1(VALU_DEP_4)
	v_lshrrev_b32_e32 v182, v180, v179
	v_add_nc_u32_e32 v180, v180, v177
	v_and_b32_e32 v179, v181, v179
	s_delay_alu instid0(VALU_DEP_3) | instskip(NEXT) | instid1(VALU_DEP_2)
	v_bfe_u32 v183, v182, 21, 1
	v_cmp_eq_u32_e64 s11, v179, v40
	s_delay_alu instid0(VALU_DEP_2) | instskip(NEXT) | instid1(VALU_DEP_1)
	v_add_nc_u32_e32 v181, -1, v183
	v_cndmask_b32_e64 v179, 0, v181, s11
	v_lshrrev_b32_e32 v181, 23, v182
	s_mov_b32 s11, exec_lo
	s_delay_alu instid0(VALU_DEP_2) | instskip(NEXT) | instid1(VALU_DEP_2)
	v_add_nc_u32_e32 v179, v179, v182
	v_xor_b32_e32 v181, 1, v181
	s_delay_alu instid0(VALU_DEP_2) | instskip(NEXT) | instid1(VALU_DEP_1)
	v_and_b32_e32 v177, 0x1fffff, v179
	v_add_nc_u32_e32 v179, v177, v182
                                        ; implicit-def: $vgpr177
	s_delay_alu instid0(VALU_DEP_3)
	v_cmpx_ne_u32_e64 v180, v181
	s_xor_b32 s11, exec_lo, s11
; %bb.571:                              ;   in Loop: Header=BB6_144 Depth=2
	s_delay_alu instid0(VALU_DEP_2) | instskip(SKIP_2) | instid1(VALU_DEP_2)
	v_cmp_lt_u32_e32 vcc_lo, 0xffffff, v179
	v_sub_nc_u32_e32 v177, v180, v181
	v_cndmask_b32_e64 v180, 0, 1, vcc_lo
	v_add_co_ci_u32_e32 v177, vcc_lo, 0, v177, vcc_lo
	s_delay_alu instid0(VALU_DEP_2)
	v_lshrrev_b32_e32 v179, v180, v179
; %bb.572:                              ;   in Loop: Header=BB6_144 Depth=2
	s_and_not1_saveexec_b32 s11, s11
; %bb.573:                              ;   in Loop: Header=BB6_144 Depth=2
	s_delay_alu instid0(VALU_DEP_1)
	v_bfe_u32 v177, v179, 23, 1
; %bb.574:                              ;   in Loop: Header=BB6_144 Depth=2
	s_or_b32 exec_lo, exec_lo, s11
	v_lshrrev_b32_e32 v179, 21, v179
	s_delay_alu instid0(VALU_DEP_2) | instskip(SKIP_2) | instid1(VALU_DEP_2)
	v_cmp_gt_i32_e32 vcc_lo, 32, v177
	v_lshrrev_b32_e32 v178, 24, v178
	v_min_i32_e32 v180, 31, v177
	v_dual_cndmask_b32 v179, 3, v179 :: v_dual_and_b32 v178, 0x80, v178
	s_delay_alu instid0(VALU_DEP_1) | instskip(SKIP_1) | instid1(VALU_DEP_2)
	v_or_b32_e32 v177, v177, v179
	v_and_b32_e32 v181, 3, v179
	v_cmp_ne_u32_e32 vcc_lo, 0, v177
	v_lshlrev_b32_e32 v180, 2, v180
	s_delay_alu instid0(VALU_DEP_1) | instskip(NEXT) | instid1(VALU_DEP_1)
	v_or3_b32 v178, v180, v178, v181
	v_cndmask_b32_e32 v177, 0, v178, vcc_lo
.LBB6_575:                              ;   in Loop: Header=BB6_144 Depth=2
	s_or_b32 exec_lo, exec_lo, s25
.LBB6_576:                              ;   in Loop: Header=BB6_144 Depth=2
	s_delay_alu instid0(SALU_CYCLE_1) | instskip(SKIP_3) | instid1(VALU_DEP_1)
	s_or_b32 exec_lo, exec_lo, s24
	v_lshrrev_b32_e32 v179, 24, v34
	s_mov_b32 s11, 0
	s_mov_b32 s25, exec_lo
                                        ; implicit-def: $sgpr24
	v_cmpx_lt_i16_e64 0x7f, v179
	s_xor_b32 s25, exec_lo, s25
	s_cbranch_execnz .LBB6_1382
; %bb.577:                              ;   in Loop: Header=BB6_144 Depth=2
	s_or_saveexec_b32 s25, s25
	v_mov_b32_e32 v178, s24
	s_xor_b32 exec_lo, exec_lo, s25
	s_cbranch_execnz .LBB6_1385
.LBB6_578:                              ;   in Loop: Header=BB6_144 Depth=2
	s_or_b32 exec_lo, exec_lo, s25
	s_and_saveexec_b32 s24, s11
	s_cbranch_execz .LBB6_580
.LBB6_579:                              ;   in Loop: Header=BB6_144 Depth=2
	v_bfe_u32 v178, v34, 24, 2
	s_delay_alu instid0(VALU_DEP_1) | instskip(NEXT) | instid1(VALU_DEP_1)
	v_clz_i32_u32_e32 v180, v178
	v_min_u32_e32 v180, 32, v180
	s_delay_alu instid0(VALU_DEP_1) | instskip(SKIP_1) | instid1(VALU_DEP_2)
	v_subrev_nc_u32_e32 v181, 29, v180
	v_sub_nc_u32_e32 v180, 30, v180
	v_lshlrev_b32_e32 v179, v181, v179
	v_bfe_u32 v181, v34, 26, 5
	v_and_b32_e32 v34, 0x80000000, v34
	s_delay_alu instid0(VALU_DEP_2) | instskip(NEXT) | instid1(VALU_DEP_4)
	v_cmp_eq_u32_e32 vcc_lo, 0, v181
	v_dual_cndmask_b32 v180, v181, v180 :: v_dual_and_b32 v179, 3, v179
	s_delay_alu instid0(VALU_DEP_1) | instskip(NEXT) | instid1(VALU_DEP_2)
	v_cndmask_b32_e32 v178, v178, v179, vcc_lo
	v_lshl_add_u32 v179, v180, 23, 0x37800000
	s_delay_alu instid0(VALU_DEP_2) | instskip(NEXT) | instid1(VALU_DEP_1)
	v_lshlrev_b32_e32 v178, 21, v178
	v_or3_b32 v178, v34, v179, v178
.LBB6_580:                              ;   in Loop: Header=BB6_144 Depth=2
	s_or_b32 exec_lo, exec_lo, s24
	v_lshrrev_b32_e32 v34, 24, v28
	s_mov_b32 s11, 0
	s_mov_b32 s25, exec_lo
                                        ; implicit-def: $sgpr24
	s_delay_alu instid0(VALU_DEP_1)
	v_cmpx_lt_i16_e32 0x7f, v34
	s_xor_b32 s25, exec_lo, s25
	s_cbranch_execnz .LBB6_1386
; %bb.581:                              ;   in Loop: Header=BB6_144 Depth=2
	s_or_saveexec_b32 s25, s25
	v_mov_b32_e32 v179, s24
	s_xor_b32 exec_lo, exec_lo, s25
	s_cbranch_execnz .LBB6_1389
.LBB6_582:                              ;   in Loop: Header=BB6_144 Depth=2
	s_or_b32 exec_lo, exec_lo, s25
	s_and_saveexec_b32 s24, s11
	s_cbranch_execz .LBB6_584
.LBB6_583:                              ;   in Loop: Header=BB6_144 Depth=2
	v_bfe_u32 v179, v28, 24, 2
	s_delay_alu instid0(VALU_DEP_1) | instskip(NEXT) | instid1(VALU_DEP_1)
	v_clz_i32_u32_e32 v180, v179
	v_min_u32_e32 v180, 32, v180
	s_delay_alu instid0(VALU_DEP_1) | instskip(SKIP_1) | instid1(VALU_DEP_2)
	v_subrev_nc_u32_e32 v181, 29, v180
	v_sub_nc_u32_e32 v180, 30, v180
	v_lshlrev_b32_e32 v34, v181, v34
	v_bfe_u32 v181, v28, 26, 5
	v_and_b32_e32 v28, 0x80000000, v28
	s_delay_alu instid0(VALU_DEP_3) | instskip(NEXT) | instid1(VALU_DEP_3)
	v_and_b32_e32 v34, 3, v34
	v_cmp_eq_u32_e32 vcc_lo, 0, v181
	v_cndmask_b32_e32 v180, v181, v180, vcc_lo
	s_delay_alu instid0(VALU_DEP_3) | instskip(NEXT) | instid1(VALU_DEP_2)
	v_cndmask_b32_e32 v34, v179, v34, vcc_lo
	v_lshl_add_u32 v179, v180, 23, 0x37800000
	s_delay_alu instid0(VALU_DEP_2) | instskip(NEXT) | instid1(VALU_DEP_1)
	v_lshlrev_b32_e32 v34, 21, v34
	v_or3_b32 v179, v28, v179, v34
.LBB6_584:                              ;   in Loop: Header=BB6_144 Depth=2
	s_or_b32 exec_lo, exec_lo, s24
	s_delay_alu instid0(VALU_DEP_1) | instskip(NEXT) | instid1(VALU_DEP_1)
	v_mul_f32_e32 v34, v178, v179
	v_and_b32_e32 v28, 0x7f800000, v34
	s_delay_alu instid0(VALU_DEP_1)
	v_cmp_ne_u32_e32 vcc_lo, 0x7f800000, v28
	v_mov_b32_e32 v28, 0x80
	s_and_saveexec_b32 s24, vcc_lo
	s_cbranch_execz .LBB6_592
; %bb.585:                              ;   in Loop: Header=BB6_144 Depth=2
	v_mov_b32_e32 v28, 0
	s_mov_b32 s25, exec_lo
	v_cmpx_ne_u32_e32 0, v34
	s_cbranch_execz .LBB6_591
; %bb.586:                              ;   in Loop: Header=BB6_144 Depth=2
	v_bfe_u32 v28, v34, 23, 8
	s_delay_alu instid0(VALU_DEP_1) | instskip(SKIP_1) | instid1(VALU_DEP_2)
	v_sub_nc_u32_e32 v179, 0x70, v28
	v_cmp_gt_u32_e32 vcc_lo, 0x71, v28
	v_dual_cndmask_b32 v179, 0, v179 :: v_dual_and_b32 v178, 0x7fffff, v34
	s_delay_alu instid0(VALU_DEP_1) | instskip(SKIP_2) | instid1(VALU_DEP_4)
	v_or_b32_e32 v180, 0x800000, v178
	v_cmp_eq_u32_e32 vcc_lo, 0, v28
	v_add_nc_u32_e32 v28, 0xffffff91, v28
	v_cndmask_b32_e64 v179, v179, 0x6f, vcc_lo
	s_delay_alu instid0(VALU_DEP_2) | instskip(SKIP_1) | instid1(VALU_DEP_3)
	v_cndmask_b32_e64 v28, v28, 0xffffff92, vcc_lo
	v_cndmask_b32_e32 v178, v180, v178, vcc_lo
	v_lshl_add_u32 v180, 0x200000, v179, -1
	v_lshlrev_b32_e64 v183, v179, 0x100000
	s_delay_alu instid0(VALU_DEP_3) | instskip(SKIP_1) | instid1(VALU_DEP_4)
	v_lshrrev_b32_e32 v181, v179, v178
	v_add_nc_u32_e32 v179, v179, v28
	v_and_b32_e32 v178, v180, v178
	s_delay_alu instid0(VALU_DEP_3) | instskip(NEXT) | instid1(VALU_DEP_2)
	v_bfe_u32 v182, v181, 21, 1
	v_cmp_eq_u32_e64 s11, v178, v183
	s_delay_alu instid0(VALU_DEP_2) | instskip(NEXT) | instid1(VALU_DEP_1)
	v_add_nc_u32_e32 v180, -1, v182
	v_cndmask_b32_e64 v178, 0, v180, s11
	v_lshrrev_b32_e32 v180, 23, v181
	s_mov_b32 s11, exec_lo
	s_delay_alu instid0(VALU_DEP_2) | instskip(NEXT) | instid1(VALU_DEP_2)
	v_add_nc_u32_e32 v178, v178, v181
	v_xor_b32_e32 v180, 1, v180
	s_delay_alu instid0(VALU_DEP_2) | instskip(NEXT) | instid1(VALU_DEP_1)
	v_and_b32_e32 v28, 0x1fffff, v178
	v_add_nc_u32_e32 v178, v28, v181
                                        ; implicit-def: $vgpr28
	s_delay_alu instid0(VALU_DEP_3)
	v_cmpx_ne_u32_e64 v179, v180
	s_xor_b32 s11, exec_lo, s11
; %bb.587:                              ;   in Loop: Header=BB6_144 Depth=2
	s_delay_alu instid0(VALU_DEP_2) | instskip(SKIP_2) | instid1(VALU_DEP_2)
	v_cmp_lt_u32_e32 vcc_lo, 0xffffff, v178
	v_sub_nc_u32_e32 v28, v179, v180
	v_cndmask_b32_e64 v179, 0, 1, vcc_lo
	v_add_co_ci_u32_e32 v28, vcc_lo, 0, v28, vcc_lo
	s_delay_alu instid0(VALU_DEP_2)
	v_lshrrev_b32_e32 v178, v179, v178
; %bb.588:                              ;   in Loop: Header=BB6_144 Depth=2
	s_and_not1_saveexec_b32 s11, s11
; %bb.589:                              ;   in Loop: Header=BB6_144 Depth=2
	s_delay_alu instid0(VALU_DEP_1)
	v_bfe_u32 v28, v178, 23, 1
; %bb.590:                              ;   in Loop: Header=BB6_144 Depth=2
	s_or_b32 exec_lo, exec_lo, s11
	v_lshrrev_b32_e32 v178, 21, v178
	s_delay_alu instid0(VALU_DEP_2) | instskip(SKIP_2) | instid1(VALU_DEP_4)
	v_cmp_gt_i32_e32 vcc_lo, 32, v28
	v_lshrrev_b32_e32 v34, 24, v34
	v_min_i32_e32 v179, 31, v28
	v_cndmask_b32_e32 v178, 3, v178, vcc_lo
	s_delay_alu instid0(VALU_DEP_3) | instskip(NEXT) | instid1(VALU_DEP_3)
	v_and_b32_e32 v34, 0x80, v34
	v_lshlrev_b32_e32 v179, 2, v179
	s_delay_alu instid0(VALU_DEP_3) | instskip(SKIP_1) | instid1(VALU_DEP_2)
	v_and_b32_e32 v180, 3, v178
	v_or_b32_e32 v28, v28, v178
	v_or3_b32 v34, v179, v34, v180
	s_delay_alu instid0(VALU_DEP_2) | instskip(NEXT) | instid1(VALU_DEP_2)
	v_cmp_ne_u32_e32 vcc_lo, 0, v28
	v_cndmask_b32_e32 v28, 0, v34, vcc_lo
.LBB6_591:                              ;   in Loop: Header=BB6_144 Depth=2
	s_or_b32 exec_lo, exec_lo, s25
.LBB6_592:                              ;   in Loop: Header=BB6_144 Depth=2
	s_delay_alu instid0(SALU_CYCLE_1) | instskip(SKIP_3) | instid1(VALU_DEP_1)
	s_or_b32 exec_lo, exec_lo, s24
	v_and_b32_e32 v178, 0xff, v35
	s_mov_b32 s11, 0
	s_mov_b32 s25, exec_lo
                                        ; implicit-def: $sgpr24
	v_cmpx_lt_i16_e64 0x7f, v178
	s_xor_b32 s25, exec_lo, s25
	s_cbranch_execnz .LBB6_1390
; %bb.593:                              ;   in Loop: Header=BB6_144 Depth=2
	s_or_saveexec_b32 s25, s25
	v_mov_b32_e32 v34, s24
	s_xor_b32 exec_lo, exec_lo, s25
	s_cbranch_execnz .LBB6_1393
.LBB6_594:                              ;   in Loop: Header=BB6_144 Depth=2
	s_or_b32 exec_lo, exec_lo, s25
	s_and_saveexec_b32 s24, s11
	s_cbranch_execz .LBB6_596
.LBB6_595:                              ;   in Loop: Header=BB6_144 Depth=2
	v_and_b32_e32 v34, 3, v35
	v_bfe_u32 v180, v35, 2, 5
	v_lshlrev_b32_e32 v181, 24, v35
	s_delay_alu instid0(VALU_DEP_3) | instskip(NEXT) | instid1(VALU_DEP_3)
	v_clz_i32_u32_e32 v178, v34
	v_cmp_eq_u32_e32 vcc_lo, 0, v180
	s_delay_alu instid0(VALU_DEP_2) | instskip(NEXT) | instid1(VALU_DEP_1)
	v_min_u32_e32 v178, 32, v178
	v_subrev_nc_u32_e32 v179, 29, v178
	v_sub_nc_u32_e32 v178, 30, v178
	s_delay_alu instid0(VALU_DEP_1) | instskip(NEXT) | instid1(VALU_DEP_1)
	v_dual_cndmask_b32 v178, v180, v178 :: v_dual_lshlrev_b32 v179, v179, v35
	v_and_b32_e32 v179, 3, v179
	s_delay_alu instid0(VALU_DEP_2) | instskip(NEXT) | instid1(VALU_DEP_2)
	v_lshl_add_u32 v178, v178, 23, 0x37800000
	v_dual_cndmask_b32 v34, v34, v179 :: v_dual_and_b32 v179, 0x80000000, v181
	s_delay_alu instid0(VALU_DEP_1) | instskip(NEXT) | instid1(VALU_DEP_1)
	v_lshlrev_b32_e32 v34, 21, v34
	v_or3_b32 v34, v179, v178, v34
.LBB6_596:                              ;   in Loop: Header=BB6_144 Depth=2
	s_or_b32 exec_lo, exec_lo, s24
	v_and_b32_e32 v179, 0xff, v29
	s_mov_b32 s11, 0
	s_mov_b32 s25, exec_lo
                                        ; implicit-def: $sgpr24
	s_delay_alu instid0(VALU_DEP_1)
	v_cmpx_lt_i16_e64 0x7f, v179
	s_xor_b32 s25, exec_lo, s25
	s_cbranch_execnz .LBB6_1394
; %bb.597:                              ;   in Loop: Header=BB6_144 Depth=2
	s_or_saveexec_b32 s25, s25
	v_mov_b32_e32 v178, s24
	s_xor_b32 exec_lo, exec_lo, s25
	s_cbranch_execnz .LBB6_1397
.LBB6_598:                              ;   in Loop: Header=BB6_144 Depth=2
	s_or_b32 exec_lo, exec_lo, s25
	s_and_saveexec_b32 s24, s11
	s_cbranch_execz .LBB6_600
.LBB6_599:                              ;   in Loop: Header=BB6_144 Depth=2
	v_bfe_u32 v181, v29, 2, 5
	v_lshlrev_b32_e32 v182, 24, v29
	s_delay_alu instid0(VALU_DEP_2) | instskip(SKIP_1) | instid1(VALU_DEP_1)
	v_cmp_eq_u32_e32 vcc_lo, 0, v181
	v_and_b32_e32 v178, 3, v29
	v_clz_i32_u32_e32 v179, v178
	s_delay_alu instid0(VALU_DEP_1) | instskip(NEXT) | instid1(VALU_DEP_1)
	v_min_u32_e32 v179, 32, v179
	v_subrev_nc_u32_e32 v180, 29, v179
	v_sub_nc_u32_e32 v179, 30, v179
	s_delay_alu instid0(VALU_DEP_1) | instskip(NEXT) | instid1(VALU_DEP_1)
	v_dual_cndmask_b32 v179, v181, v179 :: v_dual_lshlrev_b32 v180, v180, v29
	v_and_b32_e32 v180, 3, v180
	s_delay_alu instid0(VALU_DEP_2) | instskip(NEXT) | instid1(VALU_DEP_2)
	v_lshl_add_u32 v179, v179, 23, 0x37800000
	v_cndmask_b32_e32 v178, v178, v180, vcc_lo
	v_and_b32_e32 v180, 0x80000000, v182
	s_delay_alu instid0(VALU_DEP_2) | instskip(NEXT) | instid1(VALU_DEP_1)
	v_lshlrev_b32_e32 v178, 21, v178
	v_or3_b32 v178, v180, v179, v178
.LBB6_600:                              ;   in Loop: Header=BB6_144 Depth=2
	s_or_b32 exec_lo, exec_lo, s24
	s_delay_alu instid0(VALU_DEP_1) | instskip(NEXT) | instid1(VALU_DEP_1)
	v_mul_f32_e32 v178, v34, v178
	v_and_b32_e32 v34, 0x7f800000, v178
	s_delay_alu instid0(VALU_DEP_1)
	v_cmp_ne_u32_e32 vcc_lo, 0x7f800000, v34
	v_mov_b32_e32 v34, 0x80
	s_and_saveexec_b32 s24, vcc_lo
	s_cbranch_execz .LBB6_608
; %bb.601:                              ;   in Loop: Header=BB6_144 Depth=2
	v_mov_b32_e32 v34, 0
	s_mov_b32 s25, exec_lo
	v_cmpx_ne_u32_e32 0, v178
	s_cbranch_execz .LBB6_607
; %bb.602:                              ;   in Loop: Header=BB6_144 Depth=2
	v_bfe_u32 v34, v178, 23, 8
	s_delay_alu instid0(VALU_DEP_1) | instskip(SKIP_1) | instid1(VALU_DEP_2)
	v_sub_nc_u32_e32 v180, 0x70, v34
	v_cmp_gt_u32_e32 vcc_lo, 0x71, v34
	v_dual_cndmask_b32 v180, 0, v180 :: v_dual_and_b32 v179, 0x7fffff, v178
	s_delay_alu instid0(VALU_DEP_1) | instskip(SKIP_2) | instid1(VALU_DEP_4)
	v_or_b32_e32 v181, 0x800000, v179
	v_cmp_eq_u32_e32 vcc_lo, 0, v34
	v_add_nc_u32_e32 v34, 0xffffff91, v34
	v_cndmask_b32_e64 v180, v180, 0x6f, vcc_lo
	s_delay_alu instid0(VALU_DEP_4) | instskip(NEXT) | instid1(VALU_DEP_3)
	v_cndmask_b32_e32 v179, v181, v179, vcc_lo
	v_cndmask_b32_e64 v34, v34, 0xffffff92, vcc_lo
	s_delay_alu instid0(VALU_DEP_3) | instskip(NEXT) | instid1(VALU_DEP_3)
	v_lshl_add_u32 v181, 0x200000, v180, -1
	v_lshrrev_b32_e32 v182, v180, v179
	v_lshlrev_b32_e64 v40, v180, 0x100000
	s_delay_alu instid0(VALU_DEP_4) | instskip(NEXT) | instid1(VALU_DEP_4)
	v_add_nc_u32_e32 v180, v180, v34
	v_and_b32_e32 v179, v181, v179
	s_delay_alu instid0(VALU_DEP_4) | instskip(NEXT) | instid1(VALU_DEP_2)
	v_bfe_u32 v183, v182, 21, 1
	v_cmp_eq_u32_e64 s11, v179, v40
	s_delay_alu instid0(VALU_DEP_2) | instskip(NEXT) | instid1(VALU_DEP_1)
	v_add_nc_u32_e32 v181, -1, v183
	v_cndmask_b32_e64 v179, 0, v181, s11
	v_lshrrev_b32_e32 v181, 23, v182
	s_mov_b32 s11, exec_lo
	s_delay_alu instid0(VALU_DEP_2) | instskip(NEXT) | instid1(VALU_DEP_2)
	v_add_nc_u32_e32 v179, v179, v182
	v_xor_b32_e32 v181, 1, v181
	s_delay_alu instid0(VALU_DEP_2) | instskip(NEXT) | instid1(VALU_DEP_1)
	v_and_b32_e32 v34, 0x1fffff, v179
	v_add_nc_u32_e32 v179, v34, v182
                                        ; implicit-def: $vgpr34
	s_delay_alu instid0(VALU_DEP_3)
	v_cmpx_ne_u32_e64 v180, v181
	s_xor_b32 s11, exec_lo, s11
; %bb.603:                              ;   in Loop: Header=BB6_144 Depth=2
	s_delay_alu instid0(VALU_DEP_2) | instskip(SKIP_2) | instid1(VALU_DEP_2)
	v_cmp_lt_u32_e32 vcc_lo, 0xffffff, v179
	v_sub_nc_u32_e32 v34, v180, v181
	v_cndmask_b32_e64 v180, 0, 1, vcc_lo
	v_add_co_ci_u32_e32 v34, vcc_lo, 0, v34, vcc_lo
	s_delay_alu instid0(VALU_DEP_2)
	v_lshrrev_b32_e32 v179, v180, v179
; %bb.604:                              ;   in Loop: Header=BB6_144 Depth=2
	s_and_not1_saveexec_b32 s11, s11
; %bb.605:                              ;   in Loop: Header=BB6_144 Depth=2
	s_delay_alu instid0(VALU_DEP_1)
	v_bfe_u32 v34, v179, 23, 1
; %bb.606:                              ;   in Loop: Header=BB6_144 Depth=2
	s_or_b32 exec_lo, exec_lo, s11
	v_lshrrev_b32_e32 v179, 21, v179
	s_delay_alu instid0(VALU_DEP_2) | instskip(SKIP_2) | instid1(VALU_DEP_2)
	v_cmp_gt_i32_e32 vcc_lo, 32, v34
	v_lshrrev_b32_e32 v178, 24, v178
	v_min_i32_e32 v180, 31, v34
	v_dual_cndmask_b32 v179, 3, v179 :: v_dual_and_b32 v178, 0x80, v178
	s_delay_alu instid0(VALU_DEP_2) | instskip(NEXT) | instid1(VALU_DEP_2)
	v_lshlrev_b32_e32 v180, 2, v180
	v_or_b32_e32 v34, v34, v179
	s_delay_alu instid0(VALU_DEP_1) | instskip(SKIP_1) | instid1(VALU_DEP_1)
	v_cmp_ne_u32_e32 vcc_lo, 0, v34
	v_and_b32_e32 v181, 3, v179
	v_or3_b32 v178, v180, v178, v181
	s_delay_alu instid0(VALU_DEP_1)
	v_cndmask_b32_e32 v34, 0, v178, vcc_lo
.LBB6_607:                              ;   in Loop: Header=BB6_144 Depth=2
	s_or_b32 exec_lo, exec_lo, s25
.LBB6_608:                              ;   in Loop: Header=BB6_144 Depth=2
	s_delay_alu instid0(SALU_CYCLE_1) | instskip(SKIP_3) | instid1(VALU_DEP_1)
	s_or_b32 exec_lo, exec_lo, s24
	v_lshrrev_b16 v179, 8, v35
	s_mov_b32 s11, 0
	s_mov_b32 s25, exec_lo
                                        ; implicit-def: $sgpr24
	v_cmpx_lt_i16_e64 0x7f, v179
	s_xor_b32 s25, exec_lo, s25
	s_cbranch_execnz .LBB6_1398
; %bb.609:                              ;   in Loop: Header=BB6_144 Depth=2
	s_or_saveexec_b32 s25, s25
	v_mov_b32_e32 v178, s24
	s_xor_b32 exec_lo, exec_lo, s25
	s_cbranch_execnz .LBB6_1401
.LBB6_610:                              ;   in Loop: Header=BB6_144 Depth=2
	s_or_b32 exec_lo, exec_lo, s25
	s_and_saveexec_b32 s24, s11
	s_cbranch_execz .LBB6_612
.LBB6_611:                              ;   in Loop: Header=BB6_144 Depth=2
	v_and_b32_e32 v178, 0xffff, v179
	s_delay_alu instid0(VALU_DEP_1) | instskip(NEXT) | instid1(VALU_DEP_1)
	v_and_b32_e32 v180, 3, v178
	v_clz_i32_u32_e32 v181, v180
	s_delay_alu instid0(VALU_DEP_1) | instskip(NEXT) | instid1(VALU_DEP_1)
	v_min_u32_e32 v181, 32, v181
	v_subrev_nc_u32_e32 v182, 29, v181
	v_sub_nc_u32_e32 v181, 30, v181
	s_delay_alu instid0(VALU_DEP_2) | instskip(SKIP_1) | instid1(VALU_DEP_2)
	v_lshlrev_b32_e32 v182, v182, v178
	v_bfe_u32 v178, v178, 2, 5
	v_and_b32_e32 v182, 3, v182
	s_delay_alu instid0(VALU_DEP_2) | instskip(SKIP_1) | instid1(VALU_DEP_1)
	v_cmp_eq_u32_e32 vcc_lo, 0, v178
	v_dual_cndmask_b32 v178, v178, v181 :: v_dual_lshlrev_b32 v179, 24, v179
	v_dual_cndmask_b32 v180, v180, v182 :: v_dual_and_b32 v179, 0x80000000, v179
	s_delay_alu instid0(VALU_DEP_2) | instskip(NEXT) | instid1(VALU_DEP_2)
	v_lshl_add_u32 v178, v178, 23, 0x37800000
	v_lshlrev_b32_e32 v180, 21, v180
	s_delay_alu instid0(VALU_DEP_1)
	v_or3_b32 v178, v179, v178, v180
.LBB6_612:                              ;   in Loop: Header=BB6_144 Depth=2
	s_or_b32 exec_lo, exec_lo, s24
	v_lshrrev_b16 v179, 8, v29
	s_mov_b32 s11, 0
	s_mov_b32 s25, exec_lo
                                        ; implicit-def: $sgpr24
	s_delay_alu instid0(VALU_DEP_1)
	v_cmpx_lt_i16_e64 0x7f, v179
	s_xor_b32 s25, exec_lo, s25
	s_cbranch_execnz .LBB6_1402
; %bb.613:                              ;   in Loop: Header=BB6_144 Depth=2
	s_or_saveexec_b32 s25, s25
	v_mov_b32_e32 v180, s24
	s_xor_b32 exec_lo, exec_lo, s25
	s_cbranch_execnz .LBB6_1405
.LBB6_614:                              ;   in Loop: Header=BB6_144 Depth=2
	s_or_b32 exec_lo, exec_lo, s25
	s_and_saveexec_b32 s24, s11
	s_cbranch_execz .LBB6_616
.LBB6_615:                              ;   in Loop: Header=BB6_144 Depth=2
	v_and_b32_e32 v180, 0xffff, v179
	v_lshlrev_b32_e32 v179, 24, v179
	s_delay_alu instid0(VALU_DEP_2) | instskip(NEXT) | instid1(VALU_DEP_2)
	v_and_b32_e32 v181, 3, v180
	v_and_b32_e32 v179, 0x80000000, v179
	s_delay_alu instid0(VALU_DEP_2) | instskip(NEXT) | instid1(VALU_DEP_1)
	v_clz_i32_u32_e32 v182, v181
	v_min_u32_e32 v182, 32, v182
	s_delay_alu instid0(VALU_DEP_1) | instskip(SKIP_1) | instid1(VALU_DEP_2)
	v_subrev_nc_u32_e32 v183, 29, v182
	v_sub_nc_u32_e32 v182, 30, v182
	v_lshlrev_b32_e32 v183, v183, v180
	v_bfe_u32 v180, v180, 2, 5
	s_delay_alu instid0(VALU_DEP_2) | instskip(NEXT) | instid1(VALU_DEP_2)
	v_and_b32_e32 v183, 3, v183
	v_cmp_eq_u32_e32 vcc_lo, 0, v180
	s_delay_alu instid0(VALU_DEP_2) | instskip(NEXT) | instid1(VALU_DEP_1)
	v_dual_cndmask_b32 v180, v180, v182 :: v_dual_cndmask_b32 v181, v181, v183
	v_lshl_add_u32 v180, v180, 23, 0x37800000
	s_delay_alu instid0(VALU_DEP_2) | instskip(NEXT) | instid1(VALU_DEP_1)
	v_lshlrev_b32_e32 v181, 21, v181
	v_or3_b32 v180, v179, v180, v181
.LBB6_616:                              ;   in Loop: Header=BB6_144 Depth=2
	s_or_b32 exec_lo, exec_lo, s24
	s_delay_alu instid0(VALU_DEP_1) | instskip(NEXT) | instid1(VALU_DEP_1)
	v_mul_f32_e32 v179, v178, v180
	v_and_b32_e32 v178, 0x7f800000, v179
	s_delay_alu instid0(VALU_DEP_1)
	v_cmp_ne_u32_e32 vcc_lo, 0x7f800000, v178
	v_mov_b32_e32 v178, 0x8000
	s_and_saveexec_b32 s24, vcc_lo
	s_cbranch_execz .LBB6_624
; %bb.617:                              ;   in Loop: Header=BB6_144 Depth=2
	v_mov_b32_e32 v178, 0
	s_mov_b32 s25, exec_lo
	v_cmpx_ne_u32_e32 0, v179
	s_cbranch_execz .LBB6_623
; %bb.618:                              ;   in Loop: Header=BB6_144 Depth=2
	v_bfe_u32 v178, v179, 23, 8
	s_delay_alu instid0(VALU_DEP_1) | instskip(SKIP_1) | instid1(VALU_DEP_2)
	v_sub_nc_u32_e32 v181, 0x70, v178
	v_cmp_gt_u32_e32 vcc_lo, 0x71, v178
	v_dual_cndmask_b32 v181, 0, v181 :: v_dual_and_b32 v180, 0x7fffff, v179
	s_delay_alu instid0(VALU_DEP_1) | instskip(SKIP_2) | instid1(VALU_DEP_4)
	v_or_b32_e32 v182, 0x800000, v180
	v_cmp_eq_u32_e32 vcc_lo, 0, v178
	v_add_nc_u32_e32 v178, 0xffffff91, v178
	v_cndmask_b32_e64 v181, v181, 0x6f, vcc_lo
	s_delay_alu instid0(VALU_DEP_2) | instskip(SKIP_1) | instid1(VALU_DEP_3)
	v_cndmask_b32_e64 v178, v178, 0xffffff92, vcc_lo
	v_cndmask_b32_e32 v180, v182, v180, vcc_lo
	v_lshl_add_u32 v182, 0x200000, v181, -1
	v_lshlrev_b32_e64 v41, v181, 0x100000
	s_delay_alu instid0(VALU_DEP_3) | instskip(SKIP_1) | instid1(VALU_DEP_4)
	v_lshrrev_b32_e32 v183, v181, v180
	v_add_nc_u32_e32 v181, v181, v178
	v_and_b32_e32 v180, v182, v180
	s_delay_alu instid0(VALU_DEP_3) | instskip(NEXT) | instid1(VALU_DEP_2)
	v_bfe_u32 v40, v183, 21, 1
	v_cmp_eq_u32_e64 s11, v180, v41
	s_delay_alu instid0(VALU_DEP_2) | instskip(NEXT) | instid1(VALU_DEP_1)
	v_add_nc_u32_e32 v182, -1, v40
	v_cndmask_b32_e64 v180, 0, v182, s11
	v_lshrrev_b32_e32 v182, 23, v183
	s_mov_b32 s11, exec_lo
	s_delay_alu instid0(VALU_DEP_2) | instskip(NEXT) | instid1(VALU_DEP_2)
	v_add_nc_u32_e32 v180, v180, v183
	v_xor_b32_e32 v182, 1, v182
	s_delay_alu instid0(VALU_DEP_2) | instskip(NEXT) | instid1(VALU_DEP_1)
	v_and_b32_e32 v178, 0x1fffff, v180
	v_add_nc_u32_e32 v180, v178, v183
                                        ; implicit-def: $vgpr178
	s_delay_alu instid0(VALU_DEP_3)
	v_cmpx_ne_u32_e64 v181, v182
	s_xor_b32 s11, exec_lo, s11
; %bb.619:                              ;   in Loop: Header=BB6_144 Depth=2
	s_delay_alu instid0(VALU_DEP_2) | instskip(SKIP_2) | instid1(VALU_DEP_2)
	v_cmp_lt_u32_e32 vcc_lo, 0xffffff, v180
	v_sub_nc_u32_e32 v178, v181, v182
	v_cndmask_b32_e64 v181, 0, 1, vcc_lo
	v_add_co_ci_u32_e32 v178, vcc_lo, 0, v178, vcc_lo
	s_delay_alu instid0(VALU_DEP_2)
	v_lshrrev_b32_e32 v180, v181, v180
; %bb.620:                              ;   in Loop: Header=BB6_144 Depth=2
	s_and_not1_saveexec_b32 s11, s11
; %bb.621:                              ;   in Loop: Header=BB6_144 Depth=2
	s_delay_alu instid0(VALU_DEP_1)
	v_bfe_u32 v178, v180, 23, 1
; %bb.622:                              ;   in Loop: Header=BB6_144 Depth=2
	s_or_b32 exec_lo, exec_lo, s11
	v_lshrrev_b32_e32 v180, 21, v180
	s_delay_alu instid0(VALU_DEP_2) | instskip(SKIP_2) | instid1(VALU_DEP_2)
	v_cmp_gt_i32_e32 vcc_lo, 32, v178
	v_min_i32_e32 v181, 31, v178
	v_lshrrev_b32_e32 v179, 24, v179
	v_dual_cndmask_b32 v180, 3, v180 :: v_dual_lshlrev_b32 v181, 2, v181
	s_delay_alu instid0(VALU_DEP_2) | instskip(NEXT) | instid1(VALU_DEP_2)
	v_and_b32_e32 v179, 0x80, v179
	v_or_b32_e32 v178, v178, v180
	v_and_b32_e32 v182, 3, v180
	s_delay_alu instid0(VALU_DEP_2) | instskip(SKIP_1) | instid1(VALU_DEP_1)
	v_cmp_ne_u32_e32 vcc_lo, 0, v178
	v_and_b32_e32 v181, 0xfc, v181
	v_or3_b32 v179, v179, v181, v182
	s_delay_alu instid0(VALU_DEP_1) | instskip(NEXT) | instid1(VALU_DEP_1)
	v_lshlrev_b32_e32 v179, 8, v179
	v_cndmask_b32_e32 v178, 0, v179, vcc_lo
.LBB6_623:                              ;   in Loop: Header=BB6_144 Depth=2
	s_or_b32 exec_lo, exec_lo, s25
.LBB6_624:                              ;   in Loop: Header=BB6_144 Depth=2
	s_delay_alu instid0(SALU_CYCLE_1) | instskip(SKIP_3) | instid1(VALU_DEP_1)
	s_or_b32 exec_lo, exec_lo, s24
	v_lshrrev_b32_e32 v180, 16, v35
	s_mov_b32 s11, 0
	s_mov_b32 s25, exec_lo
                                        ; implicit-def: $sgpr24
	v_and_b32_e32 v181, 0xff, v180
	s_delay_alu instid0(VALU_DEP_1)
	v_cmpx_lt_i16_e64 0x7f, v181
	s_xor_b32 s25, exec_lo, s25
	s_cbranch_execnz .LBB6_1406
; %bb.625:                              ;   in Loop: Header=BB6_144 Depth=2
	s_or_saveexec_b32 s25, s25
	v_mov_b32_e32 v179, s24
	s_xor_b32 exec_lo, exec_lo, s25
	s_cbranch_execnz .LBB6_1409
.LBB6_626:                              ;   in Loop: Header=BB6_144 Depth=2
	s_or_b32 exec_lo, exec_lo, s25
	s_and_saveexec_b32 s24, s11
	s_cbranch_execz .LBB6_628
.LBB6_627:                              ;   in Loop: Header=BB6_144 Depth=2
	v_bfe_u32 v179, v35, 16, 2
	v_lshlrev_b32_e32 v183, 8, v35
	s_delay_alu instid0(VALU_DEP_2) | instskip(NEXT) | instid1(VALU_DEP_1)
	v_clz_i32_u32_e32 v181, v179
	v_min_u32_e32 v181, 32, v181
	s_delay_alu instid0(VALU_DEP_1) | instskip(SKIP_1) | instid1(VALU_DEP_2)
	v_subrev_nc_u32_e32 v182, 29, v181
	v_sub_nc_u32_e32 v181, 30, v181
	v_lshlrev_b32_e32 v180, v182, v180
	v_bfe_u32 v182, v35, 18, 5
	s_delay_alu instid0(VALU_DEP_1) | instskip(NEXT) | instid1(VALU_DEP_3)
	v_cmp_eq_u32_e32 vcc_lo, 0, v182
	v_dual_cndmask_b32 v181, v182, v181 :: v_dual_and_b32 v180, 3, v180
	s_delay_alu instid0(VALU_DEP_1) | instskip(NEXT) | instid1(VALU_DEP_2)
	v_dual_cndmask_b32 v179, v179, v180 :: v_dual_and_b32 v180, 0x80000000, v183
	v_lshl_add_u32 v181, v181, 23, 0x37800000
	s_delay_alu instid0(VALU_DEP_2) | instskip(NEXT) | instid1(VALU_DEP_1)
	v_lshlrev_b32_e32 v179, 21, v179
	v_or3_b32 v179, v180, v181, v179
.LBB6_628:                              ;   in Loop: Header=BB6_144 Depth=2
	s_or_b32 exec_lo, exec_lo, s24
	v_lshrrev_b32_e32 v180, 16, v29
	s_mov_b32 s11, 0
	s_mov_b32 s25, exec_lo
                                        ; implicit-def: $sgpr24
	s_delay_alu instid0(VALU_DEP_1) | instskip(NEXT) | instid1(VALU_DEP_1)
	v_and_b32_e32 v182, 0xff, v180
	v_cmpx_lt_i16_e64 0x7f, v182
	s_xor_b32 s25, exec_lo, s25
	s_cbranch_execnz .LBB6_1410
; %bb.629:                              ;   in Loop: Header=BB6_144 Depth=2
	s_or_saveexec_b32 s25, s25
	v_mov_b32_e32 v181, s24
	s_xor_b32 exec_lo, exec_lo, s25
	s_cbranch_execnz .LBB6_1413
.LBB6_630:                              ;   in Loop: Header=BB6_144 Depth=2
	s_or_b32 exec_lo, exec_lo, s25
	s_and_saveexec_b32 s24, s11
	s_cbranch_execz .LBB6_632
.LBB6_631:                              ;   in Loop: Header=BB6_144 Depth=2
	v_bfe_u32 v181, v29, 16, 2
	v_lshlrev_b32_e32 v40, 8, v29
	s_delay_alu instid0(VALU_DEP_2) | instskip(NEXT) | instid1(VALU_DEP_1)
	v_clz_i32_u32_e32 v182, v181
	v_min_u32_e32 v182, 32, v182
	s_delay_alu instid0(VALU_DEP_1) | instskip(SKIP_1) | instid1(VALU_DEP_2)
	v_subrev_nc_u32_e32 v183, 29, v182
	v_sub_nc_u32_e32 v182, 30, v182
	v_lshlrev_b32_e32 v180, v183, v180
	v_bfe_u32 v183, v29, 18, 5
	s_delay_alu instid0(VALU_DEP_2) | instskip(NEXT) | instid1(VALU_DEP_2)
	v_and_b32_e32 v180, 3, v180
	v_cmp_eq_u32_e32 vcc_lo, 0, v183
	v_cndmask_b32_e32 v182, v183, v182, vcc_lo
	s_delay_alu instid0(VALU_DEP_3) | instskip(SKIP_1) | instid1(VALU_DEP_3)
	v_cndmask_b32_e32 v180, v181, v180, vcc_lo
	v_and_b32_e32 v181, 0x80000000, v40
	v_lshl_add_u32 v182, v182, 23, 0x37800000
	s_delay_alu instid0(VALU_DEP_3) | instskip(NEXT) | instid1(VALU_DEP_1)
	v_lshlrev_b32_e32 v180, 21, v180
	v_or3_b32 v181, v181, v182, v180
.LBB6_632:                              ;   in Loop: Header=BB6_144 Depth=2
	s_or_b32 exec_lo, exec_lo, s24
	s_delay_alu instid0(VALU_DEP_1) | instskip(NEXT) | instid1(VALU_DEP_1)
	v_mul_f32_e32 v180, v179, v181
	v_and_b32_e32 v179, 0x7f800000, v180
	s_delay_alu instid0(VALU_DEP_1)
	v_cmp_ne_u32_e32 vcc_lo, 0x7f800000, v179
	v_mov_b32_e32 v179, 0x80
	s_and_saveexec_b32 s24, vcc_lo
	s_cbranch_execz .LBB6_640
; %bb.633:                              ;   in Loop: Header=BB6_144 Depth=2
	v_mov_b32_e32 v179, 0
	s_mov_b32 s25, exec_lo
	v_cmpx_ne_u32_e32 0, v180
	s_cbranch_execz .LBB6_639
; %bb.634:                              ;   in Loop: Header=BB6_144 Depth=2
	v_bfe_u32 v179, v180, 23, 8
	s_delay_alu instid0(VALU_DEP_1) | instskip(SKIP_1) | instid1(VALU_DEP_2)
	v_sub_nc_u32_e32 v182, 0x70, v179
	v_cmp_gt_u32_e32 vcc_lo, 0x71, v179
	v_dual_cndmask_b32 v182, 0, v182 :: v_dual_and_b32 v181, 0x7fffff, v180
	s_delay_alu instid0(VALU_DEP_1) | instskip(SKIP_2) | instid1(VALU_DEP_4)
	v_or_b32_e32 v183, 0x800000, v181
	v_cmp_eq_u32_e32 vcc_lo, 0, v179
	v_add_nc_u32_e32 v179, 0xffffff91, v179
	v_cndmask_b32_e64 v182, v182, 0x6f, vcc_lo
	s_delay_alu instid0(VALU_DEP_2) | instskip(SKIP_1) | instid1(VALU_DEP_3)
	v_cndmask_b32_e64 v179, v179, 0xffffff92, vcc_lo
	v_cndmask_b32_e32 v181, v183, v181, vcc_lo
	v_lshl_add_u32 v183, 0x200000, v182, -1
	v_lshlrev_b32_e64 v42, v182, 0x100000
	s_delay_alu instid0(VALU_DEP_3) | instskip(SKIP_1) | instid1(VALU_DEP_4)
	v_lshrrev_b32_e32 v40, v182, v181
	v_add_nc_u32_e32 v182, v182, v179
	v_and_b32_e32 v181, v183, v181
	s_delay_alu instid0(VALU_DEP_3) | instskip(NEXT) | instid1(VALU_DEP_2)
	v_bfe_u32 v41, v40, 21, 1
	v_cmp_eq_u32_e64 s11, v181, v42
	s_delay_alu instid0(VALU_DEP_2) | instskip(NEXT) | instid1(VALU_DEP_1)
	v_add_nc_u32_e32 v183, -1, v41
	v_cndmask_b32_e64 v181, 0, v183, s11
	v_lshrrev_b32_e32 v183, 23, v40
	s_mov_b32 s11, exec_lo
	s_delay_alu instid0(VALU_DEP_2) | instskip(NEXT) | instid1(VALU_DEP_2)
	v_add_nc_u32_e32 v181, v181, v40
	v_xor_b32_e32 v183, 1, v183
	s_delay_alu instid0(VALU_DEP_2) | instskip(NEXT) | instid1(VALU_DEP_1)
	v_and_b32_e32 v179, 0x1fffff, v181
	v_add_nc_u32_e32 v181, v179, v40
                                        ; implicit-def: $vgpr179
	s_delay_alu instid0(VALU_DEP_3)
	v_cmpx_ne_u32_e64 v182, v183
	s_xor_b32 s11, exec_lo, s11
; %bb.635:                              ;   in Loop: Header=BB6_144 Depth=2
	s_delay_alu instid0(VALU_DEP_2) | instskip(SKIP_2) | instid1(VALU_DEP_2)
	v_cmp_lt_u32_e32 vcc_lo, 0xffffff, v181
	v_sub_nc_u32_e32 v179, v182, v183
	v_cndmask_b32_e64 v182, 0, 1, vcc_lo
	v_add_co_ci_u32_e32 v179, vcc_lo, 0, v179, vcc_lo
	s_delay_alu instid0(VALU_DEP_2)
	v_lshrrev_b32_e32 v181, v182, v181
; %bb.636:                              ;   in Loop: Header=BB6_144 Depth=2
	s_and_not1_saveexec_b32 s11, s11
; %bb.637:                              ;   in Loop: Header=BB6_144 Depth=2
	s_delay_alu instid0(VALU_DEP_1)
	v_bfe_u32 v179, v181, 23, 1
; %bb.638:                              ;   in Loop: Header=BB6_144 Depth=2
	s_or_b32 exec_lo, exec_lo, s11
	v_lshrrev_b32_e32 v181, 21, v181
	s_delay_alu instid0(VALU_DEP_2) | instskip(SKIP_2) | instid1(VALU_DEP_2)
	v_cmp_gt_i32_e32 vcc_lo, 32, v179
	v_min_i32_e32 v182, 31, v179
	v_lshrrev_b32_e32 v180, 24, v180
	v_dual_cndmask_b32 v181, 3, v181 :: v_dual_lshlrev_b32 v182, 2, v182
	s_delay_alu instid0(VALU_DEP_2) | instskip(NEXT) | instid1(VALU_DEP_2)
	v_and_b32_e32 v180, 0x80, v180
	v_or_b32_e32 v179, v179, v181
	v_and_b32_e32 v183, 3, v181
	s_delay_alu instid0(VALU_DEP_2) | instskip(SKIP_1) | instid1(VALU_DEP_1)
	v_cmp_ne_u32_e32 vcc_lo, 0, v179
	v_and_b32_e32 v182, 0xfc, v182
	v_or3_b32 v180, v182, v180, v183
	s_delay_alu instid0(VALU_DEP_1)
	v_cndmask_b32_e32 v179, 0, v180, vcc_lo
.LBB6_639:                              ;   in Loop: Header=BB6_144 Depth=2
	s_or_b32 exec_lo, exec_lo, s25
.LBB6_640:                              ;   in Loop: Header=BB6_144 Depth=2
	s_delay_alu instid0(SALU_CYCLE_1) | instskip(SKIP_3) | instid1(VALU_DEP_1)
	s_or_b32 exec_lo, exec_lo, s24
	v_lshrrev_b32_e32 v181, 24, v35
	s_mov_b32 s11, 0
	s_mov_b32 s25, exec_lo
                                        ; implicit-def: $sgpr24
	v_cmpx_lt_i16_e64 0x7f, v181
	s_xor_b32 s25, exec_lo, s25
	s_cbranch_execnz .LBB6_1414
; %bb.641:                              ;   in Loop: Header=BB6_144 Depth=2
	s_or_saveexec_b32 s25, s25
	v_mov_b32_e32 v180, s24
	s_xor_b32 exec_lo, exec_lo, s25
	s_cbranch_execnz .LBB6_1417
.LBB6_642:                              ;   in Loop: Header=BB6_144 Depth=2
	s_or_b32 exec_lo, exec_lo, s25
	s_and_saveexec_b32 s24, s11
	s_cbranch_execz .LBB6_644
.LBB6_643:                              ;   in Loop: Header=BB6_144 Depth=2
	v_bfe_u32 v180, v35, 24, 2
	s_delay_alu instid0(VALU_DEP_1) | instskip(NEXT) | instid1(VALU_DEP_1)
	v_clz_i32_u32_e32 v182, v180
	v_min_u32_e32 v182, 32, v182
	s_delay_alu instid0(VALU_DEP_1) | instskip(SKIP_1) | instid1(VALU_DEP_2)
	v_subrev_nc_u32_e32 v183, 29, v182
	v_sub_nc_u32_e32 v182, 30, v182
	v_lshlrev_b32_e32 v181, v183, v181
	v_bfe_u32 v183, v35, 26, 5
	v_and_b32_e32 v35, 0x80000000, v35
	s_delay_alu instid0(VALU_DEP_2) | instskip(NEXT) | instid1(VALU_DEP_4)
	v_cmp_eq_u32_e32 vcc_lo, 0, v183
	v_dual_cndmask_b32 v182, v183, v182 :: v_dual_and_b32 v181, 3, v181
	s_delay_alu instid0(VALU_DEP_1) | instskip(NEXT) | instid1(VALU_DEP_2)
	v_cndmask_b32_e32 v180, v180, v181, vcc_lo
	v_lshl_add_u32 v181, v182, 23, 0x37800000
	s_delay_alu instid0(VALU_DEP_2) | instskip(NEXT) | instid1(VALU_DEP_1)
	v_lshlrev_b32_e32 v180, 21, v180
	v_or3_b32 v180, v35, v181, v180
.LBB6_644:                              ;   in Loop: Header=BB6_144 Depth=2
	s_or_b32 exec_lo, exec_lo, s24
	v_lshrrev_b32_e32 v35, 24, v29
	s_mov_b32 s11, 0
	s_mov_b32 s25, exec_lo
                                        ; implicit-def: $sgpr24
	s_delay_alu instid0(VALU_DEP_1)
	v_cmpx_lt_i16_e32 0x7f, v35
	s_xor_b32 s25, exec_lo, s25
	s_cbranch_execnz .LBB6_1418
; %bb.645:                              ;   in Loop: Header=BB6_144 Depth=2
	s_or_saveexec_b32 s25, s25
	v_mov_b32_e32 v181, s24
	s_xor_b32 exec_lo, exec_lo, s25
	s_cbranch_execnz .LBB6_1421
.LBB6_646:                              ;   in Loop: Header=BB6_144 Depth=2
	s_or_b32 exec_lo, exec_lo, s25
	s_and_saveexec_b32 s24, s11
	s_cbranch_execz .LBB6_648
.LBB6_647:                              ;   in Loop: Header=BB6_144 Depth=2
	v_bfe_u32 v181, v29, 24, 2
	s_delay_alu instid0(VALU_DEP_1) | instskip(NEXT) | instid1(VALU_DEP_1)
	v_clz_i32_u32_e32 v182, v181
	v_min_u32_e32 v182, 32, v182
	s_delay_alu instid0(VALU_DEP_1) | instskip(SKIP_1) | instid1(VALU_DEP_2)
	v_subrev_nc_u32_e32 v183, 29, v182
	v_sub_nc_u32_e32 v182, 30, v182
	v_lshlrev_b32_e32 v35, v183, v35
	v_bfe_u32 v183, v29, 26, 5
	v_and_b32_e32 v29, 0x80000000, v29
	s_delay_alu instid0(VALU_DEP_2) | instskip(NEXT) | instid1(VALU_DEP_4)
	v_cmp_eq_u32_e32 vcc_lo, 0, v183
	v_dual_cndmask_b32 v182, v183, v182 :: v_dual_and_b32 v35, 3, v35
	s_delay_alu instid0(VALU_DEP_1) | instskip(NEXT) | instid1(VALU_DEP_2)
	v_cndmask_b32_e32 v35, v181, v35, vcc_lo
	v_lshl_add_u32 v181, v182, 23, 0x37800000
	s_delay_alu instid0(VALU_DEP_2) | instskip(NEXT) | instid1(VALU_DEP_1)
	v_lshlrev_b32_e32 v35, 21, v35
	v_or3_b32 v181, v29, v181, v35
.LBB6_648:                              ;   in Loop: Header=BB6_144 Depth=2
	s_or_b32 exec_lo, exec_lo, s24
	s_delay_alu instid0(VALU_DEP_1) | instskip(NEXT) | instid1(VALU_DEP_1)
	v_mul_f32_e32 v35, v180, v181
	v_and_b32_e32 v29, 0x7f800000, v35
	s_delay_alu instid0(VALU_DEP_1)
	v_cmp_ne_u32_e32 vcc_lo, 0x7f800000, v29
	v_mov_b32_e32 v29, 0x8000
	s_and_saveexec_b32 s24, vcc_lo
	s_cbranch_execz .LBB6_656
; %bb.649:                              ;   in Loop: Header=BB6_144 Depth=2
	v_mov_b32_e32 v29, 0
	s_mov_b32 s25, exec_lo
	v_cmpx_ne_u32_e32 0, v35
	s_cbranch_execz .LBB6_655
; %bb.650:                              ;   in Loop: Header=BB6_144 Depth=2
	v_bfe_u32 v29, v35, 23, 8
	s_delay_alu instid0(VALU_DEP_1) | instskip(SKIP_1) | instid1(VALU_DEP_2)
	v_sub_nc_u32_e32 v181, 0x70, v29
	v_cmp_gt_u32_e32 vcc_lo, 0x71, v29
	v_dual_cndmask_b32 v181, 0, v181 :: v_dual_and_b32 v180, 0x7fffff, v35
	s_delay_alu instid0(VALU_DEP_1) | instskip(SKIP_2) | instid1(VALU_DEP_4)
	v_or_b32_e32 v182, 0x800000, v180
	v_cmp_eq_u32_e32 vcc_lo, 0, v29
	v_add_nc_u32_e32 v29, 0xffffff91, v29
	v_cndmask_b32_e64 v181, v181, 0x6f, vcc_lo
	s_delay_alu instid0(VALU_DEP_4) | instskip(NEXT) | instid1(VALU_DEP_3)
	v_cndmask_b32_e32 v180, v182, v180, vcc_lo
	v_cndmask_b32_e64 v29, v29, 0xffffff92, vcc_lo
	s_delay_alu instid0(VALU_DEP_3) | instskip(NEXT) | instid1(VALU_DEP_3)
	v_lshl_add_u32 v182, 0x200000, v181, -1
	v_lshrrev_b32_e32 v183, v181, v180
	v_lshlrev_b32_e64 v41, v181, 0x100000
	s_delay_alu instid0(VALU_DEP_4) | instskip(NEXT) | instid1(VALU_DEP_4)
	v_add_nc_u32_e32 v181, v181, v29
	v_and_b32_e32 v180, v182, v180
	s_delay_alu instid0(VALU_DEP_4) | instskip(NEXT) | instid1(VALU_DEP_2)
	v_bfe_u32 v40, v183, 21, 1
	v_cmp_eq_u32_e64 s11, v180, v41
	s_delay_alu instid0(VALU_DEP_2) | instskip(NEXT) | instid1(VALU_DEP_1)
	v_add_nc_u32_e32 v182, -1, v40
	v_cndmask_b32_e64 v180, 0, v182, s11
	v_lshrrev_b32_e32 v182, 23, v183
	s_mov_b32 s11, exec_lo
	s_delay_alu instid0(VALU_DEP_2) | instskip(NEXT) | instid1(VALU_DEP_2)
	v_add_nc_u32_e32 v180, v180, v183
	v_xor_b32_e32 v182, 1, v182
	s_delay_alu instid0(VALU_DEP_2) | instskip(NEXT) | instid1(VALU_DEP_1)
	v_and_b32_e32 v29, 0x1fffff, v180
	v_add_nc_u32_e32 v180, v29, v183
                                        ; implicit-def: $vgpr29
	s_delay_alu instid0(VALU_DEP_3)
	v_cmpx_ne_u32_e64 v181, v182
	s_xor_b32 s11, exec_lo, s11
; %bb.651:                              ;   in Loop: Header=BB6_144 Depth=2
	s_delay_alu instid0(VALU_DEP_2) | instskip(SKIP_2) | instid1(VALU_DEP_2)
	v_cmp_lt_u32_e32 vcc_lo, 0xffffff, v180
	v_sub_nc_u32_e32 v29, v181, v182
	v_cndmask_b32_e64 v181, 0, 1, vcc_lo
	v_add_co_ci_u32_e32 v29, vcc_lo, 0, v29, vcc_lo
	s_delay_alu instid0(VALU_DEP_2)
	v_lshrrev_b32_e32 v180, v181, v180
; %bb.652:                              ;   in Loop: Header=BB6_144 Depth=2
	s_and_not1_saveexec_b32 s11, s11
; %bb.653:                              ;   in Loop: Header=BB6_144 Depth=2
	s_delay_alu instid0(VALU_DEP_1)
	v_bfe_u32 v29, v180, 23, 1
; %bb.654:                              ;   in Loop: Header=BB6_144 Depth=2
	s_or_b32 exec_lo, exec_lo, s11
	v_lshrrev_b32_e32 v180, 21, v180
	s_delay_alu instid0(VALU_DEP_2) | instskip(SKIP_2) | instid1(VALU_DEP_2)
	v_cmp_gt_i32_e32 vcc_lo, 32, v29
	v_min_i32_e32 v181, 31, v29
	v_lshrrev_b32_e32 v35, 24, v35
	v_dual_cndmask_b32 v180, 3, v180 :: v_dual_lshlrev_b32 v181, 2, v181
	s_delay_alu instid0(VALU_DEP_2) | instskip(NEXT) | instid1(VALU_DEP_2)
	v_and_b32_e32 v35, 0x80, v35
	v_or_b32_e32 v29, v29, v180
	s_delay_alu instid0(VALU_DEP_3) | instskip(NEXT) | instid1(VALU_DEP_2)
	v_and_b32_e32 v181, 0xfc, v181
	v_cmp_ne_u32_e32 vcc_lo, 0, v29
	v_and_b32_e32 v182, 3, v180
	s_delay_alu instid0(VALU_DEP_1) | instskip(NEXT) | instid1(VALU_DEP_1)
	v_or3_b32 v35, v35, v181, v182
	v_lshlrev_b32_e32 v35, 8, v35
	s_delay_alu instid0(VALU_DEP_1)
	v_cndmask_b32_e32 v29, 0, v35, vcc_lo
.LBB6_655:                              ;   in Loop: Header=BB6_144 Depth=2
	s_or_b32 exec_lo, exec_lo, s25
.LBB6_656:                              ;   in Loop: Header=BB6_144 Depth=2
	s_delay_alu instid0(SALU_CYCLE_1) | instskip(SKIP_3) | instid1(VALU_DEP_1)
	s_or_b32 exec_lo, exec_lo, s24
	v_and_b32_e32 v180, 0xff, v22
	s_mov_b32 s11, 0
	s_mov_b32 s25, exec_lo
                                        ; implicit-def: $sgpr24
	v_cmpx_lt_i16_e64 0x7f, v180
	s_xor_b32 s25, exec_lo, s25
	s_cbranch_execnz .LBB6_1422
; %bb.657:                              ;   in Loop: Header=BB6_144 Depth=2
	s_or_saveexec_b32 s25, s25
	v_mov_b32_e32 v35, s24
	s_xor_b32 exec_lo, exec_lo, s25
	s_cbranch_execnz .LBB6_1425
.LBB6_658:                              ;   in Loop: Header=BB6_144 Depth=2
	s_or_b32 exec_lo, exec_lo, s25
	s_and_saveexec_b32 s24, s11
	s_cbranch_execz .LBB6_660
.LBB6_659:                              ;   in Loop: Header=BB6_144 Depth=2
	v_bfe_u32 v182, v22, 2, 5
	v_lshlrev_b32_e32 v183, 24, v22
	s_delay_alu instid0(VALU_DEP_2) | instskip(SKIP_1) | instid1(VALU_DEP_1)
	v_cmp_eq_u32_e32 vcc_lo, 0, v182
	v_and_b32_e32 v35, 3, v22
	v_clz_i32_u32_e32 v180, v35
	s_delay_alu instid0(VALU_DEP_1) | instskip(NEXT) | instid1(VALU_DEP_1)
	v_min_u32_e32 v180, 32, v180
	v_subrev_nc_u32_e32 v181, 29, v180
	v_sub_nc_u32_e32 v180, 30, v180
	s_delay_alu instid0(VALU_DEP_1) | instskip(NEXT) | instid1(VALU_DEP_1)
	v_dual_cndmask_b32 v180, v182, v180 :: v_dual_lshlrev_b32 v181, v181, v22
	v_and_b32_e32 v181, 3, v181
	s_delay_alu instid0(VALU_DEP_2) | instskip(NEXT) | instid1(VALU_DEP_2)
	v_lshl_add_u32 v180, v180, 23, 0x37800000
	v_cndmask_b32_e32 v35, v35, v181, vcc_lo
	v_and_b32_e32 v181, 0x80000000, v183
	s_delay_alu instid0(VALU_DEP_2) | instskip(NEXT) | instid1(VALU_DEP_1)
	v_lshlrev_b32_e32 v35, 21, v35
	v_or3_b32 v35, v181, v180, v35
.LBB6_660:                              ;   in Loop: Header=BB6_144 Depth=2
	s_or_b32 exec_lo, exec_lo, s24
	s_waitcnt vmcnt(1)
	v_and_b32_e32 v181, 0xff, v18
	s_mov_b32 s11, 0
	s_mov_b32 s25, exec_lo
                                        ; implicit-def: $sgpr24
	s_delay_alu instid0(VALU_DEP_1)
	v_cmpx_lt_i16_e64 0x7f, v181
	s_xor_b32 s25, exec_lo, s25
	s_cbranch_execnz .LBB6_1426
; %bb.661:                              ;   in Loop: Header=BB6_144 Depth=2
	s_or_saveexec_b32 s25, s25
	v_mov_b32_e32 v180, s24
	s_xor_b32 exec_lo, exec_lo, s25
	s_cbranch_execnz .LBB6_1429
.LBB6_662:                              ;   in Loop: Header=BB6_144 Depth=2
	s_or_b32 exec_lo, exec_lo, s25
	s_and_saveexec_b32 s24, s11
	s_cbranch_execz .LBB6_664
.LBB6_663:                              ;   in Loop: Header=BB6_144 Depth=2
	v_bfe_u32 v183, v18, 2, 5
	v_lshlrev_b32_e32 v40, 24, v18
	s_delay_alu instid0(VALU_DEP_2) | instskip(SKIP_1) | instid1(VALU_DEP_1)
	v_cmp_eq_u32_e32 vcc_lo, 0, v183
	v_and_b32_e32 v180, 3, v18
	v_clz_i32_u32_e32 v181, v180
	s_delay_alu instid0(VALU_DEP_1) | instskip(NEXT) | instid1(VALU_DEP_1)
	v_min_u32_e32 v181, 32, v181
	v_subrev_nc_u32_e32 v182, 29, v181
	v_sub_nc_u32_e32 v181, 30, v181
	s_delay_alu instid0(VALU_DEP_1) | instskip(NEXT) | instid1(VALU_DEP_1)
	v_dual_cndmask_b32 v181, v183, v181 :: v_dual_lshlrev_b32 v182, v182, v18
	v_and_b32_e32 v182, 3, v182
	s_delay_alu instid0(VALU_DEP_2) | instskip(NEXT) | instid1(VALU_DEP_2)
	v_lshl_add_u32 v181, v181, 23, 0x37800000
	v_cndmask_b32_e32 v180, v180, v182, vcc_lo
	v_and_b32_e32 v182, 0x80000000, v40
	s_delay_alu instid0(VALU_DEP_2) | instskip(NEXT) | instid1(VALU_DEP_1)
	v_lshlrev_b32_e32 v180, 21, v180
	v_or3_b32 v180, v182, v181, v180
.LBB6_664:                              ;   in Loop: Header=BB6_144 Depth=2
	s_or_b32 exec_lo, exec_lo, s24
	s_delay_alu instid0(VALU_DEP_1) | instskip(NEXT) | instid1(VALU_DEP_1)
	v_mul_f32_e32 v180, v35, v180
	v_and_b32_e32 v35, 0x7f800000, v180
	s_delay_alu instid0(VALU_DEP_1)
	v_cmp_ne_u32_e32 vcc_lo, 0x7f800000, v35
	v_mov_b32_e32 v35, 0x80
	s_and_saveexec_b32 s24, vcc_lo
	s_cbranch_execz .LBB6_672
; %bb.665:                              ;   in Loop: Header=BB6_144 Depth=2
	v_mov_b32_e32 v35, 0
	s_mov_b32 s25, exec_lo
	v_cmpx_ne_u32_e32 0, v180
	s_cbranch_execz .LBB6_671
; %bb.666:                              ;   in Loop: Header=BB6_144 Depth=2
	v_bfe_u32 v35, v180, 23, 8
	s_delay_alu instid0(VALU_DEP_1) | instskip(SKIP_1) | instid1(VALU_DEP_2)
	v_sub_nc_u32_e32 v182, 0x70, v35
	v_cmp_gt_u32_e32 vcc_lo, 0x71, v35
	v_dual_cndmask_b32 v182, 0, v182 :: v_dual_and_b32 v181, 0x7fffff, v180
	s_delay_alu instid0(VALU_DEP_1) | instskip(SKIP_2) | instid1(VALU_DEP_4)
	v_or_b32_e32 v183, 0x800000, v181
	v_cmp_eq_u32_e32 vcc_lo, 0, v35
	v_add_nc_u32_e32 v35, 0xffffff91, v35
	v_cndmask_b32_e64 v182, v182, 0x6f, vcc_lo
	s_delay_alu instid0(VALU_DEP_2) | instskip(SKIP_1) | instid1(VALU_DEP_3)
	v_cndmask_b32_e64 v35, v35, 0xffffff92, vcc_lo
	v_cndmask_b32_e32 v181, v183, v181, vcc_lo
	v_lshl_add_u32 v183, 0x200000, v182, -1
	v_lshlrev_b32_e64 v42, v182, 0x100000
	s_delay_alu instid0(VALU_DEP_3) | instskip(SKIP_1) | instid1(VALU_DEP_4)
	v_lshrrev_b32_e32 v40, v182, v181
	v_add_nc_u32_e32 v182, v182, v35
	v_and_b32_e32 v181, v183, v181
	s_delay_alu instid0(VALU_DEP_3) | instskip(NEXT) | instid1(VALU_DEP_2)
	v_bfe_u32 v41, v40, 21, 1
	v_cmp_eq_u32_e64 s11, v181, v42
	s_delay_alu instid0(VALU_DEP_2) | instskip(NEXT) | instid1(VALU_DEP_1)
	v_add_nc_u32_e32 v183, -1, v41
	v_cndmask_b32_e64 v181, 0, v183, s11
	v_lshrrev_b32_e32 v183, 23, v40
	s_mov_b32 s11, exec_lo
	s_delay_alu instid0(VALU_DEP_2) | instskip(NEXT) | instid1(VALU_DEP_2)
	v_add_nc_u32_e32 v181, v181, v40
	v_xor_b32_e32 v183, 1, v183
	s_delay_alu instid0(VALU_DEP_2) | instskip(NEXT) | instid1(VALU_DEP_1)
	v_and_b32_e32 v35, 0x1fffff, v181
	v_add_nc_u32_e32 v181, v35, v40
                                        ; implicit-def: $vgpr35
	s_delay_alu instid0(VALU_DEP_3)
	v_cmpx_ne_u32_e64 v182, v183
	s_xor_b32 s11, exec_lo, s11
; %bb.667:                              ;   in Loop: Header=BB6_144 Depth=2
	s_delay_alu instid0(VALU_DEP_2) | instskip(SKIP_2) | instid1(VALU_DEP_2)
	v_cmp_lt_u32_e32 vcc_lo, 0xffffff, v181
	v_sub_nc_u32_e32 v35, v182, v183
	v_cndmask_b32_e64 v182, 0, 1, vcc_lo
	v_add_co_ci_u32_e32 v35, vcc_lo, 0, v35, vcc_lo
	s_delay_alu instid0(VALU_DEP_2)
	v_lshrrev_b32_e32 v181, v182, v181
; %bb.668:                              ;   in Loop: Header=BB6_144 Depth=2
	s_and_not1_saveexec_b32 s11, s11
; %bb.669:                              ;   in Loop: Header=BB6_144 Depth=2
	s_delay_alu instid0(VALU_DEP_1)
	v_bfe_u32 v35, v181, 23, 1
; %bb.670:                              ;   in Loop: Header=BB6_144 Depth=2
	s_or_b32 exec_lo, exec_lo, s11
	v_lshrrev_b32_e32 v181, 21, v181
	s_delay_alu instid0(VALU_DEP_2) | instskip(SKIP_2) | instid1(VALU_DEP_2)
	v_cmp_gt_i32_e32 vcc_lo, 32, v35
	v_lshrrev_b32_e32 v180, 24, v180
	v_min_i32_e32 v182, 31, v35
	v_dual_cndmask_b32 v181, 3, v181 :: v_dual_and_b32 v180, 0x80, v180
	s_delay_alu instid0(VALU_DEP_1) | instskip(SKIP_1) | instid1(VALU_DEP_2)
	v_or_b32_e32 v35, v35, v181
	v_and_b32_e32 v183, 3, v181
	v_cmp_ne_u32_e32 vcc_lo, 0, v35
	v_lshlrev_b32_e32 v182, 2, v182
	s_delay_alu instid0(VALU_DEP_1) | instskip(NEXT) | instid1(VALU_DEP_1)
	v_or3_b32 v180, v182, v180, v183
	v_cndmask_b32_e32 v35, 0, v180, vcc_lo
.LBB6_671:                              ;   in Loop: Header=BB6_144 Depth=2
	s_or_b32 exec_lo, exec_lo, s25
.LBB6_672:                              ;   in Loop: Header=BB6_144 Depth=2
	s_delay_alu instid0(SALU_CYCLE_1) | instskip(SKIP_3) | instid1(VALU_DEP_1)
	s_or_b32 exec_lo, exec_lo, s24
	v_lshrrev_b16 v181, 8, v22
	s_mov_b32 s11, 0
	s_mov_b32 s25, exec_lo
                                        ; implicit-def: $sgpr24
	v_cmpx_lt_i16_e64 0x7f, v181
	s_xor_b32 s25, exec_lo, s25
	s_cbranch_execnz .LBB6_1430
; %bb.673:                              ;   in Loop: Header=BB6_144 Depth=2
	s_or_saveexec_b32 s25, s25
	v_mov_b32_e32 v180, s24
	s_xor_b32 exec_lo, exec_lo, s25
	s_cbranch_execnz .LBB6_1433
.LBB6_674:                              ;   in Loop: Header=BB6_144 Depth=2
	s_or_b32 exec_lo, exec_lo, s25
	s_and_saveexec_b32 s24, s11
	s_cbranch_execz .LBB6_676
.LBB6_675:                              ;   in Loop: Header=BB6_144 Depth=2
	v_and_b32_e32 v180, 0xffff, v181
	s_delay_alu instid0(VALU_DEP_1) | instskip(NEXT) | instid1(VALU_DEP_1)
	v_and_b32_e32 v182, 3, v180
	v_clz_i32_u32_e32 v183, v182
	s_delay_alu instid0(VALU_DEP_1) | instskip(NEXT) | instid1(VALU_DEP_1)
	v_min_u32_e32 v183, 32, v183
	v_subrev_nc_u32_e32 v40, 29, v183
	v_sub_nc_u32_e32 v183, 30, v183
	s_delay_alu instid0(VALU_DEP_2) | instskip(SKIP_1) | instid1(VALU_DEP_2)
	v_lshlrev_b32_e32 v40, v40, v180
	v_bfe_u32 v180, v180, 2, 5
	v_and_b32_e32 v40, 3, v40
	s_delay_alu instid0(VALU_DEP_2) | instskip(SKIP_1) | instid1(VALU_DEP_1)
	v_cmp_eq_u32_e32 vcc_lo, 0, v180
	v_dual_cndmask_b32 v180, v180, v183 :: v_dual_lshlrev_b32 v181, 24, v181
	v_dual_cndmask_b32 v182, v182, v40 :: v_dual_and_b32 v181, 0x80000000, v181
	s_delay_alu instid0(VALU_DEP_2) | instskip(NEXT) | instid1(VALU_DEP_2)
	v_lshl_add_u32 v180, v180, 23, 0x37800000
	v_lshlrev_b32_e32 v182, 21, v182
	s_delay_alu instid0(VALU_DEP_1)
	v_or3_b32 v180, v181, v180, v182
.LBB6_676:                              ;   in Loop: Header=BB6_144 Depth=2
	s_or_b32 exec_lo, exec_lo, s24
	v_lshrrev_b16 v181, 8, v18
	s_mov_b32 s11, 0
	s_mov_b32 s25, exec_lo
                                        ; implicit-def: $sgpr24
	s_delay_alu instid0(VALU_DEP_1)
	v_cmpx_lt_i16_e64 0x7f, v181
	s_xor_b32 s25, exec_lo, s25
	s_cbranch_execnz .LBB6_1434
; %bb.677:                              ;   in Loop: Header=BB6_144 Depth=2
	s_or_saveexec_b32 s25, s25
	v_mov_b32_e32 v182, s24
	s_xor_b32 exec_lo, exec_lo, s25
	s_cbranch_execnz .LBB6_1437
.LBB6_678:                              ;   in Loop: Header=BB6_144 Depth=2
	s_or_b32 exec_lo, exec_lo, s25
	s_and_saveexec_b32 s24, s11
	s_cbranch_execz .LBB6_680
.LBB6_679:                              ;   in Loop: Header=BB6_144 Depth=2
	v_and_b32_e32 v182, 0xffff, v181
	v_lshlrev_b32_e32 v181, 24, v181
	s_delay_alu instid0(VALU_DEP_2) | instskip(NEXT) | instid1(VALU_DEP_2)
	v_and_b32_e32 v183, 3, v182
	v_and_b32_e32 v181, 0x80000000, v181
	s_delay_alu instid0(VALU_DEP_2) | instskip(NEXT) | instid1(VALU_DEP_1)
	v_clz_i32_u32_e32 v40, v183
	v_min_u32_e32 v40, 32, v40
	s_delay_alu instid0(VALU_DEP_1) | instskip(SKIP_1) | instid1(VALU_DEP_2)
	v_subrev_nc_u32_e32 v41, 29, v40
	v_sub_nc_u32_e32 v40, 30, v40
	v_lshlrev_b32_e32 v41, v41, v182
	v_bfe_u32 v182, v182, 2, 5
	s_delay_alu instid0(VALU_DEP_2) | instskip(NEXT) | instid1(VALU_DEP_2)
	v_and_b32_e32 v41, 3, v41
	v_cmp_eq_u32_e32 vcc_lo, 0, v182
	s_delay_alu instid0(VALU_DEP_2) | instskip(NEXT) | instid1(VALU_DEP_1)
	v_dual_cndmask_b32 v182, v182, v40 :: v_dual_cndmask_b32 v183, v183, v41
	v_lshl_add_u32 v182, v182, 23, 0x37800000
	s_delay_alu instid0(VALU_DEP_2) | instskip(NEXT) | instid1(VALU_DEP_1)
	v_lshlrev_b32_e32 v183, 21, v183
	v_or3_b32 v182, v181, v182, v183
.LBB6_680:                              ;   in Loop: Header=BB6_144 Depth=2
	s_or_b32 exec_lo, exec_lo, s24
	s_delay_alu instid0(VALU_DEP_1) | instskip(NEXT) | instid1(VALU_DEP_1)
	v_mul_f32_e32 v181, v180, v182
	v_and_b32_e32 v180, 0x7f800000, v181
	s_delay_alu instid0(VALU_DEP_1)
	v_cmp_ne_u32_e32 vcc_lo, 0x7f800000, v180
	v_mov_b32_e32 v180, 0x80
	s_and_saveexec_b32 s24, vcc_lo
	s_cbranch_execz .LBB6_688
; %bb.681:                              ;   in Loop: Header=BB6_144 Depth=2
	v_mov_b32_e32 v180, 0
	s_mov_b32 s25, exec_lo
	v_cmpx_ne_u32_e32 0, v181
	s_cbranch_execz .LBB6_687
; %bb.682:                              ;   in Loop: Header=BB6_144 Depth=2
	v_bfe_u32 v180, v181, 23, 8
	s_delay_alu instid0(VALU_DEP_1) | instskip(SKIP_1) | instid1(VALU_DEP_2)
	v_sub_nc_u32_e32 v183, 0x70, v180
	v_cmp_gt_u32_e32 vcc_lo, 0x71, v180
	v_dual_cndmask_b32 v183, 0, v183 :: v_dual_and_b32 v182, 0x7fffff, v181
	s_delay_alu instid0(VALU_DEP_1) | instskip(SKIP_2) | instid1(VALU_DEP_4)
	v_or_b32_e32 v40, 0x800000, v182
	v_cmp_eq_u32_e32 vcc_lo, 0, v180
	v_add_nc_u32_e32 v180, 0xffffff91, v180
	v_cndmask_b32_e64 v183, v183, 0x6f, vcc_lo
	s_delay_alu instid0(VALU_DEP_2) | instskip(SKIP_1) | instid1(VALU_DEP_3)
	v_cndmask_b32_e64 v180, v180, 0xffffff92, vcc_lo
	v_cndmask_b32_e32 v182, v40, v182, vcc_lo
	v_lshl_add_u32 v40, 0x200000, v183, -1
	v_lshlrev_b32_e64 v43, v183, 0x100000
	s_delay_alu instid0(VALU_DEP_3) | instskip(SKIP_1) | instid1(VALU_DEP_4)
	v_lshrrev_b32_e32 v41, v183, v182
	v_add_nc_u32_e32 v183, v183, v180
	v_and_b32_e32 v182, v40, v182
	s_delay_alu instid0(VALU_DEP_3) | instskip(NEXT) | instid1(VALU_DEP_2)
	v_bfe_u32 v42, v41, 21, 1
	v_cmp_eq_u32_e64 s11, v182, v43
	s_delay_alu instid0(VALU_DEP_2) | instskip(NEXT) | instid1(VALU_DEP_1)
	v_add_nc_u32_e32 v40, -1, v42
	v_cndmask_b32_e64 v182, 0, v40, s11
	v_lshrrev_b32_e32 v40, 23, v41
	s_mov_b32 s11, exec_lo
	s_delay_alu instid0(VALU_DEP_2) | instskip(NEXT) | instid1(VALU_DEP_2)
	v_add_nc_u32_e32 v182, v182, v41
	v_xor_b32_e32 v40, 1, v40
	s_delay_alu instid0(VALU_DEP_2) | instskip(NEXT) | instid1(VALU_DEP_1)
	v_and_b32_e32 v180, 0x1fffff, v182
	v_add_nc_u32_e32 v182, v180, v41
                                        ; implicit-def: $vgpr180
	s_delay_alu instid0(VALU_DEP_3)
	v_cmpx_ne_u32_e64 v183, v40
	s_xor_b32 s11, exec_lo, s11
; %bb.683:                              ;   in Loop: Header=BB6_144 Depth=2
	s_delay_alu instid0(VALU_DEP_2) | instskip(SKIP_2) | instid1(VALU_DEP_2)
	v_cmp_lt_u32_e32 vcc_lo, 0xffffff, v182
	v_sub_nc_u32_e32 v180, v183, v40
	v_cndmask_b32_e64 v183, 0, 1, vcc_lo
	v_add_co_ci_u32_e32 v180, vcc_lo, 0, v180, vcc_lo
	s_delay_alu instid0(VALU_DEP_2)
	v_lshrrev_b32_e32 v182, v183, v182
; %bb.684:                              ;   in Loop: Header=BB6_144 Depth=2
	s_and_not1_saveexec_b32 s11, s11
; %bb.685:                              ;   in Loop: Header=BB6_144 Depth=2
	s_delay_alu instid0(VALU_DEP_1)
	v_bfe_u32 v180, v182, 23, 1
; %bb.686:                              ;   in Loop: Header=BB6_144 Depth=2
	s_or_b32 exec_lo, exec_lo, s11
	v_lshrrev_b32_e32 v182, 21, v182
	s_delay_alu instid0(VALU_DEP_2) | instskip(SKIP_2) | instid1(VALU_DEP_2)
	v_cmp_gt_i32_e32 vcc_lo, 32, v180
	v_lshrrev_b32_e32 v181, 24, v181
	v_min_i32_e32 v183, 31, v180
	v_dual_cndmask_b32 v182, 3, v182 :: v_dual_and_b32 v181, 0x80, v181
	s_delay_alu instid0(VALU_DEP_1) | instskip(SKIP_1) | instid1(VALU_DEP_2)
	v_or_b32_e32 v180, v180, v182
	v_and_b32_e32 v40, 3, v182
	v_cmp_ne_u32_e32 vcc_lo, 0, v180
	v_lshlrev_b32_e32 v183, 2, v183
	s_delay_alu instid0(VALU_DEP_1) | instskip(NEXT) | instid1(VALU_DEP_1)
	v_or3_b32 v181, v183, v181, v40
	v_cndmask_b32_e32 v180, 0, v181, vcc_lo
.LBB6_687:                              ;   in Loop: Header=BB6_144 Depth=2
	s_or_b32 exec_lo, exec_lo, s25
.LBB6_688:                              ;   in Loop: Header=BB6_144 Depth=2
	s_delay_alu instid0(SALU_CYCLE_1) | instskip(SKIP_3) | instid1(VALU_DEP_1)
	s_or_b32 exec_lo, exec_lo, s24
	v_lshrrev_b32_e32 v182, 16, v22
	s_mov_b32 s11, 0
	s_mov_b32 s25, exec_lo
                                        ; implicit-def: $sgpr24
	v_and_b32_e32 v183, 0xff, v182
	s_delay_alu instid0(VALU_DEP_1)
	v_cmpx_lt_i16_e64 0x7f, v183
	s_xor_b32 s25, exec_lo, s25
	s_cbranch_execnz .LBB6_1438
; %bb.689:                              ;   in Loop: Header=BB6_144 Depth=2
	s_or_saveexec_b32 s25, s25
	v_mov_b32_e32 v181, s24
	s_xor_b32 exec_lo, exec_lo, s25
	s_cbranch_execnz .LBB6_1441
.LBB6_690:                              ;   in Loop: Header=BB6_144 Depth=2
	s_or_b32 exec_lo, exec_lo, s25
	s_and_saveexec_b32 s24, s11
	s_cbranch_execz .LBB6_692
.LBB6_691:                              ;   in Loop: Header=BB6_144 Depth=2
	v_bfe_u32 v181, v22, 16, 2
	v_lshlrev_b32_e32 v41, 8, v22
	s_delay_alu instid0(VALU_DEP_2) | instskip(NEXT) | instid1(VALU_DEP_1)
	v_clz_i32_u32_e32 v183, v181
	v_min_u32_e32 v183, 32, v183
	s_delay_alu instid0(VALU_DEP_1) | instskip(SKIP_1) | instid1(VALU_DEP_2)
	v_subrev_nc_u32_e32 v40, 29, v183
	v_sub_nc_u32_e32 v183, 30, v183
	v_lshlrev_b32_e32 v182, v40, v182
	v_bfe_u32 v40, v22, 18, 5
	s_delay_alu instid0(VALU_DEP_1) | instskip(NEXT) | instid1(VALU_DEP_3)
	v_cmp_eq_u32_e32 vcc_lo, 0, v40
	v_dual_cndmask_b32 v183, v40, v183 :: v_dual_and_b32 v182, 3, v182
	s_delay_alu instid0(VALU_DEP_1) | instskip(NEXT) | instid1(VALU_DEP_2)
	v_dual_cndmask_b32 v181, v181, v182 :: v_dual_and_b32 v182, 0x80000000, v41
	v_lshl_add_u32 v183, v183, 23, 0x37800000
	s_delay_alu instid0(VALU_DEP_2) | instskip(NEXT) | instid1(VALU_DEP_1)
	v_lshlrev_b32_e32 v181, 21, v181
	v_or3_b32 v181, v182, v183, v181
.LBB6_692:                              ;   in Loop: Header=BB6_144 Depth=2
	s_or_b32 exec_lo, exec_lo, s24
	v_lshrrev_b32_e32 v182, 16, v18
	s_mov_b32 s11, 0
	s_mov_b32 s25, exec_lo
                                        ; implicit-def: $sgpr24
	s_delay_alu instid0(VALU_DEP_1) | instskip(NEXT) | instid1(VALU_DEP_1)
	v_and_b32_e32 v40, 0xff, v182
	v_cmpx_lt_i16_e32 0x7f, v40
	s_xor_b32 s25, exec_lo, s25
	s_cbranch_execnz .LBB6_1442
; %bb.693:                              ;   in Loop: Header=BB6_144 Depth=2
	s_or_saveexec_b32 s25, s25
	v_mov_b32_e32 v183, s24
	s_xor_b32 exec_lo, exec_lo, s25
	s_cbranch_execnz .LBB6_1445
.LBB6_694:                              ;   in Loop: Header=BB6_144 Depth=2
	s_or_b32 exec_lo, exec_lo, s25
	s_and_saveexec_b32 s24, s11
	s_cbranch_execz .LBB6_696
.LBB6_695:                              ;   in Loop: Header=BB6_144 Depth=2
	v_bfe_u32 v183, v18, 16, 2
	v_lshlrev_b32_e32 v42, 8, v18
	s_delay_alu instid0(VALU_DEP_2) | instskip(NEXT) | instid1(VALU_DEP_1)
	v_clz_i32_u32_e32 v40, v183
	v_min_u32_e32 v40, 32, v40
	s_delay_alu instid0(VALU_DEP_1) | instskip(SKIP_1) | instid1(VALU_DEP_2)
	v_subrev_nc_u32_e32 v41, 29, v40
	v_sub_nc_u32_e32 v40, 30, v40
	v_lshlrev_b32_e32 v182, v41, v182
	v_bfe_u32 v41, v18, 18, 5
	s_delay_alu instid0(VALU_DEP_2) | instskip(NEXT) | instid1(VALU_DEP_2)
	v_and_b32_e32 v182, 3, v182
	v_cmp_eq_u32_e32 vcc_lo, 0, v41
	v_cndmask_b32_e32 v40, v41, v40, vcc_lo
	s_delay_alu instid0(VALU_DEP_3) | instskip(SKIP_1) | instid1(VALU_DEP_3)
	v_cndmask_b32_e32 v182, v183, v182, vcc_lo
	v_and_b32_e32 v183, 0x80000000, v42
	v_lshl_add_u32 v40, v40, 23, 0x37800000
	s_delay_alu instid0(VALU_DEP_3) | instskip(NEXT) | instid1(VALU_DEP_1)
	v_lshlrev_b32_e32 v182, 21, v182
	v_or3_b32 v183, v183, v40, v182
.LBB6_696:                              ;   in Loop: Header=BB6_144 Depth=2
	s_or_b32 exec_lo, exec_lo, s24
	s_delay_alu instid0(VALU_DEP_1) | instskip(NEXT) | instid1(VALU_DEP_1)
	v_mul_f32_e32 v182, v181, v183
	v_and_b32_e32 v181, 0x7f800000, v182
	s_delay_alu instid0(VALU_DEP_1)
	v_cmp_ne_u32_e32 vcc_lo, 0x7f800000, v181
	v_mov_b32_e32 v181, 0x80
	s_and_saveexec_b32 s24, vcc_lo
	s_cbranch_execz .LBB6_704
; %bb.697:                              ;   in Loop: Header=BB6_144 Depth=2
	v_mov_b32_e32 v181, 0
	s_mov_b32 s25, exec_lo
	v_cmpx_ne_u32_e32 0, v182
	s_cbranch_execz .LBB6_703
; %bb.698:                              ;   in Loop: Header=BB6_144 Depth=2
	v_bfe_u32 v181, v182, 23, 8
	s_delay_alu instid0(VALU_DEP_1) | instskip(SKIP_1) | instid1(VALU_DEP_2)
	v_sub_nc_u32_e32 v40, 0x70, v181
	v_cmp_gt_u32_e32 vcc_lo, 0x71, v181
	v_dual_cndmask_b32 v40, 0, v40 :: v_dual_and_b32 v183, 0x7fffff, v182
	s_delay_alu instid0(VALU_DEP_1) | instskip(SKIP_2) | instid1(VALU_DEP_4)
	v_or_b32_e32 v41, 0x800000, v183
	v_cmp_eq_u32_e32 vcc_lo, 0, v181
	v_add_nc_u32_e32 v181, 0xffffff91, v181
	v_cndmask_b32_e64 v40, v40, 0x6f, vcc_lo
	s_delay_alu instid0(VALU_DEP_2) | instskip(SKIP_1) | instid1(VALU_DEP_3)
	v_cndmask_b32_e64 v181, v181, 0xffffff92, vcc_lo
	v_cndmask_b32_e32 v183, v41, v183, vcc_lo
	v_lshl_add_u32 v41, 0x200000, v40, -1
	v_lshlrev_b32_e64 v44, v40, 0x100000
	s_delay_alu instid0(VALU_DEP_3) | instskip(SKIP_1) | instid1(VALU_DEP_4)
	v_lshrrev_b32_e32 v42, v40, v183
	v_add_nc_u32_e32 v40, v40, v181
	v_and_b32_e32 v183, v41, v183
	s_delay_alu instid0(VALU_DEP_3) | instskip(NEXT) | instid1(VALU_DEP_2)
	v_bfe_u32 v43, v42, 21, 1
	v_cmp_eq_u32_e64 s11, v183, v44
	s_delay_alu instid0(VALU_DEP_2) | instskip(NEXT) | instid1(VALU_DEP_1)
	v_add_nc_u32_e32 v41, -1, v43
	v_cndmask_b32_e64 v183, 0, v41, s11
	v_lshrrev_b32_e32 v41, 23, v42
	s_mov_b32 s11, exec_lo
	s_delay_alu instid0(VALU_DEP_2) | instskip(NEXT) | instid1(VALU_DEP_2)
	v_add_nc_u32_e32 v183, v183, v42
	v_xor_b32_e32 v41, 1, v41
	s_delay_alu instid0(VALU_DEP_2) | instskip(NEXT) | instid1(VALU_DEP_1)
	v_and_b32_e32 v181, 0x1fffff, v183
	v_add_nc_u32_e32 v183, v181, v42
                                        ; implicit-def: $vgpr181
	s_delay_alu instid0(VALU_DEP_3)
	v_cmpx_ne_u32_e64 v40, v41
	s_xor_b32 s11, exec_lo, s11
; %bb.699:                              ;   in Loop: Header=BB6_144 Depth=2
	s_delay_alu instid0(VALU_DEP_2) | instskip(SKIP_2) | instid1(VALU_DEP_2)
	v_cmp_lt_u32_e32 vcc_lo, 0xffffff, v183
	v_sub_nc_u32_e32 v181, v40, v41
	v_cndmask_b32_e64 v40, 0, 1, vcc_lo
	v_add_co_ci_u32_e32 v181, vcc_lo, 0, v181, vcc_lo
	s_delay_alu instid0(VALU_DEP_2)
	v_lshrrev_b32_e32 v183, v40, v183
; %bb.700:                              ;   in Loop: Header=BB6_144 Depth=2
	s_and_not1_saveexec_b32 s11, s11
; %bb.701:                              ;   in Loop: Header=BB6_144 Depth=2
	s_delay_alu instid0(VALU_DEP_1)
	v_bfe_u32 v181, v183, 23, 1
; %bb.702:                              ;   in Loop: Header=BB6_144 Depth=2
	s_or_b32 exec_lo, exec_lo, s11
	v_lshrrev_b32_e32 v183, 21, v183
	s_delay_alu instid0(VALU_DEP_2) | instskip(SKIP_2) | instid1(VALU_DEP_2)
	v_cmp_gt_i32_e32 vcc_lo, 32, v181
	v_lshrrev_b32_e32 v182, 24, v182
	v_min_i32_e32 v40, 31, v181
	v_dual_cndmask_b32 v183, 3, v183 :: v_dual_and_b32 v182, 0x80, v182
	s_delay_alu instid0(VALU_DEP_1) | instskip(SKIP_1) | instid1(VALU_DEP_2)
	v_or_b32_e32 v181, v181, v183
	v_and_b32_e32 v41, 3, v183
	v_cmp_ne_u32_e32 vcc_lo, 0, v181
	v_lshlrev_b32_e32 v40, 2, v40
	s_delay_alu instid0(VALU_DEP_1) | instskip(NEXT) | instid1(VALU_DEP_1)
	v_or3_b32 v182, v40, v182, v41
	v_cndmask_b32_e32 v181, 0, v182, vcc_lo
.LBB6_703:                              ;   in Loop: Header=BB6_144 Depth=2
	s_or_b32 exec_lo, exec_lo, s25
.LBB6_704:                              ;   in Loop: Header=BB6_144 Depth=2
	s_delay_alu instid0(SALU_CYCLE_1) | instskip(SKIP_3) | instid1(VALU_DEP_1)
	s_or_b32 exec_lo, exec_lo, s24
	v_lshrrev_b32_e32 v183, 24, v22
	s_mov_b32 s11, 0
	s_mov_b32 s25, exec_lo
                                        ; implicit-def: $sgpr24
	v_cmpx_lt_i16_e64 0x7f, v183
	s_xor_b32 s25, exec_lo, s25
	s_cbranch_execnz .LBB6_1446
; %bb.705:                              ;   in Loop: Header=BB6_144 Depth=2
	s_or_saveexec_b32 s25, s25
	v_mov_b32_e32 v182, s24
	s_xor_b32 exec_lo, exec_lo, s25
	s_cbranch_execnz .LBB6_1449
.LBB6_706:                              ;   in Loop: Header=BB6_144 Depth=2
	s_or_b32 exec_lo, exec_lo, s25
	s_and_saveexec_b32 s24, s11
	s_cbranch_execz .LBB6_708
.LBB6_707:                              ;   in Loop: Header=BB6_144 Depth=2
	v_bfe_u32 v182, v22, 24, 2
	s_delay_alu instid0(VALU_DEP_1) | instskip(NEXT) | instid1(VALU_DEP_1)
	v_clz_i32_u32_e32 v40, v182
	v_min_u32_e32 v40, 32, v40
	s_delay_alu instid0(VALU_DEP_1) | instskip(SKIP_1) | instid1(VALU_DEP_2)
	v_subrev_nc_u32_e32 v41, 29, v40
	v_sub_nc_u32_e32 v40, 30, v40
	v_lshlrev_b32_e32 v183, v41, v183
	v_bfe_u32 v41, v22, 26, 5
	v_and_b32_e32 v22, 0x80000000, v22
	s_delay_alu instid0(VALU_DEP_2) | instskip(NEXT) | instid1(VALU_DEP_4)
	v_cmp_eq_u32_e32 vcc_lo, 0, v41
	v_dual_cndmask_b32 v40, v41, v40 :: v_dual_and_b32 v183, 3, v183
	s_delay_alu instid0(VALU_DEP_1) | instskip(NEXT) | instid1(VALU_DEP_2)
	v_cndmask_b32_e32 v182, v182, v183, vcc_lo
	v_lshl_add_u32 v183, v40, 23, 0x37800000
	s_delay_alu instid0(VALU_DEP_2) | instskip(NEXT) | instid1(VALU_DEP_1)
	v_lshlrev_b32_e32 v182, 21, v182
	v_or3_b32 v182, v22, v183, v182
.LBB6_708:                              ;   in Loop: Header=BB6_144 Depth=2
	s_or_b32 exec_lo, exec_lo, s24
	v_lshrrev_b32_e32 v22, 24, v18
	s_mov_b32 s11, 0
	s_mov_b32 s25, exec_lo
                                        ; implicit-def: $sgpr24
	s_delay_alu instid0(VALU_DEP_1)
	v_cmpx_lt_i16_e32 0x7f, v22
	s_xor_b32 s25, exec_lo, s25
	s_cbranch_execnz .LBB6_1450
; %bb.709:                              ;   in Loop: Header=BB6_144 Depth=2
	s_or_saveexec_b32 s25, s25
	v_mov_b32_e32 v183, s24
	s_xor_b32 exec_lo, exec_lo, s25
	s_cbranch_execnz .LBB6_1453
.LBB6_710:                              ;   in Loop: Header=BB6_144 Depth=2
	s_or_b32 exec_lo, exec_lo, s25
	s_and_saveexec_b32 s24, s11
	s_cbranch_execz .LBB6_712
.LBB6_711:                              ;   in Loop: Header=BB6_144 Depth=2
	v_bfe_u32 v183, v18, 24, 2
	s_delay_alu instid0(VALU_DEP_1) | instskip(NEXT) | instid1(VALU_DEP_1)
	v_clz_i32_u32_e32 v40, v183
	v_min_u32_e32 v40, 32, v40
	s_delay_alu instid0(VALU_DEP_1) | instskip(SKIP_1) | instid1(VALU_DEP_2)
	v_subrev_nc_u32_e32 v41, 29, v40
	v_sub_nc_u32_e32 v40, 30, v40
	v_lshlrev_b32_e32 v22, v41, v22
	v_bfe_u32 v41, v18, 26, 5
	v_and_b32_e32 v18, 0x80000000, v18
	s_delay_alu instid0(VALU_DEP_3) | instskip(NEXT) | instid1(VALU_DEP_3)
	v_and_b32_e32 v22, 3, v22
	v_cmp_eq_u32_e32 vcc_lo, 0, v41
	v_cndmask_b32_e32 v40, v41, v40, vcc_lo
	s_delay_alu instid0(VALU_DEP_3) | instskip(NEXT) | instid1(VALU_DEP_2)
	v_cndmask_b32_e32 v22, v183, v22, vcc_lo
	v_lshl_add_u32 v183, v40, 23, 0x37800000
	s_delay_alu instid0(VALU_DEP_2) | instskip(NEXT) | instid1(VALU_DEP_1)
	v_lshlrev_b32_e32 v22, 21, v22
	v_or3_b32 v183, v18, v183, v22
.LBB6_712:                              ;   in Loop: Header=BB6_144 Depth=2
	s_or_b32 exec_lo, exec_lo, s24
	s_delay_alu instid0(VALU_DEP_1) | instskip(NEXT) | instid1(VALU_DEP_1)
	v_mul_f32_e32 v22, v182, v183
	v_and_b32_e32 v18, 0x7f800000, v22
	s_delay_alu instid0(VALU_DEP_1)
	v_cmp_ne_u32_e32 vcc_lo, 0x7f800000, v18
	v_mov_b32_e32 v18, 0x80
	s_and_saveexec_b32 s24, vcc_lo
	s_cbranch_execz .LBB6_720
; %bb.713:                              ;   in Loop: Header=BB6_144 Depth=2
	v_mov_b32_e32 v18, 0
	s_mov_b32 s25, exec_lo
	v_cmpx_ne_u32_e32 0, v22
	s_cbranch_execz .LBB6_719
; %bb.714:                              ;   in Loop: Header=BB6_144 Depth=2
	v_bfe_u32 v18, v22, 23, 8
	s_delay_alu instid0(VALU_DEP_1) | instskip(SKIP_1) | instid1(VALU_DEP_2)
	v_sub_nc_u32_e32 v183, 0x70, v18
	v_cmp_gt_u32_e32 vcc_lo, 0x71, v18
	v_dual_cndmask_b32 v183, 0, v183 :: v_dual_and_b32 v182, 0x7fffff, v22
	s_delay_alu instid0(VALU_DEP_1) | instskip(SKIP_2) | instid1(VALU_DEP_4)
	v_or_b32_e32 v40, 0x800000, v182
	v_cmp_eq_u32_e32 vcc_lo, 0, v18
	v_add_nc_u32_e32 v18, 0xffffff91, v18
	v_cndmask_b32_e64 v183, v183, 0x6f, vcc_lo
	s_delay_alu instid0(VALU_DEP_4) | instskip(NEXT) | instid1(VALU_DEP_3)
	v_cndmask_b32_e32 v182, v40, v182, vcc_lo
	v_cndmask_b32_e64 v18, v18, 0xffffff92, vcc_lo
	s_delay_alu instid0(VALU_DEP_3) | instskip(NEXT) | instid1(VALU_DEP_3)
	v_lshl_add_u32 v40, 0x200000, v183, -1
	v_lshrrev_b32_e32 v41, v183, v182
	v_lshlrev_b32_e64 v43, v183, 0x100000
	s_delay_alu instid0(VALU_DEP_4) | instskip(NEXT) | instid1(VALU_DEP_4)
	v_add_nc_u32_e32 v183, v183, v18
	v_and_b32_e32 v182, v40, v182
	s_delay_alu instid0(VALU_DEP_4) | instskip(NEXT) | instid1(VALU_DEP_2)
	v_bfe_u32 v42, v41, 21, 1
	v_cmp_eq_u32_e64 s11, v182, v43
	s_delay_alu instid0(VALU_DEP_2) | instskip(NEXT) | instid1(VALU_DEP_1)
	v_add_nc_u32_e32 v40, -1, v42
	v_cndmask_b32_e64 v182, 0, v40, s11
	v_lshrrev_b32_e32 v40, 23, v41
	s_mov_b32 s11, exec_lo
	s_delay_alu instid0(VALU_DEP_2) | instskip(NEXT) | instid1(VALU_DEP_2)
	v_add_nc_u32_e32 v182, v182, v41
	v_xor_b32_e32 v40, 1, v40
	s_delay_alu instid0(VALU_DEP_2) | instskip(NEXT) | instid1(VALU_DEP_1)
	v_and_b32_e32 v18, 0x1fffff, v182
	v_add_nc_u32_e32 v182, v18, v41
                                        ; implicit-def: $vgpr18
	s_delay_alu instid0(VALU_DEP_3)
	v_cmpx_ne_u32_e64 v183, v40
	s_xor_b32 s11, exec_lo, s11
; %bb.715:                              ;   in Loop: Header=BB6_144 Depth=2
	s_delay_alu instid0(VALU_DEP_2) | instskip(SKIP_2) | instid1(VALU_DEP_2)
	v_cmp_lt_u32_e32 vcc_lo, 0xffffff, v182
	v_sub_nc_u32_e32 v18, v183, v40
	v_cndmask_b32_e64 v183, 0, 1, vcc_lo
	v_add_co_ci_u32_e32 v18, vcc_lo, 0, v18, vcc_lo
	s_delay_alu instid0(VALU_DEP_2)
	v_lshrrev_b32_e32 v182, v183, v182
; %bb.716:                              ;   in Loop: Header=BB6_144 Depth=2
	s_and_not1_saveexec_b32 s11, s11
; %bb.717:                              ;   in Loop: Header=BB6_144 Depth=2
	s_delay_alu instid0(VALU_DEP_1)
	v_bfe_u32 v18, v182, 23, 1
; %bb.718:                              ;   in Loop: Header=BB6_144 Depth=2
	s_or_b32 exec_lo, exec_lo, s11
	v_lshrrev_b32_e32 v182, 21, v182
	s_delay_alu instid0(VALU_DEP_2) | instskip(SKIP_2) | instid1(VALU_DEP_4)
	v_cmp_gt_i32_e32 vcc_lo, 32, v18
	v_lshrrev_b32_e32 v22, 24, v22
	v_min_i32_e32 v183, 31, v18
	v_cndmask_b32_e32 v182, 3, v182, vcc_lo
	s_delay_alu instid0(VALU_DEP_3) | instskip(NEXT) | instid1(VALU_DEP_3)
	v_and_b32_e32 v22, 0x80, v22
	v_lshlrev_b32_e32 v183, 2, v183
	s_delay_alu instid0(VALU_DEP_3) | instskip(SKIP_1) | instid1(VALU_DEP_2)
	v_and_b32_e32 v40, 3, v182
	v_or_b32_e32 v18, v18, v182
	v_or3_b32 v22, v183, v22, v40
	s_delay_alu instid0(VALU_DEP_2) | instskip(NEXT) | instid1(VALU_DEP_2)
	v_cmp_ne_u32_e32 vcc_lo, 0, v18
	v_cndmask_b32_e32 v18, 0, v22, vcc_lo
.LBB6_719:                              ;   in Loop: Header=BB6_144 Depth=2
	s_or_b32 exec_lo, exec_lo, s25
.LBB6_720:                              ;   in Loop: Header=BB6_144 Depth=2
	s_delay_alu instid0(SALU_CYCLE_1) | instskip(SKIP_3) | instid1(VALU_DEP_1)
	s_or_b32 exec_lo, exec_lo, s24
	v_and_b32_e32 v182, 0xff, v23
	s_mov_b32 s11, 0
	s_mov_b32 s25, exec_lo
                                        ; implicit-def: $sgpr24
	v_cmpx_lt_i16_e64 0x7f, v182
	s_xor_b32 s25, exec_lo, s25
	s_cbranch_execnz .LBB6_1454
; %bb.721:                              ;   in Loop: Header=BB6_144 Depth=2
	s_or_saveexec_b32 s25, s25
	v_mov_b32_e32 v22, s24
	s_xor_b32 exec_lo, exec_lo, s25
	s_cbranch_execnz .LBB6_1457
.LBB6_722:                              ;   in Loop: Header=BB6_144 Depth=2
	s_or_b32 exec_lo, exec_lo, s25
	s_and_saveexec_b32 s24, s11
	s_cbranch_execz .LBB6_724
.LBB6_723:                              ;   in Loop: Header=BB6_144 Depth=2
	v_and_b32_e32 v22, 3, v23
	v_bfe_u32 v40, v23, 2, 5
	v_lshlrev_b32_e32 v41, 24, v23
	s_delay_alu instid0(VALU_DEP_3) | instskip(NEXT) | instid1(VALU_DEP_3)
	v_clz_i32_u32_e32 v182, v22
	v_cmp_eq_u32_e32 vcc_lo, 0, v40
	s_delay_alu instid0(VALU_DEP_2) | instskip(NEXT) | instid1(VALU_DEP_1)
	v_min_u32_e32 v182, 32, v182
	v_subrev_nc_u32_e32 v183, 29, v182
	v_sub_nc_u32_e32 v182, 30, v182
	s_delay_alu instid0(VALU_DEP_1) | instskip(NEXT) | instid1(VALU_DEP_1)
	v_dual_cndmask_b32 v182, v40, v182 :: v_dual_lshlrev_b32 v183, v183, v23
	v_and_b32_e32 v183, 3, v183
	s_delay_alu instid0(VALU_DEP_2) | instskip(NEXT) | instid1(VALU_DEP_2)
	v_lshl_add_u32 v182, v182, 23, 0x37800000
	v_dual_cndmask_b32 v22, v22, v183 :: v_dual_and_b32 v183, 0x80000000, v41
	s_delay_alu instid0(VALU_DEP_1) | instskip(NEXT) | instid1(VALU_DEP_1)
	v_lshlrev_b32_e32 v22, 21, v22
	v_or3_b32 v22, v183, v182, v22
.LBB6_724:                              ;   in Loop: Header=BB6_144 Depth=2
	s_or_b32 exec_lo, exec_lo, s24
	v_and_b32_e32 v183, 0xff, v19
	s_mov_b32 s11, 0
	s_mov_b32 s25, exec_lo
                                        ; implicit-def: $sgpr24
	s_delay_alu instid0(VALU_DEP_1)
	v_cmpx_lt_i16_e64 0x7f, v183
	s_xor_b32 s25, exec_lo, s25
	s_cbranch_execnz .LBB6_1458
; %bb.725:                              ;   in Loop: Header=BB6_144 Depth=2
	s_or_saveexec_b32 s25, s25
	v_mov_b32_e32 v182, s24
	s_xor_b32 exec_lo, exec_lo, s25
	s_cbranch_execnz .LBB6_1461
.LBB6_726:                              ;   in Loop: Header=BB6_144 Depth=2
	s_or_b32 exec_lo, exec_lo, s25
	s_and_saveexec_b32 s24, s11
	s_cbranch_execz .LBB6_728
.LBB6_727:                              ;   in Loop: Header=BB6_144 Depth=2
	v_and_b32_e32 v182, 3, v19
	v_bfe_u32 v41, v19, 2, 5
	v_lshlrev_b32_e32 v42, 24, v19
	s_delay_alu instid0(VALU_DEP_3) | instskip(NEXT) | instid1(VALU_DEP_3)
	v_clz_i32_u32_e32 v183, v182
	v_cmp_eq_u32_e32 vcc_lo, 0, v41
	s_delay_alu instid0(VALU_DEP_2) | instskip(NEXT) | instid1(VALU_DEP_1)
	v_min_u32_e32 v183, 32, v183
	v_subrev_nc_u32_e32 v40, 29, v183
	v_sub_nc_u32_e32 v183, 30, v183
	s_delay_alu instid0(VALU_DEP_2) | instskip(NEXT) | instid1(VALU_DEP_1)
	v_lshlrev_b32_e32 v40, v40, v19
	v_dual_cndmask_b32 v183, v41, v183 :: v_dual_and_b32 v40, 3, v40
	s_delay_alu instid0(VALU_DEP_1) | instskip(NEXT) | instid1(VALU_DEP_2)
	v_lshl_add_u32 v183, v183, 23, 0x37800000
	v_cndmask_b32_e32 v182, v182, v40, vcc_lo
	v_and_b32_e32 v40, 0x80000000, v42
	s_delay_alu instid0(VALU_DEP_2) | instskip(NEXT) | instid1(VALU_DEP_1)
	v_lshlrev_b32_e32 v182, 21, v182
	v_or3_b32 v182, v40, v183, v182
.LBB6_728:                              ;   in Loop: Header=BB6_144 Depth=2
	s_or_b32 exec_lo, exec_lo, s24
	s_delay_alu instid0(VALU_DEP_1) | instskip(NEXT) | instid1(VALU_DEP_1)
	v_mul_f32_e32 v182, v22, v182
	v_and_b32_e32 v22, 0x7f800000, v182
	s_delay_alu instid0(VALU_DEP_1)
	v_cmp_ne_u32_e32 vcc_lo, 0x7f800000, v22
	v_mov_b32_e32 v22, 0x80
	s_and_saveexec_b32 s24, vcc_lo
	s_cbranch_execz .LBB6_736
; %bb.729:                              ;   in Loop: Header=BB6_144 Depth=2
	v_mov_b32_e32 v22, 0
	s_mov_b32 s25, exec_lo
	v_cmpx_ne_u32_e32 0, v182
	s_cbranch_execz .LBB6_735
; %bb.730:                              ;   in Loop: Header=BB6_144 Depth=2
	v_bfe_u32 v22, v182, 23, 8
	s_delay_alu instid0(VALU_DEP_1) | instskip(SKIP_1) | instid1(VALU_DEP_2)
	v_sub_nc_u32_e32 v40, 0x70, v22
	v_cmp_gt_u32_e32 vcc_lo, 0x71, v22
	v_dual_cndmask_b32 v40, 0, v40 :: v_dual_and_b32 v183, 0x7fffff, v182
	s_delay_alu instid0(VALU_DEP_1) | instskip(SKIP_2) | instid1(VALU_DEP_4)
	v_or_b32_e32 v41, 0x800000, v183
	v_cmp_eq_u32_e32 vcc_lo, 0, v22
	v_add_nc_u32_e32 v22, 0xffffff91, v22
	v_cndmask_b32_e64 v40, v40, 0x6f, vcc_lo
	s_delay_alu instid0(VALU_DEP_4) | instskip(NEXT) | instid1(VALU_DEP_3)
	v_cndmask_b32_e32 v183, v41, v183, vcc_lo
	v_cndmask_b32_e64 v22, v22, 0xffffff92, vcc_lo
	s_delay_alu instid0(VALU_DEP_3) | instskip(NEXT) | instid1(VALU_DEP_3)
	v_lshl_add_u32 v41, 0x200000, v40, -1
	v_lshrrev_b32_e32 v42, v40, v183
	v_lshlrev_b32_e64 v44, v40, 0x100000
	s_delay_alu instid0(VALU_DEP_4) | instskip(NEXT) | instid1(VALU_DEP_4)
	v_add_nc_u32_e32 v40, v40, v22
	v_and_b32_e32 v183, v41, v183
	s_delay_alu instid0(VALU_DEP_4) | instskip(NEXT) | instid1(VALU_DEP_2)
	v_bfe_u32 v43, v42, 21, 1
	v_cmp_eq_u32_e64 s11, v183, v44
	s_delay_alu instid0(VALU_DEP_2) | instskip(NEXT) | instid1(VALU_DEP_1)
	v_add_nc_u32_e32 v41, -1, v43
	v_cndmask_b32_e64 v183, 0, v41, s11
	v_lshrrev_b32_e32 v41, 23, v42
	s_mov_b32 s11, exec_lo
	s_delay_alu instid0(VALU_DEP_2) | instskip(NEXT) | instid1(VALU_DEP_2)
	v_add_nc_u32_e32 v183, v183, v42
	v_xor_b32_e32 v41, 1, v41
	s_delay_alu instid0(VALU_DEP_2) | instskip(NEXT) | instid1(VALU_DEP_1)
	v_and_b32_e32 v22, 0x1fffff, v183
	v_add_nc_u32_e32 v183, v22, v42
                                        ; implicit-def: $vgpr22
	s_delay_alu instid0(VALU_DEP_3)
	v_cmpx_ne_u32_e64 v40, v41
	s_xor_b32 s11, exec_lo, s11
; %bb.731:                              ;   in Loop: Header=BB6_144 Depth=2
	s_delay_alu instid0(VALU_DEP_2) | instskip(SKIP_2) | instid1(VALU_DEP_2)
	v_cmp_lt_u32_e32 vcc_lo, 0xffffff, v183
	v_sub_nc_u32_e32 v22, v40, v41
	v_cndmask_b32_e64 v40, 0, 1, vcc_lo
	v_add_co_ci_u32_e32 v22, vcc_lo, 0, v22, vcc_lo
	s_delay_alu instid0(VALU_DEP_2)
	v_lshrrev_b32_e32 v183, v40, v183
; %bb.732:                              ;   in Loop: Header=BB6_144 Depth=2
	s_and_not1_saveexec_b32 s11, s11
; %bb.733:                              ;   in Loop: Header=BB6_144 Depth=2
	s_delay_alu instid0(VALU_DEP_1)
	v_bfe_u32 v22, v183, 23, 1
; %bb.734:                              ;   in Loop: Header=BB6_144 Depth=2
	s_or_b32 exec_lo, exec_lo, s11
	v_lshrrev_b32_e32 v183, 21, v183
	s_delay_alu instid0(VALU_DEP_2) | instskip(SKIP_2) | instid1(VALU_DEP_2)
	v_cmp_gt_i32_e32 vcc_lo, 32, v22
	v_lshrrev_b32_e32 v182, 24, v182
	v_min_i32_e32 v40, 31, v22
	v_dual_cndmask_b32 v183, 3, v183 :: v_dual_and_b32 v182, 0x80, v182
	s_delay_alu instid0(VALU_DEP_2) | instskip(NEXT) | instid1(VALU_DEP_2)
	v_lshlrev_b32_e32 v40, 2, v40
	v_or_b32_e32 v22, v22, v183
	s_delay_alu instid0(VALU_DEP_1) | instskip(SKIP_1) | instid1(VALU_DEP_1)
	v_cmp_ne_u32_e32 vcc_lo, 0, v22
	v_and_b32_e32 v41, 3, v183
	v_or3_b32 v182, v40, v182, v41
	s_delay_alu instid0(VALU_DEP_1)
	v_cndmask_b32_e32 v22, 0, v182, vcc_lo
.LBB6_735:                              ;   in Loop: Header=BB6_144 Depth=2
	s_or_b32 exec_lo, exec_lo, s25
.LBB6_736:                              ;   in Loop: Header=BB6_144 Depth=2
	s_delay_alu instid0(SALU_CYCLE_1) | instskip(SKIP_3) | instid1(VALU_DEP_1)
	s_or_b32 exec_lo, exec_lo, s24
	v_lshrrev_b16 v183, 8, v23
	s_mov_b32 s11, 0
	s_mov_b32 s25, exec_lo
                                        ; implicit-def: $sgpr24
	v_cmpx_lt_i16_e64 0x7f, v183
	s_xor_b32 s25, exec_lo, s25
	s_cbranch_execnz .LBB6_1462
; %bb.737:                              ;   in Loop: Header=BB6_144 Depth=2
	s_or_saveexec_b32 s25, s25
	v_mov_b32_e32 v182, s24
	s_xor_b32 exec_lo, exec_lo, s25
	s_cbranch_execnz .LBB6_1465
.LBB6_738:                              ;   in Loop: Header=BB6_144 Depth=2
	s_or_b32 exec_lo, exec_lo, s25
	s_and_saveexec_b32 s24, s11
	s_cbranch_execz .LBB6_740
.LBB6_739:                              ;   in Loop: Header=BB6_144 Depth=2
	v_and_b32_e32 v182, 0xffff, v183
	s_delay_alu instid0(VALU_DEP_1) | instskip(NEXT) | instid1(VALU_DEP_1)
	v_and_b32_e32 v40, 3, v182
	v_clz_i32_u32_e32 v41, v40
	s_delay_alu instid0(VALU_DEP_1) | instskip(NEXT) | instid1(VALU_DEP_1)
	v_min_u32_e32 v41, 32, v41
	v_subrev_nc_u32_e32 v42, 29, v41
	v_sub_nc_u32_e32 v41, 30, v41
	s_delay_alu instid0(VALU_DEP_2) | instskip(SKIP_1) | instid1(VALU_DEP_2)
	v_lshlrev_b32_e32 v42, v42, v182
	v_bfe_u32 v182, v182, 2, 5
	v_and_b32_e32 v42, 3, v42
	s_delay_alu instid0(VALU_DEP_2) | instskip(SKIP_1) | instid1(VALU_DEP_1)
	v_cmp_eq_u32_e32 vcc_lo, 0, v182
	v_dual_cndmask_b32 v182, v182, v41 :: v_dual_lshlrev_b32 v183, 24, v183
	v_dual_cndmask_b32 v40, v40, v42 :: v_dual_and_b32 v183, 0x80000000, v183
	s_delay_alu instid0(VALU_DEP_2) | instskip(NEXT) | instid1(VALU_DEP_2)
	v_lshl_add_u32 v182, v182, 23, 0x37800000
	v_lshlrev_b32_e32 v40, 21, v40
	s_delay_alu instid0(VALU_DEP_1)
	v_or3_b32 v182, v183, v182, v40
.LBB6_740:                              ;   in Loop: Header=BB6_144 Depth=2
	s_or_b32 exec_lo, exec_lo, s24
	v_lshrrev_b16 v183, 8, v19
	s_mov_b32 s11, 0
	s_mov_b32 s25, exec_lo
                                        ; implicit-def: $sgpr24
	s_delay_alu instid0(VALU_DEP_1)
	v_cmpx_lt_i16_e64 0x7f, v183
	s_xor_b32 s25, exec_lo, s25
	s_cbranch_execnz .LBB6_1466
; %bb.741:                              ;   in Loop: Header=BB6_144 Depth=2
	s_or_saveexec_b32 s25, s25
	v_mov_b32_e32 v40, s24
	s_xor_b32 exec_lo, exec_lo, s25
	s_cbranch_execnz .LBB6_1469
.LBB6_742:                              ;   in Loop: Header=BB6_144 Depth=2
	s_or_b32 exec_lo, exec_lo, s25
	s_and_saveexec_b32 s24, s11
	s_cbranch_execz .LBB6_744
.LBB6_743:                              ;   in Loop: Header=BB6_144 Depth=2
	v_and_b32_e32 v40, 0xffff, v183
	v_lshlrev_b32_e32 v183, 24, v183
	s_delay_alu instid0(VALU_DEP_2) | instskip(NEXT) | instid1(VALU_DEP_2)
	v_and_b32_e32 v41, 3, v40
	v_and_b32_e32 v183, 0x80000000, v183
	s_delay_alu instid0(VALU_DEP_2) | instskip(NEXT) | instid1(VALU_DEP_1)
	v_clz_i32_u32_e32 v42, v41
	v_min_u32_e32 v42, 32, v42
	s_delay_alu instid0(VALU_DEP_1) | instskip(SKIP_1) | instid1(VALU_DEP_2)
	v_subrev_nc_u32_e32 v43, 29, v42
	v_sub_nc_u32_e32 v42, 30, v42
	v_lshlrev_b32_e32 v43, v43, v40
	v_bfe_u32 v40, v40, 2, 5
	s_delay_alu instid0(VALU_DEP_2) | instskip(NEXT) | instid1(VALU_DEP_2)
	v_and_b32_e32 v43, 3, v43
	v_cmp_eq_u32_e32 vcc_lo, 0, v40
	s_delay_alu instid0(VALU_DEP_2) | instskip(NEXT) | instid1(VALU_DEP_1)
	v_dual_cndmask_b32 v40, v40, v42 :: v_dual_cndmask_b32 v41, v41, v43
	v_lshl_add_u32 v40, v40, 23, 0x37800000
	s_delay_alu instid0(VALU_DEP_2) | instskip(NEXT) | instid1(VALU_DEP_1)
	v_lshlrev_b32_e32 v41, 21, v41
	v_or3_b32 v40, v183, v40, v41
.LBB6_744:                              ;   in Loop: Header=BB6_144 Depth=2
	s_or_b32 exec_lo, exec_lo, s24
	s_delay_alu instid0(VALU_DEP_1) | instskip(NEXT) | instid1(VALU_DEP_1)
	v_mul_f32_e32 v183, v182, v40
	v_and_b32_e32 v182, 0x7f800000, v183
	s_delay_alu instid0(VALU_DEP_1)
	v_cmp_ne_u32_e32 vcc_lo, 0x7f800000, v182
	v_mov_b32_e32 v182, 0x8000
	s_and_saveexec_b32 s24, vcc_lo
	s_cbranch_execz .LBB6_752
; %bb.745:                              ;   in Loop: Header=BB6_144 Depth=2
	v_mov_b32_e32 v182, 0
	s_mov_b32 s25, exec_lo
	v_cmpx_ne_u32_e32 0, v183
	s_cbranch_execz .LBB6_751
; %bb.746:                              ;   in Loop: Header=BB6_144 Depth=2
	v_bfe_u32 v182, v183, 23, 8
	s_delay_alu instid0(VALU_DEP_1) | instskip(SKIP_1) | instid1(VALU_DEP_2)
	v_sub_nc_u32_e32 v41, 0x70, v182
	v_cmp_gt_u32_e32 vcc_lo, 0x71, v182
	v_dual_cndmask_b32 v41, 0, v41 :: v_dual_and_b32 v40, 0x7fffff, v183
	s_delay_alu instid0(VALU_DEP_1) | instskip(SKIP_2) | instid1(VALU_DEP_4)
	v_or_b32_e32 v42, 0x800000, v40
	v_cmp_eq_u32_e32 vcc_lo, 0, v182
	v_add_nc_u32_e32 v182, 0xffffff91, v182
	v_cndmask_b32_e64 v41, v41, 0x6f, vcc_lo
	s_delay_alu instid0(VALU_DEP_2) | instskip(SKIP_1) | instid1(VALU_DEP_3)
	v_cndmask_b32_e64 v182, v182, 0xffffff92, vcc_lo
	v_cndmask_b32_e32 v40, v42, v40, vcc_lo
	v_lshl_add_u32 v42, 0x200000, v41, -1
	v_lshlrev_b32_e64 v45, v41, 0x100000
	s_delay_alu instid0(VALU_DEP_3) | instskip(SKIP_1) | instid1(VALU_DEP_4)
	v_lshrrev_b32_e32 v43, v41, v40
	v_add_nc_u32_e32 v41, v41, v182
	v_and_b32_e32 v40, v42, v40
	s_delay_alu instid0(VALU_DEP_3) | instskip(NEXT) | instid1(VALU_DEP_2)
	v_bfe_u32 v44, v43, 21, 1
	v_cmp_eq_u32_e64 s11, v40, v45
	s_delay_alu instid0(VALU_DEP_2) | instskip(NEXT) | instid1(VALU_DEP_1)
	v_add_nc_u32_e32 v42, -1, v44
	v_cndmask_b32_e64 v40, 0, v42, s11
	v_lshrrev_b32_e32 v42, 23, v43
	s_mov_b32 s11, exec_lo
	s_delay_alu instid0(VALU_DEP_2) | instskip(NEXT) | instid1(VALU_DEP_2)
	v_add_nc_u32_e32 v40, v40, v43
	v_xor_b32_e32 v42, 1, v42
	s_delay_alu instid0(VALU_DEP_2) | instskip(NEXT) | instid1(VALU_DEP_1)
	v_and_b32_e32 v182, 0x1fffff, v40
	v_add_nc_u32_e32 v40, v182, v43
                                        ; implicit-def: $vgpr182
	s_delay_alu instid0(VALU_DEP_3)
	v_cmpx_ne_u32_e64 v41, v42
	s_xor_b32 s11, exec_lo, s11
; %bb.747:                              ;   in Loop: Header=BB6_144 Depth=2
	s_delay_alu instid0(VALU_DEP_2) | instskip(SKIP_2) | instid1(VALU_DEP_2)
	v_cmp_lt_u32_e32 vcc_lo, 0xffffff, v40
	v_sub_nc_u32_e32 v182, v41, v42
	v_cndmask_b32_e64 v41, 0, 1, vcc_lo
	v_add_co_ci_u32_e32 v182, vcc_lo, 0, v182, vcc_lo
	s_delay_alu instid0(VALU_DEP_2)
	v_lshrrev_b32_e32 v40, v41, v40
; %bb.748:                              ;   in Loop: Header=BB6_144 Depth=2
	s_and_not1_saveexec_b32 s11, s11
; %bb.749:                              ;   in Loop: Header=BB6_144 Depth=2
	s_delay_alu instid0(VALU_DEP_1)
	v_bfe_u32 v182, v40, 23, 1
; %bb.750:                              ;   in Loop: Header=BB6_144 Depth=2
	s_or_b32 exec_lo, exec_lo, s11
	v_lshrrev_b32_e32 v40, 21, v40
	s_delay_alu instid0(VALU_DEP_2) | instskip(SKIP_2) | instid1(VALU_DEP_2)
	v_cmp_gt_i32_e32 vcc_lo, 32, v182
	v_min_i32_e32 v41, 31, v182
	v_lshrrev_b32_e32 v183, 24, v183
	v_dual_cndmask_b32 v40, 3, v40 :: v_dual_lshlrev_b32 v41, 2, v41
	s_delay_alu instid0(VALU_DEP_2) | instskip(NEXT) | instid1(VALU_DEP_2)
	v_and_b32_e32 v183, 0x80, v183
	v_or_b32_e32 v182, v182, v40
	v_and_b32_e32 v42, 3, v40
	s_delay_alu instid0(VALU_DEP_2) | instskip(SKIP_1) | instid1(VALU_DEP_1)
	v_cmp_ne_u32_e32 vcc_lo, 0, v182
	v_and_b32_e32 v41, 0xfc, v41
	v_or3_b32 v183, v183, v41, v42
	s_delay_alu instid0(VALU_DEP_1) | instskip(NEXT) | instid1(VALU_DEP_1)
	v_lshlrev_b32_e32 v183, 8, v183
	v_cndmask_b32_e32 v182, 0, v183, vcc_lo
.LBB6_751:                              ;   in Loop: Header=BB6_144 Depth=2
	s_or_b32 exec_lo, exec_lo, s25
.LBB6_752:                              ;   in Loop: Header=BB6_144 Depth=2
	s_delay_alu instid0(SALU_CYCLE_1) | instskip(SKIP_3) | instid1(VALU_DEP_1)
	s_or_b32 exec_lo, exec_lo, s24
	v_lshrrev_b32_e32 v40, 16, v23
	s_mov_b32 s11, 0
	s_mov_b32 s25, exec_lo
                                        ; implicit-def: $sgpr24
	v_and_b32_e32 v41, 0xff, v40
	s_delay_alu instid0(VALU_DEP_1)
	v_cmpx_lt_i16_e32 0x7f, v41
	s_xor_b32 s25, exec_lo, s25
	s_cbranch_execnz .LBB6_1470
; %bb.753:                              ;   in Loop: Header=BB6_144 Depth=2
	s_or_saveexec_b32 s25, s25
	v_mov_b32_e32 v183, s24
	s_xor_b32 exec_lo, exec_lo, s25
	s_cbranch_execnz .LBB6_1473
.LBB6_754:                              ;   in Loop: Header=BB6_144 Depth=2
	s_or_b32 exec_lo, exec_lo, s25
	s_and_saveexec_b32 s24, s11
	s_cbranch_execz .LBB6_756
.LBB6_755:                              ;   in Loop: Header=BB6_144 Depth=2
	v_bfe_u32 v183, v23, 16, 2
	v_lshlrev_b32_e32 v43, 8, v23
	s_delay_alu instid0(VALU_DEP_2) | instskip(NEXT) | instid1(VALU_DEP_1)
	v_clz_i32_u32_e32 v41, v183
	v_min_u32_e32 v41, 32, v41
	s_delay_alu instid0(VALU_DEP_1) | instskip(SKIP_1) | instid1(VALU_DEP_2)
	v_subrev_nc_u32_e32 v42, 29, v41
	v_sub_nc_u32_e32 v41, 30, v41
	v_lshlrev_b32_e32 v40, v42, v40
	v_bfe_u32 v42, v23, 18, 5
	s_delay_alu instid0(VALU_DEP_1) | instskip(NEXT) | instid1(VALU_DEP_3)
	v_cmp_eq_u32_e32 vcc_lo, 0, v42
	v_dual_cndmask_b32 v41, v42, v41 :: v_dual_and_b32 v40, 3, v40
	s_delay_alu instid0(VALU_DEP_1) | instskip(NEXT) | instid1(VALU_DEP_2)
	v_dual_cndmask_b32 v183, v183, v40 :: v_dual_and_b32 v40, 0x80000000, v43
	v_lshl_add_u32 v41, v41, 23, 0x37800000
	s_delay_alu instid0(VALU_DEP_2) | instskip(NEXT) | instid1(VALU_DEP_1)
	v_lshlrev_b32_e32 v183, 21, v183
	v_or3_b32 v183, v40, v41, v183
.LBB6_756:                              ;   in Loop: Header=BB6_144 Depth=2
	s_or_b32 exec_lo, exec_lo, s24
	v_lshrrev_b32_e32 v40, 16, v19
	s_mov_b32 s11, 0
	s_mov_b32 s25, exec_lo
                                        ; implicit-def: $sgpr24
	s_delay_alu instid0(VALU_DEP_1) | instskip(NEXT) | instid1(VALU_DEP_1)
	v_and_b32_e32 v42, 0xff, v40
	v_cmpx_lt_i16_e32 0x7f, v42
	s_xor_b32 s25, exec_lo, s25
	s_cbranch_execnz .LBB6_1474
; %bb.757:                              ;   in Loop: Header=BB6_144 Depth=2
	s_or_saveexec_b32 s25, s25
	v_mov_b32_e32 v41, s24
	s_xor_b32 exec_lo, exec_lo, s25
	s_cbranch_execnz .LBB6_1477
.LBB6_758:                              ;   in Loop: Header=BB6_144 Depth=2
	s_or_b32 exec_lo, exec_lo, s25
	s_and_saveexec_b32 s24, s11
	s_cbranch_execz .LBB6_760
.LBB6_759:                              ;   in Loop: Header=BB6_144 Depth=2
	v_bfe_u32 v41, v19, 16, 2
	v_lshlrev_b32_e32 v44, 8, v19
	s_delay_alu instid0(VALU_DEP_2) | instskip(NEXT) | instid1(VALU_DEP_1)
	v_clz_i32_u32_e32 v42, v41
	v_min_u32_e32 v42, 32, v42
	s_delay_alu instid0(VALU_DEP_1) | instskip(SKIP_1) | instid1(VALU_DEP_2)
	v_subrev_nc_u32_e32 v43, 29, v42
	v_sub_nc_u32_e32 v42, 30, v42
	v_lshlrev_b32_e32 v40, v43, v40
	v_bfe_u32 v43, v19, 18, 5
	s_delay_alu instid0(VALU_DEP_2) | instskip(NEXT) | instid1(VALU_DEP_2)
	v_and_b32_e32 v40, 3, v40
	v_cmp_eq_u32_e32 vcc_lo, 0, v43
	v_cndmask_b32_e32 v42, v43, v42, vcc_lo
	s_delay_alu instid0(VALU_DEP_3) | instskip(SKIP_1) | instid1(VALU_DEP_3)
	v_cndmask_b32_e32 v40, v41, v40, vcc_lo
	v_and_b32_e32 v41, 0x80000000, v44
	v_lshl_add_u32 v42, v42, 23, 0x37800000
	s_delay_alu instid0(VALU_DEP_3) | instskip(NEXT) | instid1(VALU_DEP_1)
	v_lshlrev_b32_e32 v40, 21, v40
	v_or3_b32 v41, v41, v42, v40
.LBB6_760:                              ;   in Loop: Header=BB6_144 Depth=2
	s_or_b32 exec_lo, exec_lo, s24
	s_delay_alu instid0(VALU_DEP_1) | instskip(NEXT) | instid1(VALU_DEP_1)
	v_mul_f32_e32 v40, v183, v41
	v_and_b32_e32 v183, 0x7f800000, v40
	s_delay_alu instid0(VALU_DEP_1)
	v_cmp_ne_u32_e32 vcc_lo, 0x7f800000, v183
	v_mov_b32_e32 v183, 0x80
	s_and_saveexec_b32 s24, vcc_lo
	s_cbranch_execz .LBB6_768
; %bb.761:                              ;   in Loop: Header=BB6_144 Depth=2
	v_mov_b32_e32 v183, 0
	s_mov_b32 s25, exec_lo
	v_cmpx_ne_u32_e32 0, v40
	s_cbranch_execz .LBB6_767
; %bb.762:                              ;   in Loop: Header=BB6_144 Depth=2
	v_bfe_u32 v183, v40, 23, 8
	s_delay_alu instid0(VALU_DEP_1) | instskip(SKIP_1) | instid1(VALU_DEP_2)
	v_sub_nc_u32_e32 v42, 0x70, v183
	v_cmp_gt_u32_e32 vcc_lo, 0x71, v183
	v_dual_cndmask_b32 v42, 0, v42 :: v_dual_and_b32 v41, 0x7fffff, v40
	s_delay_alu instid0(VALU_DEP_1) | instskip(SKIP_2) | instid1(VALU_DEP_4)
	v_or_b32_e32 v43, 0x800000, v41
	v_cmp_eq_u32_e32 vcc_lo, 0, v183
	v_add_nc_u32_e32 v183, 0xffffff91, v183
	v_cndmask_b32_e64 v42, v42, 0x6f, vcc_lo
	s_delay_alu instid0(VALU_DEP_2) | instskip(SKIP_1) | instid1(VALU_DEP_3)
	v_cndmask_b32_e64 v183, v183, 0xffffff92, vcc_lo
	v_cndmask_b32_e32 v41, v43, v41, vcc_lo
	v_lshl_add_u32 v43, 0x200000, v42, -1
	v_lshlrev_b32_e64 v46, v42, 0x100000
	s_delay_alu instid0(VALU_DEP_3) | instskip(SKIP_1) | instid1(VALU_DEP_4)
	v_lshrrev_b32_e32 v44, v42, v41
	v_add_nc_u32_e32 v42, v42, v183
	v_and_b32_e32 v41, v43, v41
	s_delay_alu instid0(VALU_DEP_3) | instskip(NEXT) | instid1(VALU_DEP_2)
	v_bfe_u32 v45, v44, 21, 1
	v_cmp_eq_u32_e64 s11, v41, v46
	s_delay_alu instid0(VALU_DEP_2) | instskip(NEXT) | instid1(VALU_DEP_1)
	v_add_nc_u32_e32 v43, -1, v45
	v_cndmask_b32_e64 v41, 0, v43, s11
	v_lshrrev_b32_e32 v43, 23, v44
	s_mov_b32 s11, exec_lo
	s_delay_alu instid0(VALU_DEP_2) | instskip(NEXT) | instid1(VALU_DEP_2)
	v_add_nc_u32_e32 v41, v41, v44
	v_xor_b32_e32 v43, 1, v43
	s_delay_alu instid0(VALU_DEP_2) | instskip(NEXT) | instid1(VALU_DEP_1)
	v_and_b32_e32 v183, 0x1fffff, v41
	v_add_nc_u32_e32 v41, v183, v44
                                        ; implicit-def: $vgpr183
	s_delay_alu instid0(VALU_DEP_3)
	v_cmpx_ne_u32_e64 v42, v43
	s_xor_b32 s11, exec_lo, s11
; %bb.763:                              ;   in Loop: Header=BB6_144 Depth=2
	s_delay_alu instid0(VALU_DEP_2) | instskip(SKIP_2) | instid1(VALU_DEP_2)
	v_cmp_lt_u32_e32 vcc_lo, 0xffffff, v41
	v_sub_nc_u32_e32 v183, v42, v43
	v_cndmask_b32_e64 v42, 0, 1, vcc_lo
	v_add_co_ci_u32_e32 v183, vcc_lo, 0, v183, vcc_lo
	s_delay_alu instid0(VALU_DEP_2)
	v_lshrrev_b32_e32 v41, v42, v41
; %bb.764:                              ;   in Loop: Header=BB6_144 Depth=2
	s_and_not1_saveexec_b32 s11, s11
; %bb.765:                              ;   in Loop: Header=BB6_144 Depth=2
	s_delay_alu instid0(VALU_DEP_1)
	v_bfe_u32 v183, v41, 23, 1
; %bb.766:                              ;   in Loop: Header=BB6_144 Depth=2
	s_or_b32 exec_lo, exec_lo, s11
	v_lshrrev_b32_e32 v41, 21, v41
	s_delay_alu instid0(VALU_DEP_2) | instskip(SKIP_2) | instid1(VALU_DEP_2)
	v_cmp_gt_i32_e32 vcc_lo, 32, v183
	v_min_i32_e32 v42, 31, v183
	v_lshrrev_b32_e32 v40, 24, v40
	v_dual_cndmask_b32 v41, 3, v41 :: v_dual_lshlrev_b32 v42, 2, v42
	s_delay_alu instid0(VALU_DEP_2) | instskip(NEXT) | instid1(VALU_DEP_2)
	v_and_b32_e32 v40, 0x80, v40
	v_or_b32_e32 v183, v183, v41
	v_and_b32_e32 v43, 3, v41
	s_delay_alu instid0(VALU_DEP_2) | instskip(SKIP_1) | instid1(VALU_DEP_1)
	v_cmp_ne_u32_e32 vcc_lo, 0, v183
	v_and_b32_e32 v42, 0xfc, v42
	v_or3_b32 v40, v42, v40, v43
	s_delay_alu instid0(VALU_DEP_1)
	v_cndmask_b32_e32 v183, 0, v40, vcc_lo
.LBB6_767:                              ;   in Loop: Header=BB6_144 Depth=2
	s_or_b32 exec_lo, exec_lo, s25
.LBB6_768:                              ;   in Loop: Header=BB6_144 Depth=2
	s_delay_alu instid0(SALU_CYCLE_1) | instskip(SKIP_3) | instid1(VALU_DEP_1)
	s_or_b32 exec_lo, exec_lo, s24
	v_lshrrev_b32_e32 v41, 24, v23
	s_mov_b32 s11, 0
	s_mov_b32 s25, exec_lo
                                        ; implicit-def: $sgpr24
	v_cmpx_lt_i16_e32 0x7f, v41
	s_xor_b32 s25, exec_lo, s25
	s_cbranch_execnz .LBB6_1478
; %bb.769:                              ;   in Loop: Header=BB6_144 Depth=2
	s_or_saveexec_b32 s25, s25
	v_mov_b32_e32 v40, s24
	s_xor_b32 exec_lo, exec_lo, s25
	s_cbranch_execnz .LBB6_1481
.LBB6_770:                              ;   in Loop: Header=BB6_144 Depth=2
	s_or_b32 exec_lo, exec_lo, s25
	s_and_saveexec_b32 s24, s11
	s_cbranch_execz .LBB6_772
.LBB6_771:                              ;   in Loop: Header=BB6_144 Depth=2
	v_bfe_u32 v40, v23, 24, 2
	s_delay_alu instid0(VALU_DEP_1) | instskip(NEXT) | instid1(VALU_DEP_1)
	v_clz_i32_u32_e32 v42, v40
	v_min_u32_e32 v42, 32, v42
	s_delay_alu instid0(VALU_DEP_1) | instskip(SKIP_1) | instid1(VALU_DEP_2)
	v_subrev_nc_u32_e32 v43, 29, v42
	v_sub_nc_u32_e32 v42, 30, v42
	v_lshlrev_b32_e32 v41, v43, v41
	v_bfe_u32 v43, v23, 26, 5
	v_and_b32_e32 v23, 0x80000000, v23
	s_delay_alu instid0(VALU_DEP_2) | instskip(NEXT) | instid1(VALU_DEP_4)
	v_cmp_eq_u32_e32 vcc_lo, 0, v43
	v_dual_cndmask_b32 v42, v43, v42 :: v_dual_and_b32 v41, 3, v41
	s_delay_alu instid0(VALU_DEP_1) | instskip(NEXT) | instid1(VALU_DEP_2)
	v_cndmask_b32_e32 v40, v40, v41, vcc_lo
	v_lshl_add_u32 v41, v42, 23, 0x37800000
	s_delay_alu instid0(VALU_DEP_2) | instskip(NEXT) | instid1(VALU_DEP_1)
	v_lshlrev_b32_e32 v40, 21, v40
	v_or3_b32 v40, v23, v41, v40
.LBB6_772:                              ;   in Loop: Header=BB6_144 Depth=2
	s_or_b32 exec_lo, exec_lo, s24
	v_lshrrev_b32_e32 v23, 24, v19
	s_mov_b32 s11, 0
	s_mov_b32 s25, exec_lo
                                        ; implicit-def: $sgpr24
	s_delay_alu instid0(VALU_DEP_1)
	v_cmpx_lt_i16_e32 0x7f, v23
	s_xor_b32 s25, exec_lo, s25
	s_cbranch_execnz .LBB6_1482
; %bb.773:                              ;   in Loop: Header=BB6_144 Depth=2
	s_or_saveexec_b32 s25, s25
	v_mov_b32_e32 v41, s24
	s_xor_b32 exec_lo, exec_lo, s25
	s_cbranch_execnz .LBB6_1485
.LBB6_774:                              ;   in Loop: Header=BB6_144 Depth=2
	s_or_b32 exec_lo, exec_lo, s25
	s_and_saveexec_b32 s24, s11
	s_cbranch_execz .LBB6_776
.LBB6_775:                              ;   in Loop: Header=BB6_144 Depth=2
	v_bfe_u32 v41, v19, 24, 2
	s_delay_alu instid0(VALU_DEP_1) | instskip(NEXT) | instid1(VALU_DEP_1)
	v_clz_i32_u32_e32 v42, v41
	v_min_u32_e32 v42, 32, v42
	s_delay_alu instid0(VALU_DEP_1) | instskip(SKIP_1) | instid1(VALU_DEP_2)
	v_subrev_nc_u32_e32 v43, 29, v42
	v_sub_nc_u32_e32 v42, 30, v42
	v_lshlrev_b32_e32 v23, v43, v23
	v_bfe_u32 v43, v19, 26, 5
	v_and_b32_e32 v19, 0x80000000, v19
	s_delay_alu instid0(VALU_DEP_2) | instskip(NEXT) | instid1(VALU_DEP_4)
	v_cmp_eq_u32_e32 vcc_lo, 0, v43
	v_dual_cndmask_b32 v42, v43, v42 :: v_dual_and_b32 v23, 3, v23
	s_delay_alu instid0(VALU_DEP_1) | instskip(NEXT) | instid1(VALU_DEP_2)
	v_cndmask_b32_e32 v23, v41, v23, vcc_lo
	v_lshl_add_u32 v41, v42, 23, 0x37800000
	s_delay_alu instid0(VALU_DEP_2) | instskip(NEXT) | instid1(VALU_DEP_1)
	v_lshlrev_b32_e32 v23, 21, v23
	v_or3_b32 v41, v19, v41, v23
.LBB6_776:                              ;   in Loop: Header=BB6_144 Depth=2
	s_or_b32 exec_lo, exec_lo, s24
	s_delay_alu instid0(VALU_DEP_1) | instskip(NEXT) | instid1(VALU_DEP_1)
	v_mul_f32_e32 v23, v40, v41
	v_and_b32_e32 v19, 0x7f800000, v23
	s_delay_alu instid0(VALU_DEP_1)
	v_cmp_ne_u32_e32 vcc_lo, 0x7f800000, v19
	v_mov_b32_e32 v19, 0x8000
	s_and_saveexec_b32 s24, vcc_lo
	s_cbranch_execz .LBB6_784
; %bb.777:                              ;   in Loop: Header=BB6_144 Depth=2
	v_mov_b32_e32 v19, 0
	s_mov_b32 s25, exec_lo
	v_cmpx_ne_u32_e32 0, v23
	s_cbranch_execz .LBB6_783
; %bb.778:                              ;   in Loop: Header=BB6_144 Depth=2
	v_bfe_u32 v19, v23, 23, 8
	s_delay_alu instid0(VALU_DEP_1) | instskip(SKIP_1) | instid1(VALU_DEP_2)
	v_sub_nc_u32_e32 v41, 0x70, v19
	v_cmp_gt_u32_e32 vcc_lo, 0x71, v19
	v_dual_cndmask_b32 v41, 0, v41 :: v_dual_and_b32 v40, 0x7fffff, v23
	s_delay_alu instid0(VALU_DEP_1) | instskip(SKIP_2) | instid1(VALU_DEP_4)
	v_or_b32_e32 v42, 0x800000, v40
	v_cmp_eq_u32_e32 vcc_lo, 0, v19
	v_add_nc_u32_e32 v19, 0xffffff91, v19
	v_cndmask_b32_e64 v41, v41, 0x6f, vcc_lo
	s_delay_alu instid0(VALU_DEP_4) | instskip(NEXT) | instid1(VALU_DEP_3)
	v_cndmask_b32_e32 v40, v42, v40, vcc_lo
	v_cndmask_b32_e64 v19, v19, 0xffffff92, vcc_lo
	s_delay_alu instid0(VALU_DEP_3) | instskip(NEXT) | instid1(VALU_DEP_3)
	v_lshl_add_u32 v42, 0x200000, v41, -1
	v_lshrrev_b32_e32 v43, v41, v40
	v_lshlrev_b32_e64 v45, v41, 0x100000
	s_delay_alu instid0(VALU_DEP_4) | instskip(NEXT) | instid1(VALU_DEP_4)
	v_add_nc_u32_e32 v41, v41, v19
	v_and_b32_e32 v40, v42, v40
	s_delay_alu instid0(VALU_DEP_4) | instskip(NEXT) | instid1(VALU_DEP_2)
	v_bfe_u32 v44, v43, 21, 1
	v_cmp_eq_u32_e64 s11, v40, v45
	s_delay_alu instid0(VALU_DEP_2) | instskip(NEXT) | instid1(VALU_DEP_1)
	v_add_nc_u32_e32 v42, -1, v44
	v_cndmask_b32_e64 v40, 0, v42, s11
	v_lshrrev_b32_e32 v42, 23, v43
	s_mov_b32 s11, exec_lo
	s_delay_alu instid0(VALU_DEP_2) | instskip(NEXT) | instid1(VALU_DEP_2)
	v_add_nc_u32_e32 v40, v40, v43
	v_xor_b32_e32 v42, 1, v42
	s_delay_alu instid0(VALU_DEP_2) | instskip(NEXT) | instid1(VALU_DEP_1)
	v_and_b32_e32 v19, 0x1fffff, v40
	v_add_nc_u32_e32 v40, v19, v43
                                        ; implicit-def: $vgpr19
	s_delay_alu instid0(VALU_DEP_3)
	v_cmpx_ne_u32_e64 v41, v42
	s_xor_b32 s11, exec_lo, s11
; %bb.779:                              ;   in Loop: Header=BB6_144 Depth=2
	s_delay_alu instid0(VALU_DEP_2) | instskip(SKIP_2) | instid1(VALU_DEP_2)
	v_cmp_lt_u32_e32 vcc_lo, 0xffffff, v40
	v_sub_nc_u32_e32 v19, v41, v42
	v_cndmask_b32_e64 v41, 0, 1, vcc_lo
	v_add_co_ci_u32_e32 v19, vcc_lo, 0, v19, vcc_lo
	s_delay_alu instid0(VALU_DEP_2)
	v_lshrrev_b32_e32 v40, v41, v40
; %bb.780:                              ;   in Loop: Header=BB6_144 Depth=2
	s_and_not1_saveexec_b32 s11, s11
; %bb.781:                              ;   in Loop: Header=BB6_144 Depth=2
	s_delay_alu instid0(VALU_DEP_1)
	v_bfe_u32 v19, v40, 23, 1
; %bb.782:                              ;   in Loop: Header=BB6_144 Depth=2
	s_or_b32 exec_lo, exec_lo, s11
	v_lshrrev_b32_e32 v40, 21, v40
	s_delay_alu instid0(VALU_DEP_2) | instskip(SKIP_2) | instid1(VALU_DEP_2)
	v_cmp_gt_i32_e32 vcc_lo, 32, v19
	v_min_i32_e32 v41, 31, v19
	v_lshrrev_b32_e32 v23, 24, v23
	v_dual_cndmask_b32 v40, 3, v40 :: v_dual_lshlrev_b32 v41, 2, v41
	s_delay_alu instid0(VALU_DEP_2) | instskip(NEXT) | instid1(VALU_DEP_2)
	v_and_b32_e32 v23, 0x80, v23
	v_or_b32_e32 v19, v19, v40
	s_delay_alu instid0(VALU_DEP_3) | instskip(NEXT) | instid1(VALU_DEP_2)
	v_and_b32_e32 v41, 0xfc, v41
	v_cmp_ne_u32_e32 vcc_lo, 0, v19
	v_and_b32_e32 v42, 3, v40
	s_delay_alu instid0(VALU_DEP_1) | instskip(NEXT) | instid1(VALU_DEP_1)
	v_or3_b32 v23, v23, v41, v42
	v_lshlrev_b32_e32 v23, 8, v23
	s_delay_alu instid0(VALU_DEP_1)
	v_cndmask_b32_e32 v19, 0, v23, vcc_lo
.LBB6_783:                              ;   in Loop: Header=BB6_144 Depth=2
	s_or_b32 exec_lo, exec_lo, s25
.LBB6_784:                              ;   in Loop: Header=BB6_144 Depth=2
	s_delay_alu instid0(SALU_CYCLE_1) | instskip(SKIP_3) | instid1(VALU_DEP_1)
	s_or_b32 exec_lo, exec_lo, s24
	v_and_b32_e32 v40, 0xff, v24
	s_mov_b32 s11, 0
	s_mov_b32 s25, exec_lo
                                        ; implicit-def: $sgpr24
	v_cmpx_lt_i16_e32 0x7f, v40
	s_xor_b32 s25, exec_lo, s25
	s_cbranch_execnz .LBB6_1486
; %bb.785:                              ;   in Loop: Header=BB6_144 Depth=2
	s_or_saveexec_b32 s25, s25
	v_mov_b32_e32 v23, s24
	s_xor_b32 exec_lo, exec_lo, s25
	s_cbranch_execnz .LBB6_1489
.LBB6_786:                              ;   in Loop: Header=BB6_144 Depth=2
	s_or_b32 exec_lo, exec_lo, s25
	s_and_saveexec_b32 s24, s11
	s_cbranch_execz .LBB6_788
.LBB6_787:                              ;   in Loop: Header=BB6_144 Depth=2
	v_and_b32_e32 v23, 3, v24
	v_bfe_u32 v42, v24, 2, 5
	v_lshlrev_b32_e32 v43, 24, v24
	s_delay_alu instid0(VALU_DEP_3) | instskip(NEXT) | instid1(VALU_DEP_3)
	v_clz_i32_u32_e32 v40, v23
	v_cmp_eq_u32_e32 vcc_lo, 0, v42
	s_delay_alu instid0(VALU_DEP_2) | instskip(NEXT) | instid1(VALU_DEP_1)
	v_min_u32_e32 v40, 32, v40
	v_subrev_nc_u32_e32 v41, 29, v40
	v_sub_nc_u32_e32 v40, 30, v40
	s_delay_alu instid0(VALU_DEP_2) | instskip(NEXT) | instid1(VALU_DEP_1)
	v_lshlrev_b32_e32 v41, v41, v24
	v_dual_cndmask_b32 v40, v42, v40 :: v_dual_and_b32 v41, 3, v41
	s_delay_alu instid0(VALU_DEP_1) | instskip(NEXT) | instid1(VALU_DEP_2)
	v_lshl_add_u32 v40, v40, 23, 0x37800000
	v_cndmask_b32_e32 v23, v23, v41, vcc_lo
	v_and_b32_e32 v41, 0x80000000, v43
	s_delay_alu instid0(VALU_DEP_2) | instskip(NEXT) | instid1(VALU_DEP_1)
	v_lshlrev_b32_e32 v23, 21, v23
	v_or3_b32 v23, v41, v40, v23
.LBB6_788:                              ;   in Loop: Header=BB6_144 Depth=2
	s_or_b32 exec_lo, exec_lo, s24
	v_and_b32_e32 v41, 0xff, v20
	s_mov_b32 s11, 0
	s_mov_b32 s25, exec_lo
                                        ; implicit-def: $sgpr24
	s_delay_alu instid0(VALU_DEP_1)
	v_cmpx_lt_i16_e32 0x7f, v41
	s_xor_b32 s25, exec_lo, s25
	s_cbranch_execnz .LBB6_1490
; %bb.789:                              ;   in Loop: Header=BB6_144 Depth=2
	s_or_saveexec_b32 s25, s25
	v_mov_b32_e32 v40, s24
	s_xor_b32 exec_lo, exec_lo, s25
	s_cbranch_execnz .LBB6_1493
.LBB6_790:                              ;   in Loop: Header=BB6_144 Depth=2
	s_or_b32 exec_lo, exec_lo, s25
	s_and_saveexec_b32 s24, s11
	s_cbranch_execz .LBB6_792
.LBB6_791:                              ;   in Loop: Header=BB6_144 Depth=2
	v_bfe_u32 v43, v20, 2, 5
	v_lshlrev_b32_e32 v44, 24, v20
	s_delay_alu instid0(VALU_DEP_2) | instskip(SKIP_1) | instid1(VALU_DEP_1)
	v_cmp_eq_u32_e32 vcc_lo, 0, v43
	v_and_b32_e32 v40, 3, v20
	v_clz_i32_u32_e32 v41, v40
	s_delay_alu instid0(VALU_DEP_1) | instskip(NEXT) | instid1(VALU_DEP_1)
	v_min_u32_e32 v41, 32, v41
	v_subrev_nc_u32_e32 v42, 29, v41
	v_sub_nc_u32_e32 v41, 30, v41
	s_delay_alu instid0(VALU_DEP_1) | instskip(NEXT) | instid1(VALU_DEP_1)
	v_dual_cndmask_b32 v41, v43, v41 :: v_dual_lshlrev_b32 v42, v42, v20
	v_and_b32_e32 v42, 3, v42
	s_delay_alu instid0(VALU_DEP_2) | instskip(NEXT) | instid1(VALU_DEP_2)
	v_lshl_add_u32 v41, v41, 23, 0x37800000
	v_cndmask_b32_e32 v40, v40, v42, vcc_lo
	v_and_b32_e32 v42, 0x80000000, v44
	s_delay_alu instid0(VALU_DEP_2) | instskip(NEXT) | instid1(VALU_DEP_1)
	v_lshlrev_b32_e32 v40, 21, v40
	v_or3_b32 v40, v42, v41, v40
.LBB6_792:                              ;   in Loop: Header=BB6_144 Depth=2
	s_or_b32 exec_lo, exec_lo, s24
	s_delay_alu instid0(VALU_DEP_1) | instskip(NEXT) | instid1(VALU_DEP_1)
	v_mul_f32_e32 v40, v23, v40
	v_and_b32_e32 v23, 0x7f800000, v40
	s_delay_alu instid0(VALU_DEP_1)
	v_cmp_ne_u32_e32 vcc_lo, 0x7f800000, v23
	v_mov_b32_e32 v23, 0x80
	s_and_saveexec_b32 s24, vcc_lo
	s_cbranch_execz .LBB6_800
; %bb.793:                              ;   in Loop: Header=BB6_144 Depth=2
	v_mov_b32_e32 v23, 0
	s_mov_b32 s25, exec_lo
	v_cmpx_ne_u32_e32 0, v40
	s_cbranch_execz .LBB6_799
; %bb.794:                              ;   in Loop: Header=BB6_144 Depth=2
	v_bfe_u32 v23, v40, 23, 8
	s_delay_alu instid0(VALU_DEP_1) | instskip(SKIP_1) | instid1(VALU_DEP_2)
	v_sub_nc_u32_e32 v42, 0x70, v23
	v_cmp_gt_u32_e32 vcc_lo, 0x71, v23
	v_dual_cndmask_b32 v42, 0, v42 :: v_dual_and_b32 v41, 0x7fffff, v40
	s_delay_alu instid0(VALU_DEP_1) | instskip(SKIP_2) | instid1(VALU_DEP_4)
	v_or_b32_e32 v43, 0x800000, v41
	v_cmp_eq_u32_e32 vcc_lo, 0, v23
	v_add_nc_u32_e32 v23, 0xffffff91, v23
	v_cndmask_b32_e64 v42, v42, 0x6f, vcc_lo
	s_delay_alu instid0(VALU_DEP_2) | instskip(SKIP_1) | instid1(VALU_DEP_3)
	v_cndmask_b32_e64 v23, v23, 0xffffff92, vcc_lo
	v_cndmask_b32_e32 v41, v43, v41, vcc_lo
	v_lshl_add_u32 v43, 0x200000, v42, -1
	v_lshlrev_b32_e64 v46, v42, 0x100000
	s_delay_alu instid0(VALU_DEP_3) | instskip(SKIP_1) | instid1(VALU_DEP_4)
	v_lshrrev_b32_e32 v44, v42, v41
	v_add_nc_u32_e32 v42, v42, v23
	v_and_b32_e32 v41, v43, v41
	s_delay_alu instid0(VALU_DEP_3) | instskip(NEXT) | instid1(VALU_DEP_2)
	v_bfe_u32 v45, v44, 21, 1
	v_cmp_eq_u32_e64 s11, v41, v46
	s_delay_alu instid0(VALU_DEP_2) | instskip(NEXT) | instid1(VALU_DEP_1)
	v_add_nc_u32_e32 v43, -1, v45
	v_cndmask_b32_e64 v41, 0, v43, s11
	v_lshrrev_b32_e32 v43, 23, v44
	s_mov_b32 s11, exec_lo
	s_delay_alu instid0(VALU_DEP_2) | instskip(NEXT) | instid1(VALU_DEP_2)
	v_add_nc_u32_e32 v41, v41, v44
	v_xor_b32_e32 v43, 1, v43
	s_delay_alu instid0(VALU_DEP_2) | instskip(NEXT) | instid1(VALU_DEP_1)
	v_and_b32_e32 v23, 0x1fffff, v41
	v_add_nc_u32_e32 v41, v23, v44
                                        ; implicit-def: $vgpr23
	s_delay_alu instid0(VALU_DEP_3)
	v_cmpx_ne_u32_e64 v42, v43
	s_xor_b32 s11, exec_lo, s11
; %bb.795:                              ;   in Loop: Header=BB6_144 Depth=2
	s_delay_alu instid0(VALU_DEP_2) | instskip(SKIP_2) | instid1(VALU_DEP_2)
	v_cmp_lt_u32_e32 vcc_lo, 0xffffff, v41
	v_sub_nc_u32_e32 v23, v42, v43
	v_cndmask_b32_e64 v42, 0, 1, vcc_lo
	v_add_co_ci_u32_e32 v23, vcc_lo, 0, v23, vcc_lo
	s_delay_alu instid0(VALU_DEP_2)
	v_lshrrev_b32_e32 v41, v42, v41
; %bb.796:                              ;   in Loop: Header=BB6_144 Depth=2
	s_and_not1_saveexec_b32 s11, s11
; %bb.797:                              ;   in Loop: Header=BB6_144 Depth=2
	s_delay_alu instid0(VALU_DEP_1)
	v_bfe_u32 v23, v41, 23, 1
; %bb.798:                              ;   in Loop: Header=BB6_144 Depth=2
	s_or_b32 exec_lo, exec_lo, s11
	v_lshrrev_b32_e32 v41, 21, v41
	s_delay_alu instid0(VALU_DEP_2) | instskip(SKIP_2) | instid1(VALU_DEP_2)
	v_cmp_gt_i32_e32 vcc_lo, 32, v23
	v_lshrrev_b32_e32 v40, 24, v40
	v_min_i32_e32 v42, 31, v23
	v_dual_cndmask_b32 v41, 3, v41 :: v_dual_and_b32 v40, 0x80, v40
	s_delay_alu instid0(VALU_DEP_1) | instskip(SKIP_1) | instid1(VALU_DEP_2)
	v_or_b32_e32 v23, v23, v41
	v_and_b32_e32 v43, 3, v41
	v_cmp_ne_u32_e32 vcc_lo, 0, v23
	v_lshlrev_b32_e32 v42, 2, v42
	s_delay_alu instid0(VALU_DEP_1) | instskip(NEXT) | instid1(VALU_DEP_1)
	v_or3_b32 v40, v42, v40, v43
	v_cndmask_b32_e32 v23, 0, v40, vcc_lo
.LBB6_799:                              ;   in Loop: Header=BB6_144 Depth=2
	s_or_b32 exec_lo, exec_lo, s25
.LBB6_800:                              ;   in Loop: Header=BB6_144 Depth=2
	s_delay_alu instid0(SALU_CYCLE_1) | instskip(SKIP_3) | instid1(VALU_DEP_1)
	s_or_b32 exec_lo, exec_lo, s24
	v_lshrrev_b16 v41, 8, v24
	s_mov_b32 s11, 0
	s_mov_b32 s25, exec_lo
                                        ; implicit-def: $sgpr24
	v_cmpx_lt_i16_e32 0x7f, v41
	s_xor_b32 s25, exec_lo, s25
	s_cbranch_execnz .LBB6_1494
; %bb.801:                              ;   in Loop: Header=BB6_144 Depth=2
	s_or_saveexec_b32 s25, s25
	v_mov_b32_e32 v40, s24
	s_xor_b32 exec_lo, exec_lo, s25
	s_cbranch_execnz .LBB6_1497
.LBB6_802:                              ;   in Loop: Header=BB6_144 Depth=2
	s_or_b32 exec_lo, exec_lo, s25
	s_and_saveexec_b32 s24, s11
	s_cbranch_execz .LBB6_804
.LBB6_803:                              ;   in Loop: Header=BB6_144 Depth=2
	v_and_b32_e32 v40, 0xffff, v41
	s_delay_alu instid0(VALU_DEP_1) | instskip(NEXT) | instid1(VALU_DEP_1)
	v_and_b32_e32 v42, 3, v40
	v_clz_i32_u32_e32 v43, v42
	s_delay_alu instid0(VALU_DEP_1) | instskip(NEXT) | instid1(VALU_DEP_1)
	v_min_u32_e32 v43, 32, v43
	v_subrev_nc_u32_e32 v44, 29, v43
	v_sub_nc_u32_e32 v43, 30, v43
	s_delay_alu instid0(VALU_DEP_2) | instskip(SKIP_1) | instid1(VALU_DEP_2)
	v_lshlrev_b32_e32 v44, v44, v40
	v_bfe_u32 v40, v40, 2, 5
	v_and_b32_e32 v44, 3, v44
	s_delay_alu instid0(VALU_DEP_2) | instskip(SKIP_1) | instid1(VALU_DEP_1)
	v_cmp_eq_u32_e32 vcc_lo, 0, v40
	v_dual_cndmask_b32 v40, v40, v43 :: v_dual_lshlrev_b32 v41, 24, v41
	v_dual_cndmask_b32 v42, v42, v44 :: v_dual_and_b32 v41, 0x80000000, v41
	s_delay_alu instid0(VALU_DEP_2) | instskip(NEXT) | instid1(VALU_DEP_2)
	v_lshl_add_u32 v40, v40, 23, 0x37800000
	v_lshlrev_b32_e32 v42, 21, v42
	s_delay_alu instid0(VALU_DEP_1)
	v_or3_b32 v40, v41, v40, v42
.LBB6_804:                              ;   in Loop: Header=BB6_144 Depth=2
	s_or_b32 exec_lo, exec_lo, s24
	v_lshrrev_b16 v41, 8, v20
	s_mov_b32 s11, 0
	s_mov_b32 s25, exec_lo
                                        ; implicit-def: $sgpr24
	s_delay_alu instid0(VALU_DEP_1)
	v_cmpx_lt_i16_e32 0x7f, v41
	s_xor_b32 s25, exec_lo, s25
	s_cbranch_execnz .LBB6_1498
; %bb.805:                              ;   in Loop: Header=BB6_144 Depth=2
	s_or_saveexec_b32 s25, s25
	v_mov_b32_e32 v42, s24
	s_xor_b32 exec_lo, exec_lo, s25
	s_cbranch_execnz .LBB6_1501
.LBB6_806:                              ;   in Loop: Header=BB6_144 Depth=2
	s_or_b32 exec_lo, exec_lo, s25
	s_and_saveexec_b32 s24, s11
	s_cbranch_execz .LBB6_808
.LBB6_807:                              ;   in Loop: Header=BB6_144 Depth=2
	v_and_b32_e32 v42, 0xffff, v41
	v_lshlrev_b32_e32 v41, 24, v41
	s_delay_alu instid0(VALU_DEP_2) | instskip(NEXT) | instid1(VALU_DEP_2)
	v_and_b32_e32 v43, 3, v42
	v_and_b32_e32 v41, 0x80000000, v41
	s_delay_alu instid0(VALU_DEP_2) | instskip(NEXT) | instid1(VALU_DEP_1)
	v_clz_i32_u32_e32 v44, v43
	v_min_u32_e32 v44, 32, v44
	s_delay_alu instid0(VALU_DEP_1) | instskip(SKIP_1) | instid1(VALU_DEP_2)
	v_subrev_nc_u32_e32 v45, 29, v44
	v_sub_nc_u32_e32 v44, 30, v44
	v_lshlrev_b32_e32 v45, v45, v42
	v_bfe_u32 v42, v42, 2, 5
	s_delay_alu instid0(VALU_DEP_2) | instskip(NEXT) | instid1(VALU_DEP_2)
	v_and_b32_e32 v45, 3, v45
	v_cmp_eq_u32_e32 vcc_lo, 0, v42
	s_delay_alu instid0(VALU_DEP_2) | instskip(NEXT) | instid1(VALU_DEP_1)
	v_dual_cndmask_b32 v42, v42, v44 :: v_dual_cndmask_b32 v43, v43, v45
	v_lshl_add_u32 v42, v42, 23, 0x37800000
	s_delay_alu instid0(VALU_DEP_2) | instskip(NEXT) | instid1(VALU_DEP_1)
	v_lshlrev_b32_e32 v43, 21, v43
	v_or3_b32 v42, v41, v42, v43
.LBB6_808:                              ;   in Loop: Header=BB6_144 Depth=2
	s_or_b32 exec_lo, exec_lo, s24
	s_delay_alu instid0(VALU_DEP_1) | instskip(NEXT) | instid1(VALU_DEP_1)
	v_mul_f32_e32 v41, v40, v42
	v_and_b32_e32 v40, 0x7f800000, v41
	s_delay_alu instid0(VALU_DEP_1)
	v_cmp_ne_u32_e32 vcc_lo, 0x7f800000, v40
	v_mov_b32_e32 v40, 0x80
	s_and_saveexec_b32 s24, vcc_lo
	s_cbranch_execz .LBB6_816
; %bb.809:                              ;   in Loop: Header=BB6_144 Depth=2
	v_mov_b32_e32 v40, 0
	s_mov_b32 s25, exec_lo
	v_cmpx_ne_u32_e32 0, v41
	s_cbranch_execz .LBB6_815
; %bb.810:                              ;   in Loop: Header=BB6_144 Depth=2
	v_bfe_u32 v40, v41, 23, 8
	s_delay_alu instid0(VALU_DEP_1) | instskip(SKIP_1) | instid1(VALU_DEP_2)
	v_sub_nc_u32_e32 v43, 0x70, v40
	v_cmp_gt_u32_e32 vcc_lo, 0x71, v40
	v_dual_cndmask_b32 v43, 0, v43 :: v_dual_and_b32 v42, 0x7fffff, v41
	s_delay_alu instid0(VALU_DEP_1) | instskip(SKIP_2) | instid1(VALU_DEP_4)
	v_or_b32_e32 v44, 0x800000, v42
	v_cmp_eq_u32_e32 vcc_lo, 0, v40
	v_add_nc_u32_e32 v40, 0xffffff91, v40
	v_cndmask_b32_e64 v43, v43, 0x6f, vcc_lo
	s_delay_alu instid0(VALU_DEP_2) | instskip(SKIP_1) | instid1(VALU_DEP_3)
	v_cndmask_b32_e64 v40, v40, 0xffffff92, vcc_lo
	v_cndmask_b32_e32 v42, v44, v42, vcc_lo
	v_lshl_add_u32 v44, 0x200000, v43, -1
	v_lshlrev_b32_e64 v47, v43, 0x100000
	s_delay_alu instid0(VALU_DEP_3) | instskip(SKIP_1) | instid1(VALU_DEP_4)
	v_lshrrev_b32_e32 v45, v43, v42
	v_add_nc_u32_e32 v43, v43, v40
	v_and_b32_e32 v42, v44, v42
	s_delay_alu instid0(VALU_DEP_3) | instskip(NEXT) | instid1(VALU_DEP_2)
	v_bfe_u32 v46, v45, 21, 1
	v_cmp_eq_u32_e64 s11, v42, v47
	s_delay_alu instid0(VALU_DEP_2) | instskip(NEXT) | instid1(VALU_DEP_1)
	v_add_nc_u32_e32 v44, -1, v46
	v_cndmask_b32_e64 v42, 0, v44, s11
	v_lshrrev_b32_e32 v44, 23, v45
	s_mov_b32 s11, exec_lo
	s_delay_alu instid0(VALU_DEP_2) | instskip(NEXT) | instid1(VALU_DEP_2)
	v_add_nc_u32_e32 v42, v42, v45
	v_xor_b32_e32 v44, 1, v44
	s_delay_alu instid0(VALU_DEP_2) | instskip(NEXT) | instid1(VALU_DEP_1)
	v_and_b32_e32 v40, 0x1fffff, v42
	v_add_nc_u32_e32 v42, v40, v45
                                        ; implicit-def: $vgpr40
	s_delay_alu instid0(VALU_DEP_3)
	v_cmpx_ne_u32_e64 v43, v44
	s_xor_b32 s11, exec_lo, s11
; %bb.811:                              ;   in Loop: Header=BB6_144 Depth=2
	s_delay_alu instid0(VALU_DEP_2) | instskip(SKIP_2) | instid1(VALU_DEP_2)
	v_cmp_lt_u32_e32 vcc_lo, 0xffffff, v42
	v_sub_nc_u32_e32 v40, v43, v44
	v_cndmask_b32_e64 v43, 0, 1, vcc_lo
	v_add_co_ci_u32_e32 v40, vcc_lo, 0, v40, vcc_lo
	s_delay_alu instid0(VALU_DEP_2)
	v_lshrrev_b32_e32 v42, v43, v42
; %bb.812:                              ;   in Loop: Header=BB6_144 Depth=2
	s_and_not1_saveexec_b32 s11, s11
; %bb.813:                              ;   in Loop: Header=BB6_144 Depth=2
	s_delay_alu instid0(VALU_DEP_1)
	v_bfe_u32 v40, v42, 23, 1
; %bb.814:                              ;   in Loop: Header=BB6_144 Depth=2
	s_or_b32 exec_lo, exec_lo, s11
	v_lshrrev_b32_e32 v42, 21, v42
	s_delay_alu instid0(VALU_DEP_2) | instskip(SKIP_2) | instid1(VALU_DEP_2)
	v_cmp_gt_i32_e32 vcc_lo, 32, v40
	v_lshrrev_b32_e32 v41, 24, v41
	v_min_i32_e32 v43, 31, v40
	v_dual_cndmask_b32 v42, 3, v42 :: v_dual_and_b32 v41, 0x80, v41
	s_delay_alu instid0(VALU_DEP_1) | instskip(SKIP_1) | instid1(VALU_DEP_2)
	v_or_b32_e32 v40, v40, v42
	v_and_b32_e32 v44, 3, v42
	v_cmp_ne_u32_e32 vcc_lo, 0, v40
	v_lshlrev_b32_e32 v43, 2, v43
	s_delay_alu instid0(VALU_DEP_1) | instskip(NEXT) | instid1(VALU_DEP_1)
	v_or3_b32 v41, v43, v41, v44
	v_cndmask_b32_e32 v40, 0, v41, vcc_lo
.LBB6_815:                              ;   in Loop: Header=BB6_144 Depth=2
	s_or_b32 exec_lo, exec_lo, s25
.LBB6_816:                              ;   in Loop: Header=BB6_144 Depth=2
	s_delay_alu instid0(SALU_CYCLE_1) | instskip(SKIP_3) | instid1(VALU_DEP_1)
	s_or_b32 exec_lo, exec_lo, s24
	v_lshrrev_b32_e32 v42, 16, v24
	s_mov_b32 s11, 0
	s_mov_b32 s25, exec_lo
                                        ; implicit-def: $sgpr24
	v_and_b32_e32 v43, 0xff, v42
	s_delay_alu instid0(VALU_DEP_1)
	v_cmpx_lt_i16_e32 0x7f, v43
	s_xor_b32 s25, exec_lo, s25
	s_cbranch_execnz .LBB6_1502
; %bb.817:                              ;   in Loop: Header=BB6_144 Depth=2
	s_or_saveexec_b32 s25, s25
	v_mov_b32_e32 v41, s24
	s_xor_b32 exec_lo, exec_lo, s25
	s_cbranch_execnz .LBB6_1505
.LBB6_818:                              ;   in Loop: Header=BB6_144 Depth=2
	s_or_b32 exec_lo, exec_lo, s25
	s_and_saveexec_b32 s24, s11
	s_cbranch_execz .LBB6_820
.LBB6_819:                              ;   in Loop: Header=BB6_144 Depth=2
	v_bfe_u32 v41, v24, 16, 2
	v_lshlrev_b32_e32 v45, 8, v24
	s_delay_alu instid0(VALU_DEP_2) | instskip(NEXT) | instid1(VALU_DEP_1)
	v_clz_i32_u32_e32 v43, v41
	v_min_u32_e32 v43, 32, v43
	s_delay_alu instid0(VALU_DEP_1) | instskip(SKIP_1) | instid1(VALU_DEP_2)
	v_subrev_nc_u32_e32 v44, 29, v43
	v_sub_nc_u32_e32 v43, 30, v43
	v_lshlrev_b32_e32 v42, v44, v42
	v_bfe_u32 v44, v24, 18, 5
	s_delay_alu instid0(VALU_DEP_1) | instskip(NEXT) | instid1(VALU_DEP_3)
	v_cmp_eq_u32_e32 vcc_lo, 0, v44
	v_dual_cndmask_b32 v43, v44, v43 :: v_dual_and_b32 v42, 3, v42
	s_delay_alu instid0(VALU_DEP_1) | instskip(NEXT) | instid1(VALU_DEP_2)
	v_dual_cndmask_b32 v41, v41, v42 :: v_dual_and_b32 v42, 0x80000000, v45
	v_lshl_add_u32 v43, v43, 23, 0x37800000
	s_delay_alu instid0(VALU_DEP_2) | instskip(NEXT) | instid1(VALU_DEP_1)
	v_lshlrev_b32_e32 v41, 21, v41
	v_or3_b32 v41, v42, v43, v41
.LBB6_820:                              ;   in Loop: Header=BB6_144 Depth=2
	s_or_b32 exec_lo, exec_lo, s24
	v_lshrrev_b32_e32 v42, 16, v20
	s_mov_b32 s11, 0
	s_mov_b32 s25, exec_lo
                                        ; implicit-def: $sgpr24
	s_delay_alu instid0(VALU_DEP_1) | instskip(NEXT) | instid1(VALU_DEP_1)
	v_and_b32_e32 v44, 0xff, v42
	v_cmpx_lt_i16_e32 0x7f, v44
	s_xor_b32 s25, exec_lo, s25
	s_cbranch_execnz .LBB6_1506
; %bb.821:                              ;   in Loop: Header=BB6_144 Depth=2
	s_or_saveexec_b32 s25, s25
	v_mov_b32_e32 v43, s24
	s_xor_b32 exec_lo, exec_lo, s25
	s_cbranch_execnz .LBB6_1509
.LBB6_822:                              ;   in Loop: Header=BB6_144 Depth=2
	s_or_b32 exec_lo, exec_lo, s25
	s_and_saveexec_b32 s24, s11
	s_cbranch_execz .LBB6_824
.LBB6_823:                              ;   in Loop: Header=BB6_144 Depth=2
	v_bfe_u32 v43, v20, 16, 2
	v_lshlrev_b32_e32 v46, 8, v20
	s_delay_alu instid0(VALU_DEP_2) | instskip(NEXT) | instid1(VALU_DEP_1)
	v_clz_i32_u32_e32 v44, v43
	v_min_u32_e32 v44, 32, v44
	s_delay_alu instid0(VALU_DEP_1) | instskip(SKIP_1) | instid1(VALU_DEP_2)
	v_subrev_nc_u32_e32 v45, 29, v44
	v_sub_nc_u32_e32 v44, 30, v44
	v_lshlrev_b32_e32 v42, v45, v42
	v_bfe_u32 v45, v20, 18, 5
	s_delay_alu instid0(VALU_DEP_2) | instskip(NEXT) | instid1(VALU_DEP_2)
	v_and_b32_e32 v42, 3, v42
	v_cmp_eq_u32_e32 vcc_lo, 0, v45
	v_cndmask_b32_e32 v44, v45, v44, vcc_lo
	s_delay_alu instid0(VALU_DEP_3) | instskip(SKIP_1) | instid1(VALU_DEP_3)
	v_cndmask_b32_e32 v42, v43, v42, vcc_lo
	v_and_b32_e32 v43, 0x80000000, v46
	v_lshl_add_u32 v44, v44, 23, 0x37800000
	s_delay_alu instid0(VALU_DEP_3) | instskip(NEXT) | instid1(VALU_DEP_1)
	v_lshlrev_b32_e32 v42, 21, v42
	v_or3_b32 v43, v43, v44, v42
.LBB6_824:                              ;   in Loop: Header=BB6_144 Depth=2
	s_or_b32 exec_lo, exec_lo, s24
	s_delay_alu instid0(VALU_DEP_1) | instskip(NEXT) | instid1(VALU_DEP_1)
	v_mul_f32_e32 v42, v41, v43
	v_and_b32_e32 v41, 0x7f800000, v42
	s_delay_alu instid0(VALU_DEP_1)
	v_cmp_ne_u32_e32 vcc_lo, 0x7f800000, v41
	v_mov_b32_e32 v41, 0x80
	s_and_saveexec_b32 s24, vcc_lo
	s_cbranch_execz .LBB6_832
; %bb.825:                              ;   in Loop: Header=BB6_144 Depth=2
	v_mov_b32_e32 v41, 0
	s_mov_b32 s25, exec_lo
	v_cmpx_ne_u32_e32 0, v42
	s_cbranch_execz .LBB6_831
; %bb.826:                              ;   in Loop: Header=BB6_144 Depth=2
	v_bfe_u32 v41, v42, 23, 8
	s_delay_alu instid0(VALU_DEP_1) | instskip(SKIP_1) | instid1(VALU_DEP_2)
	v_sub_nc_u32_e32 v44, 0x70, v41
	v_cmp_gt_u32_e32 vcc_lo, 0x71, v41
	v_dual_cndmask_b32 v44, 0, v44 :: v_dual_and_b32 v43, 0x7fffff, v42
	s_delay_alu instid0(VALU_DEP_1) | instskip(SKIP_2) | instid1(VALU_DEP_4)
	v_or_b32_e32 v45, 0x800000, v43
	v_cmp_eq_u32_e32 vcc_lo, 0, v41
	v_add_nc_u32_e32 v41, 0xffffff91, v41
	v_cndmask_b32_e64 v44, v44, 0x6f, vcc_lo
	s_delay_alu instid0(VALU_DEP_2) | instskip(SKIP_1) | instid1(VALU_DEP_3)
	v_cndmask_b32_e64 v41, v41, 0xffffff92, vcc_lo
	v_cndmask_b32_e32 v43, v45, v43, vcc_lo
	v_lshl_add_u32 v45, 0x200000, v44, -1
	v_lshlrev_b32_e64 v56, v44, 0x100000
	s_delay_alu instid0(VALU_DEP_3) | instskip(SKIP_1) | instid1(VALU_DEP_4)
	v_lshrrev_b32_e32 v46, v44, v43
	v_add_nc_u32_e32 v44, v44, v41
	v_and_b32_e32 v43, v45, v43
	s_delay_alu instid0(VALU_DEP_3) | instskip(NEXT) | instid1(VALU_DEP_2)
	v_bfe_u32 v47, v46, 21, 1
	v_cmp_eq_u32_e64 s11, v43, v56
	s_delay_alu instid0(VALU_DEP_2) | instskip(NEXT) | instid1(VALU_DEP_1)
	v_add_nc_u32_e32 v45, -1, v47
	v_cndmask_b32_e64 v43, 0, v45, s11
	v_lshrrev_b32_e32 v45, 23, v46
	s_mov_b32 s11, exec_lo
	s_delay_alu instid0(VALU_DEP_2) | instskip(NEXT) | instid1(VALU_DEP_2)
	v_add_nc_u32_e32 v43, v43, v46
	v_xor_b32_e32 v45, 1, v45
	s_delay_alu instid0(VALU_DEP_2) | instskip(NEXT) | instid1(VALU_DEP_1)
	v_and_b32_e32 v41, 0x1fffff, v43
	v_add_nc_u32_e32 v43, v41, v46
                                        ; implicit-def: $vgpr41
	s_delay_alu instid0(VALU_DEP_3)
	v_cmpx_ne_u32_e64 v44, v45
	s_xor_b32 s11, exec_lo, s11
; %bb.827:                              ;   in Loop: Header=BB6_144 Depth=2
	s_delay_alu instid0(VALU_DEP_2) | instskip(SKIP_2) | instid1(VALU_DEP_2)
	v_cmp_lt_u32_e32 vcc_lo, 0xffffff, v43
	v_sub_nc_u32_e32 v41, v44, v45
	v_cndmask_b32_e64 v44, 0, 1, vcc_lo
	v_add_co_ci_u32_e32 v41, vcc_lo, 0, v41, vcc_lo
	s_delay_alu instid0(VALU_DEP_2)
	v_lshrrev_b32_e32 v43, v44, v43
; %bb.828:                              ;   in Loop: Header=BB6_144 Depth=2
	s_and_not1_saveexec_b32 s11, s11
; %bb.829:                              ;   in Loop: Header=BB6_144 Depth=2
	s_delay_alu instid0(VALU_DEP_1)
	v_bfe_u32 v41, v43, 23, 1
; %bb.830:                              ;   in Loop: Header=BB6_144 Depth=2
	s_or_b32 exec_lo, exec_lo, s11
	v_lshrrev_b32_e32 v43, 21, v43
	s_delay_alu instid0(VALU_DEP_2) | instskip(SKIP_2) | instid1(VALU_DEP_2)
	v_cmp_gt_i32_e32 vcc_lo, 32, v41
	v_lshrrev_b32_e32 v42, 24, v42
	v_min_i32_e32 v44, 31, v41
	v_dual_cndmask_b32 v43, 3, v43 :: v_dual_and_b32 v42, 0x80, v42
	s_delay_alu instid0(VALU_DEP_1) | instskip(SKIP_1) | instid1(VALU_DEP_2)
	v_or_b32_e32 v41, v41, v43
	v_and_b32_e32 v45, 3, v43
	v_cmp_ne_u32_e32 vcc_lo, 0, v41
	v_lshlrev_b32_e32 v44, 2, v44
	s_delay_alu instid0(VALU_DEP_1) | instskip(NEXT) | instid1(VALU_DEP_1)
	v_or3_b32 v42, v44, v42, v45
	v_cndmask_b32_e32 v41, 0, v42, vcc_lo
.LBB6_831:                              ;   in Loop: Header=BB6_144 Depth=2
	s_or_b32 exec_lo, exec_lo, s25
.LBB6_832:                              ;   in Loop: Header=BB6_144 Depth=2
	s_delay_alu instid0(SALU_CYCLE_1) | instskip(SKIP_3) | instid1(VALU_DEP_1)
	s_or_b32 exec_lo, exec_lo, s24
	v_lshrrev_b32_e32 v43, 24, v24
	s_mov_b32 s11, 0
	s_mov_b32 s25, exec_lo
                                        ; implicit-def: $sgpr24
	v_cmpx_lt_i16_e32 0x7f, v43
	s_xor_b32 s25, exec_lo, s25
	s_cbranch_execnz .LBB6_1510
; %bb.833:                              ;   in Loop: Header=BB6_144 Depth=2
	s_or_saveexec_b32 s25, s25
	v_mov_b32_e32 v42, s24
	s_xor_b32 exec_lo, exec_lo, s25
	s_cbranch_execnz .LBB6_1513
.LBB6_834:                              ;   in Loop: Header=BB6_144 Depth=2
	s_or_b32 exec_lo, exec_lo, s25
	s_and_saveexec_b32 s24, s11
	s_cbranch_execz .LBB6_836
.LBB6_835:                              ;   in Loop: Header=BB6_144 Depth=2
	v_bfe_u32 v42, v24, 24, 2
	s_delay_alu instid0(VALU_DEP_1) | instskip(NEXT) | instid1(VALU_DEP_1)
	v_clz_i32_u32_e32 v44, v42
	v_min_u32_e32 v44, 32, v44
	s_delay_alu instid0(VALU_DEP_1) | instskip(SKIP_1) | instid1(VALU_DEP_2)
	v_subrev_nc_u32_e32 v45, 29, v44
	v_sub_nc_u32_e32 v44, 30, v44
	v_lshlrev_b32_e32 v43, v45, v43
	v_bfe_u32 v45, v24, 26, 5
	v_and_b32_e32 v24, 0x80000000, v24
	s_delay_alu instid0(VALU_DEP_2) | instskip(NEXT) | instid1(VALU_DEP_4)
	v_cmp_eq_u32_e32 vcc_lo, 0, v45
	v_dual_cndmask_b32 v44, v45, v44 :: v_dual_and_b32 v43, 3, v43
	s_delay_alu instid0(VALU_DEP_1) | instskip(NEXT) | instid1(VALU_DEP_2)
	v_cndmask_b32_e32 v42, v42, v43, vcc_lo
	v_lshl_add_u32 v43, v44, 23, 0x37800000
	s_delay_alu instid0(VALU_DEP_2) | instskip(NEXT) | instid1(VALU_DEP_1)
	v_lshlrev_b32_e32 v42, 21, v42
	v_or3_b32 v42, v24, v43, v42
.LBB6_836:                              ;   in Loop: Header=BB6_144 Depth=2
	s_or_b32 exec_lo, exec_lo, s24
	v_lshrrev_b32_e32 v24, 24, v20
	s_mov_b32 s11, 0
	s_mov_b32 s25, exec_lo
                                        ; implicit-def: $sgpr24
	s_delay_alu instid0(VALU_DEP_1)
	v_cmpx_lt_i16_e32 0x7f, v24
	s_xor_b32 s25, exec_lo, s25
	s_cbranch_execnz .LBB6_1514
; %bb.837:                              ;   in Loop: Header=BB6_144 Depth=2
	s_or_saveexec_b32 s25, s25
	v_mov_b32_e32 v43, s24
	s_xor_b32 exec_lo, exec_lo, s25
	s_cbranch_execnz .LBB6_1517
.LBB6_838:                              ;   in Loop: Header=BB6_144 Depth=2
	s_or_b32 exec_lo, exec_lo, s25
	s_and_saveexec_b32 s24, s11
	s_cbranch_execz .LBB6_840
.LBB6_839:                              ;   in Loop: Header=BB6_144 Depth=2
	v_bfe_u32 v43, v20, 24, 2
	s_delay_alu instid0(VALU_DEP_1) | instskip(NEXT) | instid1(VALU_DEP_1)
	v_clz_i32_u32_e32 v44, v43
	v_min_u32_e32 v44, 32, v44
	s_delay_alu instid0(VALU_DEP_1) | instskip(SKIP_1) | instid1(VALU_DEP_2)
	v_subrev_nc_u32_e32 v45, 29, v44
	v_sub_nc_u32_e32 v44, 30, v44
	v_lshlrev_b32_e32 v24, v45, v24
	v_bfe_u32 v45, v20, 26, 5
	v_and_b32_e32 v20, 0x80000000, v20
	s_delay_alu instid0(VALU_DEP_3) | instskip(NEXT) | instid1(VALU_DEP_3)
	v_and_b32_e32 v24, 3, v24
	v_cmp_eq_u32_e32 vcc_lo, 0, v45
	v_cndmask_b32_e32 v44, v45, v44, vcc_lo
	s_delay_alu instid0(VALU_DEP_3) | instskip(NEXT) | instid1(VALU_DEP_2)
	v_cndmask_b32_e32 v24, v43, v24, vcc_lo
	v_lshl_add_u32 v43, v44, 23, 0x37800000
	s_delay_alu instid0(VALU_DEP_2) | instskip(NEXT) | instid1(VALU_DEP_1)
	v_lshlrev_b32_e32 v24, 21, v24
	v_or3_b32 v43, v20, v43, v24
.LBB6_840:                              ;   in Loop: Header=BB6_144 Depth=2
	s_or_b32 exec_lo, exec_lo, s24
	s_delay_alu instid0(VALU_DEP_1) | instskip(NEXT) | instid1(VALU_DEP_1)
	v_mul_f32_e32 v24, v42, v43
	v_and_b32_e32 v20, 0x7f800000, v24
	s_delay_alu instid0(VALU_DEP_1)
	v_cmp_ne_u32_e32 vcc_lo, 0x7f800000, v20
	v_mov_b32_e32 v20, 0x80
	s_and_saveexec_b32 s24, vcc_lo
	s_cbranch_execz .LBB6_848
; %bb.841:                              ;   in Loop: Header=BB6_144 Depth=2
	v_mov_b32_e32 v20, 0
	s_mov_b32 s25, exec_lo
	v_cmpx_ne_u32_e32 0, v24
	s_cbranch_execz .LBB6_847
; %bb.842:                              ;   in Loop: Header=BB6_144 Depth=2
	v_bfe_u32 v20, v24, 23, 8
	s_delay_alu instid0(VALU_DEP_1) | instskip(SKIP_1) | instid1(VALU_DEP_2)
	v_sub_nc_u32_e32 v43, 0x70, v20
	v_cmp_gt_u32_e32 vcc_lo, 0x71, v20
	v_dual_cndmask_b32 v43, 0, v43 :: v_dual_and_b32 v42, 0x7fffff, v24
	s_delay_alu instid0(VALU_DEP_1) | instskip(SKIP_2) | instid1(VALU_DEP_4)
	v_or_b32_e32 v44, 0x800000, v42
	v_cmp_eq_u32_e32 vcc_lo, 0, v20
	v_add_nc_u32_e32 v20, 0xffffff91, v20
	v_cndmask_b32_e64 v43, v43, 0x6f, vcc_lo
	s_delay_alu instid0(VALU_DEP_2) | instskip(SKIP_1) | instid1(VALU_DEP_3)
	v_cndmask_b32_e64 v20, v20, 0xffffff92, vcc_lo
	v_cndmask_b32_e32 v42, v44, v42, vcc_lo
	v_lshl_add_u32 v44, 0x200000, v43, -1
	v_lshlrev_b32_e64 v47, v43, 0x100000
	s_delay_alu instid0(VALU_DEP_3) | instskip(SKIP_1) | instid1(VALU_DEP_4)
	v_lshrrev_b32_e32 v45, v43, v42
	v_add_nc_u32_e32 v43, v43, v20
	v_and_b32_e32 v42, v44, v42
	s_delay_alu instid0(VALU_DEP_3) | instskip(NEXT) | instid1(VALU_DEP_2)
	v_bfe_u32 v46, v45, 21, 1
	v_cmp_eq_u32_e64 s11, v42, v47
	s_delay_alu instid0(VALU_DEP_2) | instskip(NEXT) | instid1(VALU_DEP_1)
	v_add_nc_u32_e32 v44, -1, v46
	v_cndmask_b32_e64 v42, 0, v44, s11
	v_lshrrev_b32_e32 v44, 23, v45
	s_mov_b32 s11, exec_lo
	s_delay_alu instid0(VALU_DEP_2) | instskip(NEXT) | instid1(VALU_DEP_2)
	v_add_nc_u32_e32 v42, v42, v45
	v_xor_b32_e32 v44, 1, v44
	s_delay_alu instid0(VALU_DEP_2) | instskip(NEXT) | instid1(VALU_DEP_1)
	v_and_b32_e32 v20, 0x1fffff, v42
	v_add_nc_u32_e32 v42, v20, v45
                                        ; implicit-def: $vgpr20
	s_delay_alu instid0(VALU_DEP_3)
	v_cmpx_ne_u32_e64 v43, v44
	s_xor_b32 s11, exec_lo, s11
; %bb.843:                              ;   in Loop: Header=BB6_144 Depth=2
	s_delay_alu instid0(VALU_DEP_2) | instskip(SKIP_2) | instid1(VALU_DEP_2)
	v_cmp_lt_u32_e32 vcc_lo, 0xffffff, v42
	v_sub_nc_u32_e32 v20, v43, v44
	v_cndmask_b32_e64 v43, 0, 1, vcc_lo
	v_add_co_ci_u32_e32 v20, vcc_lo, 0, v20, vcc_lo
	s_delay_alu instid0(VALU_DEP_2)
	v_lshrrev_b32_e32 v42, v43, v42
; %bb.844:                              ;   in Loop: Header=BB6_144 Depth=2
	s_and_not1_saveexec_b32 s11, s11
; %bb.845:                              ;   in Loop: Header=BB6_144 Depth=2
	s_delay_alu instid0(VALU_DEP_1)
	v_bfe_u32 v20, v42, 23, 1
; %bb.846:                              ;   in Loop: Header=BB6_144 Depth=2
	s_or_b32 exec_lo, exec_lo, s11
	v_lshrrev_b32_e32 v42, 21, v42
	s_delay_alu instid0(VALU_DEP_2) | instskip(SKIP_2) | instid1(VALU_DEP_4)
	v_cmp_gt_i32_e32 vcc_lo, 32, v20
	v_lshrrev_b32_e32 v24, 24, v24
	v_min_i32_e32 v43, 31, v20
	v_cndmask_b32_e32 v42, 3, v42, vcc_lo
	s_delay_alu instid0(VALU_DEP_3) | instskip(NEXT) | instid1(VALU_DEP_3)
	v_and_b32_e32 v24, 0x80, v24
	v_lshlrev_b32_e32 v43, 2, v43
	s_delay_alu instid0(VALU_DEP_3) | instskip(SKIP_1) | instid1(VALU_DEP_2)
	v_and_b32_e32 v44, 3, v42
	v_or_b32_e32 v20, v20, v42
	v_or3_b32 v24, v43, v24, v44
	s_delay_alu instid0(VALU_DEP_2) | instskip(NEXT) | instid1(VALU_DEP_2)
	v_cmp_ne_u32_e32 vcc_lo, 0, v20
	v_cndmask_b32_e32 v20, 0, v24, vcc_lo
.LBB6_847:                              ;   in Loop: Header=BB6_144 Depth=2
	s_or_b32 exec_lo, exec_lo, s25
.LBB6_848:                              ;   in Loop: Header=BB6_144 Depth=2
	s_delay_alu instid0(SALU_CYCLE_1) | instskip(SKIP_3) | instid1(VALU_DEP_1)
	s_or_b32 exec_lo, exec_lo, s24
	v_and_b32_e32 v42, 0xff, v25
	s_mov_b32 s11, 0
	s_mov_b32 s25, exec_lo
                                        ; implicit-def: $sgpr24
	v_cmpx_lt_i16_e32 0x7f, v42
	s_xor_b32 s25, exec_lo, s25
	s_cbranch_execnz .LBB6_1518
; %bb.849:                              ;   in Loop: Header=BB6_144 Depth=2
	s_or_saveexec_b32 s25, s25
	v_mov_b32_e32 v24, s24
	s_xor_b32 exec_lo, exec_lo, s25
	s_cbranch_execnz .LBB6_1521
.LBB6_850:                              ;   in Loop: Header=BB6_144 Depth=2
	s_or_b32 exec_lo, exec_lo, s25
	s_and_saveexec_b32 s24, s11
	s_cbranch_execz .LBB6_852
.LBB6_851:                              ;   in Loop: Header=BB6_144 Depth=2
	v_and_b32_e32 v24, 3, v25
	v_bfe_u32 v44, v25, 2, 5
	s_delay_alu instid0(VALU_DEP_2) | instskip(NEXT) | instid1(VALU_DEP_2)
	v_clz_i32_u32_e32 v42, v24
	v_cmp_eq_u32_e32 vcc_lo, 0, v44
	s_delay_alu instid0(VALU_DEP_2) | instskip(NEXT) | instid1(VALU_DEP_1)
	v_min_u32_e32 v42, 32, v42
	v_subrev_nc_u32_e32 v43, 29, v42
	v_sub_nc_u32_e32 v42, 30, v42
	s_delay_alu instid0(VALU_DEP_1) | instskip(NEXT) | instid1(VALU_DEP_1)
	v_dual_cndmask_b32 v42, v44, v42 :: v_dual_lshlrev_b32 v43, v43, v25
	v_and_b32_e32 v43, 3, v43
	v_lshlrev_b32_e32 v45, 24, v25
	s_delay_alu instid0(VALU_DEP_3) | instskip(NEXT) | instid1(VALU_DEP_2)
	v_lshl_add_u32 v42, v42, 23, 0x37800000
	v_dual_cndmask_b32 v24, v24, v43 :: v_dual_and_b32 v43, 0x80000000, v45
	s_delay_alu instid0(VALU_DEP_1) | instskip(NEXT) | instid1(VALU_DEP_1)
	v_lshlrev_b32_e32 v24, 21, v24
	v_or3_b32 v24, v43, v42, v24
.LBB6_852:                              ;   in Loop: Header=BB6_144 Depth=2
	s_or_b32 exec_lo, exec_lo, s24
	v_and_b32_e32 v43, 0xff, v21
	s_mov_b32 s11, 0
	s_mov_b32 s25, exec_lo
                                        ; implicit-def: $sgpr24
	s_delay_alu instid0(VALU_DEP_1)
	v_cmpx_lt_i16_e32 0x7f, v43
	s_xor_b32 s25, exec_lo, s25
	s_cbranch_execnz .LBB6_1522
; %bb.853:                              ;   in Loop: Header=BB6_144 Depth=2
	s_or_saveexec_b32 s25, s25
	v_mov_b32_e32 v42, s24
	s_xor_b32 exec_lo, exec_lo, s25
	s_cbranch_execnz .LBB6_1525
.LBB6_854:                              ;   in Loop: Header=BB6_144 Depth=2
	s_or_b32 exec_lo, exec_lo, s25
	s_and_saveexec_b32 s24, s11
	s_cbranch_execz .LBB6_856
.LBB6_855:                              ;   in Loop: Header=BB6_144 Depth=2
	v_bfe_u32 v45, v21, 2, 5
	v_lshlrev_b32_e32 v46, 24, v21
	s_delay_alu instid0(VALU_DEP_2) | instskip(SKIP_1) | instid1(VALU_DEP_1)
	v_cmp_eq_u32_e32 vcc_lo, 0, v45
	v_and_b32_e32 v42, 3, v21
	v_clz_i32_u32_e32 v43, v42
	s_delay_alu instid0(VALU_DEP_1) | instskip(NEXT) | instid1(VALU_DEP_1)
	v_min_u32_e32 v43, 32, v43
	v_subrev_nc_u32_e32 v44, 29, v43
	v_sub_nc_u32_e32 v43, 30, v43
	s_delay_alu instid0(VALU_DEP_1) | instskip(NEXT) | instid1(VALU_DEP_1)
	v_dual_cndmask_b32 v43, v45, v43 :: v_dual_lshlrev_b32 v44, v44, v21
	v_and_b32_e32 v44, 3, v44
	s_delay_alu instid0(VALU_DEP_2) | instskip(NEXT) | instid1(VALU_DEP_2)
	v_lshl_add_u32 v43, v43, 23, 0x37800000
	v_cndmask_b32_e32 v42, v42, v44, vcc_lo
	v_and_b32_e32 v44, 0x80000000, v46
	s_delay_alu instid0(VALU_DEP_2) | instskip(NEXT) | instid1(VALU_DEP_1)
	v_lshlrev_b32_e32 v42, 21, v42
	v_or3_b32 v42, v44, v43, v42
.LBB6_856:                              ;   in Loop: Header=BB6_144 Depth=2
	s_or_b32 exec_lo, exec_lo, s24
	s_delay_alu instid0(VALU_DEP_1) | instskip(NEXT) | instid1(VALU_DEP_1)
	v_mul_f32_e32 v42, v24, v42
	v_and_b32_e32 v24, 0x7f800000, v42
	s_delay_alu instid0(VALU_DEP_1)
	v_cmp_ne_u32_e32 vcc_lo, 0x7f800000, v24
	v_mov_b32_e32 v24, 0x80
	s_and_saveexec_b32 s24, vcc_lo
	s_cbranch_execz .LBB6_864
; %bb.857:                              ;   in Loop: Header=BB6_144 Depth=2
	v_mov_b32_e32 v24, 0
	s_mov_b32 s25, exec_lo
	v_cmpx_ne_u32_e32 0, v42
	s_cbranch_execz .LBB6_863
; %bb.858:                              ;   in Loop: Header=BB6_144 Depth=2
	v_bfe_u32 v24, v42, 23, 8
	s_delay_alu instid0(VALU_DEP_1) | instskip(SKIP_1) | instid1(VALU_DEP_2)
	v_sub_nc_u32_e32 v44, 0x70, v24
	v_cmp_gt_u32_e32 vcc_lo, 0x71, v24
	v_dual_cndmask_b32 v44, 0, v44 :: v_dual_and_b32 v43, 0x7fffff, v42
	s_delay_alu instid0(VALU_DEP_1) | instskip(SKIP_2) | instid1(VALU_DEP_4)
	v_or_b32_e32 v45, 0x800000, v43
	v_cmp_eq_u32_e32 vcc_lo, 0, v24
	v_add_nc_u32_e32 v24, 0xffffff91, v24
	v_cndmask_b32_e64 v44, v44, 0x6f, vcc_lo
	s_delay_alu instid0(VALU_DEP_4) | instskip(NEXT) | instid1(VALU_DEP_3)
	v_cndmask_b32_e32 v43, v45, v43, vcc_lo
	v_cndmask_b32_e64 v24, v24, 0xffffff92, vcc_lo
	s_delay_alu instid0(VALU_DEP_3) | instskip(NEXT) | instid1(VALU_DEP_3)
	v_lshl_add_u32 v45, 0x200000, v44, -1
	v_lshrrev_b32_e32 v46, v44, v43
	v_lshlrev_b32_e64 v56, v44, 0x100000
	s_delay_alu instid0(VALU_DEP_4) | instskip(NEXT) | instid1(VALU_DEP_4)
	v_add_nc_u32_e32 v44, v44, v24
	v_and_b32_e32 v43, v45, v43
	s_delay_alu instid0(VALU_DEP_4) | instskip(NEXT) | instid1(VALU_DEP_2)
	v_bfe_u32 v47, v46, 21, 1
	v_cmp_eq_u32_e64 s11, v43, v56
	s_delay_alu instid0(VALU_DEP_2) | instskip(NEXT) | instid1(VALU_DEP_1)
	v_add_nc_u32_e32 v45, -1, v47
	v_cndmask_b32_e64 v43, 0, v45, s11
	v_lshrrev_b32_e32 v45, 23, v46
	s_mov_b32 s11, exec_lo
	s_delay_alu instid0(VALU_DEP_2) | instskip(NEXT) | instid1(VALU_DEP_2)
	v_add_nc_u32_e32 v43, v43, v46
	v_xor_b32_e32 v45, 1, v45
	s_delay_alu instid0(VALU_DEP_2) | instskip(NEXT) | instid1(VALU_DEP_1)
	v_and_b32_e32 v24, 0x1fffff, v43
	v_add_nc_u32_e32 v43, v24, v46
                                        ; implicit-def: $vgpr24
	s_delay_alu instid0(VALU_DEP_3)
	v_cmpx_ne_u32_e64 v44, v45
	s_xor_b32 s11, exec_lo, s11
; %bb.859:                              ;   in Loop: Header=BB6_144 Depth=2
	s_delay_alu instid0(VALU_DEP_2) | instskip(SKIP_2) | instid1(VALU_DEP_2)
	v_cmp_lt_u32_e32 vcc_lo, 0xffffff, v43
	v_sub_nc_u32_e32 v24, v44, v45
	v_cndmask_b32_e64 v44, 0, 1, vcc_lo
	v_add_co_ci_u32_e32 v24, vcc_lo, 0, v24, vcc_lo
	s_delay_alu instid0(VALU_DEP_2)
	v_lshrrev_b32_e32 v43, v44, v43
; %bb.860:                              ;   in Loop: Header=BB6_144 Depth=2
	s_and_not1_saveexec_b32 s11, s11
; %bb.861:                              ;   in Loop: Header=BB6_144 Depth=2
	s_delay_alu instid0(VALU_DEP_1)
	v_bfe_u32 v24, v43, 23, 1
; %bb.862:                              ;   in Loop: Header=BB6_144 Depth=2
	s_or_b32 exec_lo, exec_lo, s11
	v_lshrrev_b32_e32 v43, 21, v43
	s_delay_alu instid0(VALU_DEP_2) | instskip(SKIP_2) | instid1(VALU_DEP_2)
	v_cmp_gt_i32_e32 vcc_lo, 32, v24
	v_lshrrev_b32_e32 v42, 24, v42
	v_min_i32_e32 v44, 31, v24
	v_dual_cndmask_b32 v43, 3, v43 :: v_dual_and_b32 v42, 0x80, v42
	s_delay_alu instid0(VALU_DEP_2) | instskip(NEXT) | instid1(VALU_DEP_2)
	v_lshlrev_b32_e32 v44, 2, v44
	v_or_b32_e32 v24, v24, v43
	s_delay_alu instid0(VALU_DEP_1) | instskip(SKIP_1) | instid1(VALU_DEP_1)
	v_cmp_ne_u32_e32 vcc_lo, 0, v24
	v_and_b32_e32 v45, 3, v43
	v_or3_b32 v42, v44, v42, v45
	s_delay_alu instid0(VALU_DEP_1)
	v_cndmask_b32_e32 v24, 0, v42, vcc_lo
.LBB6_863:                              ;   in Loop: Header=BB6_144 Depth=2
	s_or_b32 exec_lo, exec_lo, s25
.LBB6_864:                              ;   in Loop: Header=BB6_144 Depth=2
	s_delay_alu instid0(SALU_CYCLE_1) | instskip(SKIP_3) | instid1(VALU_DEP_1)
	s_or_b32 exec_lo, exec_lo, s24
	v_lshrrev_b16 v43, 8, v25
	s_mov_b32 s11, 0
	s_mov_b32 s25, exec_lo
                                        ; implicit-def: $sgpr24
	v_cmpx_lt_i16_e32 0x7f, v43
	s_xor_b32 s25, exec_lo, s25
	s_cbranch_execnz .LBB6_1526
; %bb.865:                              ;   in Loop: Header=BB6_144 Depth=2
	s_or_saveexec_b32 s25, s25
	v_mov_b32_e32 v42, s24
	s_xor_b32 exec_lo, exec_lo, s25
	s_cbranch_execnz .LBB6_1529
.LBB6_866:                              ;   in Loop: Header=BB6_144 Depth=2
	s_or_b32 exec_lo, exec_lo, s25
	s_and_saveexec_b32 s24, s11
	s_cbranch_execz .LBB6_868
.LBB6_867:                              ;   in Loop: Header=BB6_144 Depth=2
	v_and_b32_e32 v42, 0xffff, v43
	s_delay_alu instid0(VALU_DEP_1) | instskip(NEXT) | instid1(VALU_DEP_1)
	v_and_b32_e32 v44, 3, v42
	v_clz_i32_u32_e32 v45, v44
	s_delay_alu instid0(VALU_DEP_1) | instskip(NEXT) | instid1(VALU_DEP_1)
	v_min_u32_e32 v45, 32, v45
	v_subrev_nc_u32_e32 v46, 29, v45
	v_sub_nc_u32_e32 v45, 30, v45
	s_delay_alu instid0(VALU_DEP_2) | instskip(SKIP_1) | instid1(VALU_DEP_2)
	v_lshlrev_b32_e32 v46, v46, v42
	v_bfe_u32 v42, v42, 2, 5
	v_and_b32_e32 v46, 3, v46
	s_delay_alu instid0(VALU_DEP_2) | instskip(SKIP_1) | instid1(VALU_DEP_1)
	v_cmp_eq_u32_e32 vcc_lo, 0, v42
	v_dual_cndmask_b32 v42, v42, v45 :: v_dual_lshlrev_b32 v43, 24, v43
	v_dual_cndmask_b32 v44, v44, v46 :: v_dual_and_b32 v43, 0x80000000, v43
	s_delay_alu instid0(VALU_DEP_2) | instskip(NEXT) | instid1(VALU_DEP_2)
	v_lshl_add_u32 v42, v42, 23, 0x37800000
	v_lshlrev_b32_e32 v44, 21, v44
	s_delay_alu instid0(VALU_DEP_1)
	v_or3_b32 v42, v43, v42, v44
.LBB6_868:                              ;   in Loop: Header=BB6_144 Depth=2
	s_or_b32 exec_lo, exec_lo, s24
	v_lshrrev_b16 v43, 8, v21
	s_mov_b32 s11, 0
	s_mov_b32 s25, exec_lo
                                        ; implicit-def: $sgpr24
	s_delay_alu instid0(VALU_DEP_1)
	v_cmpx_lt_i16_e32 0x7f, v43
	s_xor_b32 s25, exec_lo, s25
	s_cbranch_execnz .LBB6_1530
; %bb.869:                              ;   in Loop: Header=BB6_144 Depth=2
	s_or_saveexec_b32 s25, s25
	v_mov_b32_e32 v44, s24
	s_xor_b32 exec_lo, exec_lo, s25
	s_cbranch_execnz .LBB6_1533
.LBB6_870:                              ;   in Loop: Header=BB6_144 Depth=2
	s_or_b32 exec_lo, exec_lo, s25
	s_and_saveexec_b32 s24, s11
	s_cbranch_execz .LBB6_872
.LBB6_871:                              ;   in Loop: Header=BB6_144 Depth=2
	v_and_b32_e32 v44, 0xffff, v43
	v_lshlrev_b32_e32 v43, 24, v43
	s_delay_alu instid0(VALU_DEP_2) | instskip(NEXT) | instid1(VALU_DEP_2)
	v_and_b32_e32 v45, 3, v44
	v_and_b32_e32 v43, 0x80000000, v43
	s_delay_alu instid0(VALU_DEP_2) | instskip(NEXT) | instid1(VALU_DEP_1)
	v_clz_i32_u32_e32 v46, v45
	v_min_u32_e32 v46, 32, v46
	s_delay_alu instid0(VALU_DEP_1) | instskip(SKIP_1) | instid1(VALU_DEP_2)
	v_subrev_nc_u32_e32 v47, 29, v46
	v_sub_nc_u32_e32 v46, 30, v46
	v_lshlrev_b32_e32 v47, v47, v44
	v_bfe_u32 v44, v44, 2, 5
	s_delay_alu instid0(VALU_DEP_2) | instskip(NEXT) | instid1(VALU_DEP_2)
	v_and_b32_e32 v47, 3, v47
	v_cmp_eq_u32_e32 vcc_lo, 0, v44
	s_delay_alu instid0(VALU_DEP_2) | instskip(NEXT) | instid1(VALU_DEP_1)
	v_dual_cndmask_b32 v44, v44, v46 :: v_dual_cndmask_b32 v45, v45, v47
	v_lshl_add_u32 v44, v44, 23, 0x37800000
	s_delay_alu instid0(VALU_DEP_2) | instskip(NEXT) | instid1(VALU_DEP_1)
	v_lshlrev_b32_e32 v45, 21, v45
	v_or3_b32 v44, v43, v44, v45
.LBB6_872:                              ;   in Loop: Header=BB6_144 Depth=2
	s_or_b32 exec_lo, exec_lo, s24
	s_delay_alu instid0(VALU_DEP_1) | instskip(NEXT) | instid1(VALU_DEP_1)
	v_mul_f32_e32 v43, v42, v44
	v_and_b32_e32 v42, 0x7f800000, v43
	s_delay_alu instid0(VALU_DEP_1)
	v_cmp_ne_u32_e32 vcc_lo, 0x7f800000, v42
	v_mov_b32_e32 v42, 0x8000
	s_and_saveexec_b32 s24, vcc_lo
	s_cbranch_execz .LBB6_880
; %bb.873:                              ;   in Loop: Header=BB6_144 Depth=2
	v_mov_b32_e32 v42, 0
	s_mov_b32 s25, exec_lo
	v_cmpx_ne_u32_e32 0, v43
	s_cbranch_execz .LBB6_879
; %bb.874:                              ;   in Loop: Header=BB6_144 Depth=2
	v_bfe_u32 v42, v43, 23, 8
	s_delay_alu instid0(VALU_DEP_1) | instskip(SKIP_1) | instid1(VALU_DEP_2)
	v_sub_nc_u32_e32 v45, 0x70, v42
	v_cmp_gt_u32_e32 vcc_lo, 0x71, v42
	v_dual_cndmask_b32 v45, 0, v45 :: v_dual_and_b32 v44, 0x7fffff, v43
	s_delay_alu instid0(VALU_DEP_1) | instskip(SKIP_2) | instid1(VALU_DEP_4)
	v_or_b32_e32 v46, 0x800000, v44
	v_cmp_eq_u32_e32 vcc_lo, 0, v42
	v_add_nc_u32_e32 v42, 0xffffff91, v42
	v_cndmask_b32_e64 v45, v45, 0x6f, vcc_lo
	s_delay_alu instid0(VALU_DEP_2) | instskip(SKIP_1) | instid1(VALU_DEP_3)
	v_cndmask_b32_e64 v42, v42, 0xffffff92, vcc_lo
	v_cndmask_b32_e32 v44, v46, v44, vcc_lo
	v_lshl_add_u32 v46, 0x200000, v45, -1
	v_lshlrev_b32_e64 v57, v45, 0x100000
	s_delay_alu instid0(VALU_DEP_3) | instskip(SKIP_1) | instid1(VALU_DEP_4)
	v_lshrrev_b32_e32 v47, v45, v44
	v_add_nc_u32_e32 v45, v45, v42
	v_and_b32_e32 v44, v46, v44
	s_delay_alu instid0(VALU_DEP_3) | instskip(NEXT) | instid1(VALU_DEP_2)
	v_bfe_u32 v56, v47, 21, 1
	v_cmp_eq_u32_e64 s11, v44, v57
	s_delay_alu instid0(VALU_DEP_2) | instskip(NEXT) | instid1(VALU_DEP_1)
	v_add_nc_u32_e32 v46, -1, v56
	v_cndmask_b32_e64 v44, 0, v46, s11
	v_lshrrev_b32_e32 v46, 23, v47
	s_mov_b32 s11, exec_lo
	s_delay_alu instid0(VALU_DEP_2) | instskip(NEXT) | instid1(VALU_DEP_2)
	v_add_nc_u32_e32 v44, v44, v47
	v_xor_b32_e32 v46, 1, v46
	s_delay_alu instid0(VALU_DEP_2) | instskip(NEXT) | instid1(VALU_DEP_1)
	v_and_b32_e32 v42, 0x1fffff, v44
	v_add_nc_u32_e32 v44, v42, v47
                                        ; implicit-def: $vgpr42
	s_delay_alu instid0(VALU_DEP_3)
	v_cmpx_ne_u32_e64 v45, v46
	s_xor_b32 s11, exec_lo, s11
; %bb.875:                              ;   in Loop: Header=BB6_144 Depth=2
	s_delay_alu instid0(VALU_DEP_2) | instskip(SKIP_2) | instid1(VALU_DEP_2)
	v_cmp_lt_u32_e32 vcc_lo, 0xffffff, v44
	v_sub_nc_u32_e32 v42, v45, v46
	v_cndmask_b32_e64 v45, 0, 1, vcc_lo
	v_add_co_ci_u32_e32 v42, vcc_lo, 0, v42, vcc_lo
	s_delay_alu instid0(VALU_DEP_2)
	v_lshrrev_b32_e32 v44, v45, v44
; %bb.876:                              ;   in Loop: Header=BB6_144 Depth=2
	s_and_not1_saveexec_b32 s11, s11
; %bb.877:                              ;   in Loop: Header=BB6_144 Depth=2
	s_delay_alu instid0(VALU_DEP_1)
	v_bfe_u32 v42, v44, 23, 1
; %bb.878:                              ;   in Loop: Header=BB6_144 Depth=2
	s_or_b32 exec_lo, exec_lo, s11
	v_lshrrev_b32_e32 v44, 21, v44
	s_delay_alu instid0(VALU_DEP_2) | instskip(SKIP_2) | instid1(VALU_DEP_2)
	v_cmp_gt_i32_e32 vcc_lo, 32, v42
	v_min_i32_e32 v45, 31, v42
	v_lshrrev_b32_e32 v43, 24, v43
	v_dual_cndmask_b32 v44, 3, v44 :: v_dual_lshlrev_b32 v45, 2, v45
	s_delay_alu instid0(VALU_DEP_2) | instskip(NEXT) | instid1(VALU_DEP_2)
	v_and_b32_e32 v43, 0x80, v43
	v_or_b32_e32 v42, v42, v44
	v_and_b32_e32 v46, 3, v44
	s_delay_alu instid0(VALU_DEP_2) | instskip(SKIP_1) | instid1(VALU_DEP_1)
	v_cmp_ne_u32_e32 vcc_lo, 0, v42
	v_and_b32_e32 v45, 0xfc, v45
	v_or3_b32 v43, v43, v45, v46
	s_delay_alu instid0(VALU_DEP_1) | instskip(NEXT) | instid1(VALU_DEP_1)
	v_lshlrev_b32_e32 v43, 8, v43
	v_cndmask_b32_e32 v42, 0, v43, vcc_lo
.LBB6_879:                              ;   in Loop: Header=BB6_144 Depth=2
	s_or_b32 exec_lo, exec_lo, s25
.LBB6_880:                              ;   in Loop: Header=BB6_144 Depth=2
	s_delay_alu instid0(SALU_CYCLE_1) | instskip(SKIP_3) | instid1(VALU_DEP_1)
	s_or_b32 exec_lo, exec_lo, s24
	v_lshrrev_b32_e32 v44, 16, v25
	s_mov_b32 s11, 0
	s_mov_b32 s25, exec_lo
                                        ; implicit-def: $sgpr24
	v_and_b32_e32 v45, 0xff, v44
	s_delay_alu instid0(VALU_DEP_1)
	v_cmpx_lt_i16_e32 0x7f, v45
	s_xor_b32 s25, exec_lo, s25
	s_cbranch_execnz .LBB6_1534
; %bb.881:                              ;   in Loop: Header=BB6_144 Depth=2
	s_or_saveexec_b32 s25, s25
	v_mov_b32_e32 v43, s24
	s_xor_b32 exec_lo, exec_lo, s25
	s_cbranch_execnz .LBB6_1537
.LBB6_882:                              ;   in Loop: Header=BB6_144 Depth=2
	s_or_b32 exec_lo, exec_lo, s25
	s_and_saveexec_b32 s24, s11
	s_cbranch_execz .LBB6_884
.LBB6_883:                              ;   in Loop: Header=BB6_144 Depth=2
	v_bfe_u32 v43, v25, 16, 2
	v_lshlrev_b32_e32 v47, 8, v25
	s_delay_alu instid0(VALU_DEP_2) | instskip(NEXT) | instid1(VALU_DEP_1)
	v_clz_i32_u32_e32 v45, v43
	v_min_u32_e32 v45, 32, v45
	s_delay_alu instid0(VALU_DEP_1) | instskip(SKIP_1) | instid1(VALU_DEP_2)
	v_subrev_nc_u32_e32 v46, 29, v45
	v_sub_nc_u32_e32 v45, 30, v45
	v_lshlrev_b32_e32 v44, v46, v44
	v_bfe_u32 v46, v25, 18, 5
	s_delay_alu instid0(VALU_DEP_1) | instskip(NEXT) | instid1(VALU_DEP_3)
	v_cmp_eq_u32_e32 vcc_lo, 0, v46
	v_dual_cndmask_b32 v45, v46, v45 :: v_dual_and_b32 v44, 3, v44
	s_delay_alu instid0(VALU_DEP_1) | instskip(NEXT) | instid1(VALU_DEP_2)
	v_dual_cndmask_b32 v43, v43, v44 :: v_dual_and_b32 v44, 0x80000000, v47
	v_lshl_add_u32 v45, v45, 23, 0x37800000
	s_delay_alu instid0(VALU_DEP_2) | instskip(NEXT) | instid1(VALU_DEP_1)
	v_lshlrev_b32_e32 v43, 21, v43
	v_or3_b32 v43, v44, v45, v43
.LBB6_884:                              ;   in Loop: Header=BB6_144 Depth=2
	s_or_b32 exec_lo, exec_lo, s24
	v_lshrrev_b32_e32 v44, 16, v21
	s_mov_b32 s11, 0
	s_mov_b32 s25, exec_lo
                                        ; implicit-def: $sgpr24
	s_delay_alu instid0(VALU_DEP_1) | instskip(NEXT) | instid1(VALU_DEP_1)
	v_and_b32_e32 v46, 0xff, v44
	v_cmpx_lt_i16_e32 0x7f, v46
	s_xor_b32 s25, exec_lo, s25
	s_cbranch_execnz .LBB6_1538
; %bb.885:                              ;   in Loop: Header=BB6_144 Depth=2
	s_or_saveexec_b32 s25, s25
	v_mov_b32_e32 v45, s24
	s_xor_b32 exec_lo, exec_lo, s25
	s_cbranch_execnz .LBB6_1541
.LBB6_886:                              ;   in Loop: Header=BB6_144 Depth=2
	s_or_b32 exec_lo, exec_lo, s25
	s_and_saveexec_b32 s24, s11
	s_cbranch_execz .LBB6_888
.LBB6_887:                              ;   in Loop: Header=BB6_144 Depth=2
	v_bfe_u32 v45, v21, 16, 2
	v_lshlrev_b32_e32 v56, 8, v21
	s_delay_alu instid0(VALU_DEP_2) | instskip(NEXT) | instid1(VALU_DEP_1)
	v_clz_i32_u32_e32 v46, v45
	v_min_u32_e32 v46, 32, v46
	s_delay_alu instid0(VALU_DEP_1) | instskip(SKIP_1) | instid1(VALU_DEP_2)
	v_subrev_nc_u32_e32 v47, 29, v46
	v_sub_nc_u32_e32 v46, 30, v46
	v_lshlrev_b32_e32 v44, v47, v44
	v_bfe_u32 v47, v21, 18, 5
	s_delay_alu instid0(VALU_DEP_2) | instskip(NEXT) | instid1(VALU_DEP_2)
	v_and_b32_e32 v44, 3, v44
	v_cmp_eq_u32_e32 vcc_lo, 0, v47
	v_cndmask_b32_e32 v46, v47, v46, vcc_lo
	s_delay_alu instid0(VALU_DEP_3) | instskip(SKIP_1) | instid1(VALU_DEP_3)
	v_cndmask_b32_e32 v44, v45, v44, vcc_lo
	v_and_b32_e32 v45, 0x80000000, v56
	v_lshl_add_u32 v46, v46, 23, 0x37800000
	s_delay_alu instid0(VALU_DEP_3) | instskip(NEXT) | instid1(VALU_DEP_1)
	v_lshlrev_b32_e32 v44, 21, v44
	v_or3_b32 v45, v45, v46, v44
.LBB6_888:                              ;   in Loop: Header=BB6_144 Depth=2
	s_or_b32 exec_lo, exec_lo, s24
	s_delay_alu instid0(VALU_DEP_1) | instskip(NEXT) | instid1(VALU_DEP_1)
	v_mul_f32_e32 v44, v43, v45
	v_and_b32_e32 v43, 0x7f800000, v44
	s_delay_alu instid0(VALU_DEP_1)
	v_cmp_ne_u32_e32 vcc_lo, 0x7f800000, v43
	v_mov_b32_e32 v43, 0x80
	s_and_saveexec_b32 s24, vcc_lo
	s_cbranch_execz .LBB6_896
; %bb.889:                              ;   in Loop: Header=BB6_144 Depth=2
	v_mov_b32_e32 v43, 0
	s_mov_b32 s25, exec_lo
	v_cmpx_ne_u32_e32 0, v44
	s_cbranch_execz .LBB6_895
; %bb.890:                              ;   in Loop: Header=BB6_144 Depth=2
	v_bfe_u32 v43, v44, 23, 8
	s_delay_alu instid0(VALU_DEP_1) | instskip(SKIP_1) | instid1(VALU_DEP_2)
	v_sub_nc_u32_e32 v46, 0x70, v43
	v_cmp_gt_u32_e32 vcc_lo, 0x71, v43
	v_dual_cndmask_b32 v46, 0, v46 :: v_dual_and_b32 v45, 0x7fffff, v44
	s_delay_alu instid0(VALU_DEP_1) | instskip(SKIP_2) | instid1(VALU_DEP_4)
	v_or_b32_e32 v47, 0x800000, v45
	v_cmp_eq_u32_e32 vcc_lo, 0, v43
	v_add_nc_u32_e32 v43, 0xffffff91, v43
	v_cndmask_b32_e64 v46, v46, 0x6f, vcc_lo
	s_delay_alu instid0(VALU_DEP_2) | instskip(SKIP_1) | instid1(VALU_DEP_3)
	v_cndmask_b32_e64 v43, v43, 0xffffff92, vcc_lo
	v_cndmask_b32_e32 v45, v47, v45, vcc_lo
	v_lshl_add_u32 v47, 0x200000, v46, -1
	v_lshlrev_b32_e64 v58, v46, 0x100000
	s_delay_alu instid0(VALU_DEP_3) | instskip(SKIP_1) | instid1(VALU_DEP_4)
	v_lshrrev_b32_e32 v56, v46, v45
	v_add_nc_u32_e32 v46, v46, v43
	v_and_b32_e32 v45, v47, v45
	s_delay_alu instid0(VALU_DEP_3) | instskip(NEXT) | instid1(VALU_DEP_2)
	v_bfe_u32 v57, v56, 21, 1
	v_cmp_eq_u32_e64 s11, v45, v58
	s_delay_alu instid0(VALU_DEP_2) | instskip(NEXT) | instid1(VALU_DEP_1)
	v_add_nc_u32_e32 v47, -1, v57
	v_cndmask_b32_e64 v45, 0, v47, s11
	v_lshrrev_b32_e32 v47, 23, v56
	s_mov_b32 s11, exec_lo
	s_delay_alu instid0(VALU_DEP_2) | instskip(NEXT) | instid1(VALU_DEP_2)
	v_add_nc_u32_e32 v45, v45, v56
	v_xor_b32_e32 v47, 1, v47
	s_delay_alu instid0(VALU_DEP_2) | instskip(NEXT) | instid1(VALU_DEP_1)
	v_and_b32_e32 v43, 0x1fffff, v45
	v_add_nc_u32_e32 v45, v43, v56
                                        ; implicit-def: $vgpr43
	s_delay_alu instid0(VALU_DEP_3)
	v_cmpx_ne_u32_e64 v46, v47
	s_xor_b32 s11, exec_lo, s11
; %bb.891:                              ;   in Loop: Header=BB6_144 Depth=2
	s_delay_alu instid0(VALU_DEP_2) | instskip(SKIP_2) | instid1(VALU_DEP_2)
	v_cmp_lt_u32_e32 vcc_lo, 0xffffff, v45
	v_sub_nc_u32_e32 v43, v46, v47
	v_cndmask_b32_e64 v46, 0, 1, vcc_lo
	v_add_co_ci_u32_e32 v43, vcc_lo, 0, v43, vcc_lo
	s_delay_alu instid0(VALU_DEP_2)
	v_lshrrev_b32_e32 v45, v46, v45
; %bb.892:                              ;   in Loop: Header=BB6_144 Depth=2
	s_and_not1_saveexec_b32 s11, s11
; %bb.893:                              ;   in Loop: Header=BB6_144 Depth=2
	s_delay_alu instid0(VALU_DEP_1)
	v_bfe_u32 v43, v45, 23, 1
; %bb.894:                              ;   in Loop: Header=BB6_144 Depth=2
	s_or_b32 exec_lo, exec_lo, s11
	v_lshrrev_b32_e32 v45, 21, v45
	s_delay_alu instid0(VALU_DEP_2) | instskip(SKIP_2) | instid1(VALU_DEP_2)
	v_cmp_gt_i32_e32 vcc_lo, 32, v43
	v_min_i32_e32 v46, 31, v43
	v_lshrrev_b32_e32 v44, 24, v44
	v_dual_cndmask_b32 v45, 3, v45 :: v_dual_lshlrev_b32 v46, 2, v46
	s_delay_alu instid0(VALU_DEP_2) | instskip(NEXT) | instid1(VALU_DEP_2)
	v_and_b32_e32 v44, 0x80, v44
	v_or_b32_e32 v43, v43, v45
	v_and_b32_e32 v47, 3, v45
	s_delay_alu instid0(VALU_DEP_2) | instskip(SKIP_1) | instid1(VALU_DEP_1)
	v_cmp_ne_u32_e32 vcc_lo, 0, v43
	v_and_b32_e32 v46, 0xfc, v46
	v_or3_b32 v44, v46, v44, v47
	s_delay_alu instid0(VALU_DEP_1)
	v_cndmask_b32_e32 v43, 0, v44, vcc_lo
.LBB6_895:                              ;   in Loop: Header=BB6_144 Depth=2
	s_or_b32 exec_lo, exec_lo, s25
.LBB6_896:                              ;   in Loop: Header=BB6_144 Depth=2
	s_delay_alu instid0(SALU_CYCLE_1) | instskip(SKIP_3) | instid1(VALU_DEP_1)
	s_or_b32 exec_lo, exec_lo, s24
	v_lshrrev_b32_e32 v45, 24, v25
	s_mov_b32 s11, 0
	s_mov_b32 s25, exec_lo
                                        ; implicit-def: $sgpr24
	v_cmpx_lt_i16_e32 0x7f, v45
	s_xor_b32 s25, exec_lo, s25
	s_cbranch_execnz .LBB6_1542
; %bb.897:                              ;   in Loop: Header=BB6_144 Depth=2
	s_or_saveexec_b32 s25, s25
	v_mov_b32_e32 v44, s24
	s_xor_b32 exec_lo, exec_lo, s25
	s_cbranch_execnz .LBB6_1545
.LBB6_898:                              ;   in Loop: Header=BB6_144 Depth=2
	s_or_b32 exec_lo, exec_lo, s25
	s_and_saveexec_b32 s24, s11
	s_cbranch_execz .LBB6_900
.LBB6_899:                              ;   in Loop: Header=BB6_144 Depth=2
	v_bfe_u32 v44, v25, 24, 2
	s_delay_alu instid0(VALU_DEP_1) | instskip(NEXT) | instid1(VALU_DEP_1)
	v_clz_i32_u32_e32 v46, v44
	v_min_u32_e32 v46, 32, v46
	s_delay_alu instid0(VALU_DEP_1) | instskip(SKIP_1) | instid1(VALU_DEP_2)
	v_subrev_nc_u32_e32 v47, 29, v46
	v_sub_nc_u32_e32 v46, 30, v46
	v_lshlrev_b32_e32 v45, v47, v45
	v_bfe_u32 v47, v25, 26, 5
	v_and_b32_e32 v25, 0x80000000, v25
	s_delay_alu instid0(VALU_DEP_2) | instskip(NEXT) | instid1(VALU_DEP_4)
	v_cmp_eq_u32_e32 vcc_lo, 0, v47
	v_dual_cndmask_b32 v46, v47, v46 :: v_dual_and_b32 v45, 3, v45
	s_delay_alu instid0(VALU_DEP_1) | instskip(NEXT) | instid1(VALU_DEP_2)
	v_cndmask_b32_e32 v44, v44, v45, vcc_lo
	v_lshl_add_u32 v45, v46, 23, 0x37800000
	s_delay_alu instid0(VALU_DEP_2) | instskip(NEXT) | instid1(VALU_DEP_1)
	v_lshlrev_b32_e32 v44, 21, v44
	v_or3_b32 v44, v25, v45, v44
.LBB6_900:                              ;   in Loop: Header=BB6_144 Depth=2
	s_or_b32 exec_lo, exec_lo, s24
	v_lshrrev_b32_e32 v25, 24, v21
	s_mov_b32 s11, 0
	s_mov_b32 s25, exec_lo
                                        ; implicit-def: $sgpr24
	s_delay_alu instid0(VALU_DEP_1)
	v_cmpx_lt_i16_e32 0x7f, v25
	s_xor_b32 s25, exec_lo, s25
	s_cbranch_execnz .LBB6_1546
; %bb.901:                              ;   in Loop: Header=BB6_144 Depth=2
	s_or_saveexec_b32 s25, s25
	v_mov_b32_e32 v45, s24
	s_xor_b32 exec_lo, exec_lo, s25
	s_cbranch_execnz .LBB6_1549
.LBB6_902:                              ;   in Loop: Header=BB6_144 Depth=2
	s_or_b32 exec_lo, exec_lo, s25
	s_and_saveexec_b32 s24, s11
	s_cbranch_execz .LBB6_904
.LBB6_903:                              ;   in Loop: Header=BB6_144 Depth=2
	v_bfe_u32 v45, v21, 24, 2
	s_delay_alu instid0(VALU_DEP_1) | instskip(NEXT) | instid1(VALU_DEP_1)
	v_clz_i32_u32_e32 v46, v45
	v_min_u32_e32 v46, 32, v46
	s_delay_alu instid0(VALU_DEP_1) | instskip(SKIP_1) | instid1(VALU_DEP_2)
	v_subrev_nc_u32_e32 v47, 29, v46
	v_sub_nc_u32_e32 v46, 30, v46
	v_lshlrev_b32_e32 v25, v47, v25
	v_bfe_u32 v47, v21, 26, 5
	v_and_b32_e32 v21, 0x80000000, v21
	s_delay_alu instid0(VALU_DEP_2) | instskip(NEXT) | instid1(VALU_DEP_4)
	v_cmp_eq_u32_e32 vcc_lo, 0, v47
	v_dual_cndmask_b32 v46, v47, v46 :: v_dual_and_b32 v25, 3, v25
	s_delay_alu instid0(VALU_DEP_1) | instskip(NEXT) | instid1(VALU_DEP_2)
	v_cndmask_b32_e32 v25, v45, v25, vcc_lo
	v_lshl_add_u32 v45, v46, 23, 0x37800000
	s_delay_alu instid0(VALU_DEP_2) | instskip(NEXT) | instid1(VALU_DEP_1)
	v_lshlrev_b32_e32 v25, 21, v25
	v_or3_b32 v45, v21, v45, v25
.LBB6_904:                              ;   in Loop: Header=BB6_144 Depth=2
	s_or_b32 exec_lo, exec_lo, s24
	s_delay_alu instid0(VALU_DEP_1) | instskip(NEXT) | instid1(VALU_DEP_1)
	v_mul_f32_e32 v25, v44, v45
	v_and_b32_e32 v21, 0x7f800000, v25
	s_delay_alu instid0(VALU_DEP_1)
	v_cmp_ne_u32_e32 vcc_lo, 0x7f800000, v21
	v_mov_b32_e32 v21, 0x8000
	s_and_saveexec_b32 s24, vcc_lo
	s_cbranch_execz .LBB6_912
; %bb.905:                              ;   in Loop: Header=BB6_144 Depth=2
	v_mov_b32_e32 v21, 0
	s_mov_b32 s25, exec_lo
	v_cmpx_ne_u32_e32 0, v25
	s_cbranch_execz .LBB6_911
; %bb.906:                              ;   in Loop: Header=BB6_144 Depth=2
	v_bfe_u32 v21, v25, 23, 8
	v_and_b32_e32 v44, 0x7fffff, v25
	s_delay_alu instid0(VALU_DEP_2) | instskip(SKIP_1) | instid1(VALU_DEP_3)
	v_sub_nc_u32_e32 v45, 0x70, v21
	v_cmp_gt_u32_e32 vcc_lo, 0x71, v21
	v_or_b32_e32 v46, 0x800000, v44
	s_delay_alu instid0(VALU_DEP_3) | instskip(SKIP_1) | instid1(VALU_DEP_3)
	v_cndmask_b32_e32 v45, 0, v45, vcc_lo
	v_cmp_eq_u32_e32 vcc_lo, 0, v21
	v_dual_cndmask_b32 v44, v46, v44 :: v_dual_add_nc_u32 v21, 0xffffff91, v21
	s_delay_alu instid0(VALU_DEP_3) | instskip(NEXT) | instid1(VALU_DEP_2)
	v_cndmask_b32_e64 v45, v45, 0x6f, vcc_lo
	v_cndmask_b32_e64 v21, v21, 0xffffff92, vcc_lo
	s_delay_alu instid0(VALU_DEP_2) | instskip(SKIP_2) | instid1(VALU_DEP_4)
	v_lshrrev_b32_e32 v47, v45, v44
	v_lshl_add_u32 v46, 0x200000, v45, -1
	v_lshlrev_b32_e64 v57, v45, 0x100000
	v_add_nc_u32_e32 v45, v45, v21
	s_delay_alu instid0(VALU_DEP_4) | instskip(NEXT) | instid1(VALU_DEP_4)
	v_bfe_u32 v56, v47, 21, 1
	v_and_b32_e32 v44, v46, v44
	s_delay_alu instid0(VALU_DEP_2) | instskip(NEXT) | instid1(VALU_DEP_2)
	v_add_nc_u32_e32 v46, -1, v56
	v_cmp_eq_u32_e64 s11, v44, v57
	s_delay_alu instid0(VALU_DEP_1) | instskip(SKIP_2) | instid1(VALU_DEP_2)
	v_cndmask_b32_e64 v44, 0, v46, s11
	v_lshrrev_b32_e32 v46, 23, v47
	s_mov_b32 s11, exec_lo
	v_add_nc_u32_e32 v44, v44, v47
	s_delay_alu instid0(VALU_DEP_2) | instskip(NEXT) | instid1(VALU_DEP_2)
	v_xor_b32_e32 v46, 1, v46
	v_and_b32_e32 v21, 0x1fffff, v44
	s_delay_alu instid0(VALU_DEP_1) | instskip(NEXT) | instid1(VALU_DEP_3)
	v_add_nc_u32_e32 v44, v21, v47
                                        ; implicit-def: $vgpr21
	v_cmpx_ne_u32_e64 v45, v46
	s_xor_b32 s11, exec_lo, s11
; %bb.907:                              ;   in Loop: Header=BB6_144 Depth=2
	s_delay_alu instid0(VALU_DEP_2) | instskip(SKIP_2) | instid1(VALU_DEP_2)
	v_cmp_lt_u32_e32 vcc_lo, 0xffffff, v44
	v_sub_nc_u32_e32 v21, v45, v46
	v_cndmask_b32_e64 v45, 0, 1, vcc_lo
	v_add_co_ci_u32_e32 v21, vcc_lo, 0, v21, vcc_lo
	s_delay_alu instid0(VALU_DEP_2)
	v_lshrrev_b32_e32 v44, v45, v44
; %bb.908:                              ;   in Loop: Header=BB6_144 Depth=2
	s_and_not1_saveexec_b32 s11, s11
; %bb.909:                              ;   in Loop: Header=BB6_144 Depth=2
	s_delay_alu instid0(VALU_DEP_1)
	v_bfe_u32 v21, v44, 23, 1
; %bb.910:                              ;   in Loop: Header=BB6_144 Depth=2
	s_or_b32 exec_lo, exec_lo, s11
	v_lshrrev_b32_e32 v44, 21, v44
	s_delay_alu instid0(VALU_DEP_2) | instskip(SKIP_2) | instid1(VALU_DEP_2)
	v_cmp_gt_i32_e32 vcc_lo, 32, v21
	v_min_i32_e32 v45, 31, v21
	v_lshrrev_b32_e32 v25, 24, v25
	v_dual_cndmask_b32 v44, 3, v44 :: v_dual_lshlrev_b32 v45, 2, v45
	s_delay_alu instid0(VALU_DEP_2) | instskip(NEXT) | instid1(VALU_DEP_2)
	v_and_b32_e32 v25, 0x80, v25
	v_or_b32_e32 v21, v21, v44
	s_delay_alu instid0(VALU_DEP_3) | instskip(NEXT) | instid1(VALU_DEP_2)
	v_and_b32_e32 v45, 0xfc, v45
	v_cmp_ne_u32_e32 vcc_lo, 0, v21
	v_and_b32_e32 v46, 3, v44
	s_delay_alu instid0(VALU_DEP_1) | instskip(NEXT) | instid1(VALU_DEP_1)
	v_or3_b32 v25, v25, v45, v46
	v_lshlrev_b32_e32 v25, 8, v25
	s_delay_alu instid0(VALU_DEP_1)
	v_cndmask_b32_e32 v21, 0, v25, vcc_lo
.LBB6_911:                              ;   in Loop: Header=BB6_144 Depth=2
	s_or_b32 exec_lo, exec_lo, s25
.LBB6_912:                              ;   in Loop: Header=BB6_144 Depth=2
	s_delay_alu instid0(SALU_CYCLE_1) | instskip(SKIP_3) | instid1(VALU_DEP_1)
	s_or_b32 exec_lo, exec_lo, s24
	v_and_b32_e32 v44, 0xff, v14
	s_mov_b32 s11, 0
	s_mov_b32 s25, exec_lo
                                        ; implicit-def: $sgpr24
	v_cmpx_lt_i16_e32 0x7f, v44
	s_xor_b32 s25, exec_lo, s25
	s_cbranch_execnz .LBB6_1550
; %bb.913:                              ;   in Loop: Header=BB6_144 Depth=2
	s_or_saveexec_b32 s25, s25
	v_mov_b32_e32 v25, s24
	s_xor_b32 exec_lo, exec_lo, s25
	s_cbranch_execnz .LBB6_1553
.LBB6_914:                              ;   in Loop: Header=BB6_144 Depth=2
	s_or_b32 exec_lo, exec_lo, s25
	s_and_saveexec_b32 s24, s11
	s_cbranch_execz .LBB6_916
.LBB6_915:                              ;   in Loop: Header=BB6_144 Depth=2
	v_bfe_u32 v46, v14, 2, 5
	v_lshlrev_b32_e32 v47, 24, v14
	s_delay_alu instid0(VALU_DEP_2) | instskip(SKIP_1) | instid1(VALU_DEP_1)
	v_cmp_eq_u32_e32 vcc_lo, 0, v46
	v_and_b32_e32 v25, 3, v14
	v_clz_i32_u32_e32 v44, v25
	s_delay_alu instid0(VALU_DEP_1) | instskip(NEXT) | instid1(VALU_DEP_1)
	v_min_u32_e32 v44, 32, v44
	v_subrev_nc_u32_e32 v45, 29, v44
	v_sub_nc_u32_e32 v44, 30, v44
	s_delay_alu instid0(VALU_DEP_1) | instskip(NEXT) | instid1(VALU_DEP_1)
	v_dual_cndmask_b32 v44, v46, v44 :: v_dual_lshlrev_b32 v45, v45, v14
	v_and_b32_e32 v45, 3, v45
	s_delay_alu instid0(VALU_DEP_2) | instskip(NEXT) | instid1(VALU_DEP_2)
	v_lshl_add_u32 v44, v44, 23, 0x37800000
	v_cndmask_b32_e32 v25, v25, v45, vcc_lo
	v_and_b32_e32 v45, 0x80000000, v47
	s_delay_alu instid0(VALU_DEP_2) | instskip(NEXT) | instid1(VALU_DEP_1)
	v_lshlrev_b32_e32 v25, 21, v25
	v_or3_b32 v25, v45, v44, v25
.LBB6_916:                              ;   in Loop: Header=BB6_144 Depth=2
	s_or_b32 exec_lo, exec_lo, s24
	s_waitcnt vmcnt(0)
	v_and_b32_e32 v45, 0xff, v10
	s_mov_b32 s11, 0
	s_mov_b32 s25, exec_lo
                                        ; implicit-def: $sgpr24
	s_delay_alu instid0(VALU_DEP_1)
	v_cmpx_lt_i16_e32 0x7f, v45
	s_xor_b32 s25, exec_lo, s25
	s_cbranch_execnz .LBB6_1554
; %bb.917:                              ;   in Loop: Header=BB6_144 Depth=2
	s_or_saveexec_b32 s25, s25
	v_mov_b32_e32 v44, s24
	s_xor_b32 exec_lo, exec_lo, s25
	s_cbranch_execnz .LBB6_1557
.LBB6_918:                              ;   in Loop: Header=BB6_144 Depth=2
	s_or_b32 exec_lo, exec_lo, s25
	s_and_saveexec_b32 s24, s11
	s_cbranch_execz .LBB6_920
.LBB6_919:                              ;   in Loop: Header=BB6_144 Depth=2
	v_bfe_u32 v47, v10, 2, 5
	v_lshlrev_b32_e32 v56, 24, v10
	s_delay_alu instid0(VALU_DEP_2) | instskip(SKIP_1) | instid1(VALU_DEP_1)
	v_cmp_eq_u32_e32 vcc_lo, 0, v47
	v_and_b32_e32 v44, 3, v10
	v_clz_i32_u32_e32 v45, v44
	s_delay_alu instid0(VALU_DEP_1) | instskip(NEXT) | instid1(VALU_DEP_1)
	v_min_u32_e32 v45, 32, v45
	v_subrev_nc_u32_e32 v46, 29, v45
	v_sub_nc_u32_e32 v45, 30, v45
	s_delay_alu instid0(VALU_DEP_1) | instskip(NEXT) | instid1(VALU_DEP_1)
	v_dual_cndmask_b32 v45, v47, v45 :: v_dual_lshlrev_b32 v46, v46, v10
	v_and_b32_e32 v46, 3, v46
	s_delay_alu instid0(VALU_DEP_2) | instskip(NEXT) | instid1(VALU_DEP_2)
	v_lshl_add_u32 v45, v45, 23, 0x37800000
	v_cndmask_b32_e32 v44, v44, v46, vcc_lo
	v_and_b32_e32 v46, 0x80000000, v56
	s_delay_alu instid0(VALU_DEP_2) | instskip(NEXT) | instid1(VALU_DEP_1)
	v_lshlrev_b32_e32 v44, 21, v44
	v_or3_b32 v44, v46, v45, v44
.LBB6_920:                              ;   in Loop: Header=BB6_144 Depth=2
	s_or_b32 exec_lo, exec_lo, s24
	s_delay_alu instid0(VALU_DEP_1) | instskip(NEXT) | instid1(VALU_DEP_1)
	v_mul_f32_e32 v44, v25, v44
	v_and_b32_e32 v25, 0x7f800000, v44
	s_delay_alu instid0(VALU_DEP_1)
	v_cmp_ne_u32_e32 vcc_lo, 0x7f800000, v25
	v_mov_b32_e32 v25, 0x80
	s_and_saveexec_b32 s24, vcc_lo
	s_cbranch_execz .LBB6_928
; %bb.921:                              ;   in Loop: Header=BB6_144 Depth=2
	v_mov_b32_e32 v25, 0
	s_mov_b32 s25, exec_lo
	v_cmpx_ne_u32_e32 0, v44
	s_cbranch_execz .LBB6_927
; %bb.922:                              ;   in Loop: Header=BB6_144 Depth=2
	v_bfe_u32 v25, v44, 23, 8
	s_delay_alu instid0(VALU_DEP_1) | instskip(SKIP_1) | instid1(VALU_DEP_2)
	v_sub_nc_u32_e32 v46, 0x70, v25
	v_cmp_gt_u32_e32 vcc_lo, 0x71, v25
	v_dual_cndmask_b32 v46, 0, v46 :: v_dual_and_b32 v45, 0x7fffff, v44
	s_delay_alu instid0(VALU_DEP_1) | instskip(SKIP_2) | instid1(VALU_DEP_4)
	v_or_b32_e32 v47, 0x800000, v45
	v_cmp_eq_u32_e32 vcc_lo, 0, v25
	v_add_nc_u32_e32 v25, 0xffffff91, v25
	v_cndmask_b32_e64 v46, v46, 0x6f, vcc_lo
	s_delay_alu instid0(VALU_DEP_4) | instskip(NEXT) | instid1(VALU_DEP_3)
	v_cndmask_b32_e32 v45, v47, v45, vcc_lo
	v_cndmask_b32_e64 v25, v25, 0xffffff92, vcc_lo
	s_delay_alu instid0(VALU_DEP_3) | instskip(NEXT) | instid1(VALU_DEP_3)
	v_lshl_add_u32 v47, 0x200000, v46, -1
	v_lshrrev_b32_e32 v56, v46, v45
	v_lshlrev_b32_e64 v58, v46, 0x100000
	s_delay_alu instid0(VALU_DEP_4) | instskip(NEXT) | instid1(VALU_DEP_4)
	v_add_nc_u32_e32 v46, v46, v25
	v_and_b32_e32 v45, v47, v45
	s_delay_alu instid0(VALU_DEP_4) | instskip(NEXT) | instid1(VALU_DEP_2)
	v_bfe_u32 v57, v56, 21, 1
	v_cmp_eq_u32_e64 s11, v45, v58
	s_delay_alu instid0(VALU_DEP_2) | instskip(NEXT) | instid1(VALU_DEP_1)
	v_add_nc_u32_e32 v47, -1, v57
	v_cndmask_b32_e64 v45, 0, v47, s11
	v_lshrrev_b32_e32 v47, 23, v56
	s_mov_b32 s11, exec_lo
	s_delay_alu instid0(VALU_DEP_2) | instskip(NEXT) | instid1(VALU_DEP_2)
	v_add_nc_u32_e32 v45, v45, v56
	v_xor_b32_e32 v47, 1, v47
	s_delay_alu instid0(VALU_DEP_2) | instskip(NEXT) | instid1(VALU_DEP_1)
	v_and_b32_e32 v25, 0x1fffff, v45
	v_add_nc_u32_e32 v45, v25, v56
                                        ; implicit-def: $vgpr25
	s_delay_alu instid0(VALU_DEP_3)
	v_cmpx_ne_u32_e64 v46, v47
	s_xor_b32 s11, exec_lo, s11
; %bb.923:                              ;   in Loop: Header=BB6_144 Depth=2
	s_delay_alu instid0(VALU_DEP_2) | instskip(SKIP_2) | instid1(VALU_DEP_2)
	v_cmp_lt_u32_e32 vcc_lo, 0xffffff, v45
	v_sub_nc_u32_e32 v25, v46, v47
	v_cndmask_b32_e64 v46, 0, 1, vcc_lo
	v_add_co_ci_u32_e32 v25, vcc_lo, 0, v25, vcc_lo
	s_delay_alu instid0(VALU_DEP_2)
	v_lshrrev_b32_e32 v45, v46, v45
; %bb.924:                              ;   in Loop: Header=BB6_144 Depth=2
	s_and_not1_saveexec_b32 s11, s11
; %bb.925:                              ;   in Loop: Header=BB6_144 Depth=2
	s_delay_alu instid0(VALU_DEP_1)
	v_bfe_u32 v25, v45, 23, 1
; %bb.926:                              ;   in Loop: Header=BB6_144 Depth=2
	s_or_b32 exec_lo, exec_lo, s11
	v_lshrrev_b32_e32 v45, 21, v45
	s_delay_alu instid0(VALU_DEP_2) | instskip(SKIP_2) | instid1(VALU_DEP_2)
	v_cmp_gt_i32_e32 vcc_lo, 32, v25
	v_lshrrev_b32_e32 v44, 24, v44
	v_min_i32_e32 v46, 31, v25
	v_dual_cndmask_b32 v45, 3, v45 :: v_dual_and_b32 v44, 0x80, v44
	s_delay_alu instid0(VALU_DEP_1) | instskip(SKIP_1) | instid1(VALU_DEP_2)
	v_or_b32_e32 v25, v25, v45
	v_and_b32_e32 v47, 3, v45
	v_cmp_ne_u32_e32 vcc_lo, 0, v25
	v_lshlrev_b32_e32 v46, 2, v46
	s_delay_alu instid0(VALU_DEP_1) | instskip(NEXT) | instid1(VALU_DEP_1)
	v_or3_b32 v44, v46, v44, v47
	v_cndmask_b32_e32 v25, 0, v44, vcc_lo
.LBB6_927:                              ;   in Loop: Header=BB6_144 Depth=2
	s_or_b32 exec_lo, exec_lo, s25
.LBB6_928:                              ;   in Loop: Header=BB6_144 Depth=2
	s_delay_alu instid0(SALU_CYCLE_1) | instskip(SKIP_3) | instid1(VALU_DEP_1)
	s_or_b32 exec_lo, exec_lo, s24
	v_lshrrev_b16 v45, 8, v14
	s_mov_b32 s11, 0
	s_mov_b32 s25, exec_lo
                                        ; implicit-def: $sgpr24
	v_cmpx_lt_i16_e32 0x7f, v45
	s_xor_b32 s25, exec_lo, s25
	s_cbranch_execnz .LBB6_1558
; %bb.929:                              ;   in Loop: Header=BB6_144 Depth=2
	s_or_saveexec_b32 s25, s25
	v_mov_b32_e32 v44, s24
	s_xor_b32 exec_lo, exec_lo, s25
	s_cbranch_execnz .LBB6_1561
.LBB6_930:                              ;   in Loop: Header=BB6_144 Depth=2
	s_or_b32 exec_lo, exec_lo, s25
	s_and_saveexec_b32 s24, s11
	s_cbranch_execz .LBB6_932
.LBB6_931:                              ;   in Loop: Header=BB6_144 Depth=2
	v_and_b32_e32 v44, 0xffff, v45
	s_delay_alu instid0(VALU_DEP_1) | instskip(NEXT) | instid1(VALU_DEP_1)
	v_and_b32_e32 v46, 3, v44
	v_clz_i32_u32_e32 v47, v46
	s_delay_alu instid0(VALU_DEP_1) | instskip(NEXT) | instid1(VALU_DEP_1)
	v_min_u32_e32 v47, 32, v47
	v_subrev_nc_u32_e32 v56, 29, v47
	v_sub_nc_u32_e32 v47, 30, v47
	s_delay_alu instid0(VALU_DEP_2) | instskip(SKIP_1) | instid1(VALU_DEP_2)
	v_lshlrev_b32_e32 v56, v56, v44
	v_bfe_u32 v44, v44, 2, 5
	v_and_b32_e32 v56, 3, v56
	s_delay_alu instid0(VALU_DEP_2) | instskip(SKIP_1) | instid1(VALU_DEP_1)
	v_cmp_eq_u32_e32 vcc_lo, 0, v44
	v_dual_cndmask_b32 v44, v44, v47 :: v_dual_lshlrev_b32 v45, 24, v45
	v_dual_cndmask_b32 v46, v46, v56 :: v_dual_and_b32 v45, 0x80000000, v45
	s_delay_alu instid0(VALU_DEP_2) | instskip(NEXT) | instid1(VALU_DEP_2)
	v_lshl_add_u32 v44, v44, 23, 0x37800000
	v_lshlrev_b32_e32 v46, 21, v46
	s_delay_alu instid0(VALU_DEP_1)
	v_or3_b32 v44, v45, v44, v46
.LBB6_932:                              ;   in Loop: Header=BB6_144 Depth=2
	s_or_b32 exec_lo, exec_lo, s24
	v_lshrrev_b16 v45, 8, v10
	s_mov_b32 s11, 0
	s_mov_b32 s25, exec_lo
                                        ; implicit-def: $sgpr24
	s_delay_alu instid0(VALU_DEP_1)
	v_cmpx_lt_i16_e32 0x7f, v45
	s_xor_b32 s25, exec_lo, s25
	s_cbranch_execnz .LBB6_1562
; %bb.933:                              ;   in Loop: Header=BB6_144 Depth=2
	s_or_saveexec_b32 s25, s25
	v_mov_b32_e32 v46, s24
	s_xor_b32 exec_lo, exec_lo, s25
	s_cbranch_execnz .LBB6_1565
.LBB6_934:                              ;   in Loop: Header=BB6_144 Depth=2
	s_or_b32 exec_lo, exec_lo, s25
	s_and_saveexec_b32 s24, s11
	s_cbranch_execz .LBB6_936
.LBB6_935:                              ;   in Loop: Header=BB6_144 Depth=2
	v_and_b32_e32 v46, 0xffff, v45
	v_lshlrev_b32_e32 v45, 24, v45
	s_delay_alu instid0(VALU_DEP_2) | instskip(NEXT) | instid1(VALU_DEP_2)
	v_and_b32_e32 v47, 3, v46
	v_and_b32_e32 v45, 0x80000000, v45
	s_delay_alu instid0(VALU_DEP_2) | instskip(NEXT) | instid1(VALU_DEP_1)
	v_clz_i32_u32_e32 v56, v47
	v_min_u32_e32 v56, 32, v56
	s_delay_alu instid0(VALU_DEP_1) | instskip(SKIP_1) | instid1(VALU_DEP_2)
	v_subrev_nc_u32_e32 v57, 29, v56
	v_sub_nc_u32_e32 v56, 30, v56
	v_lshlrev_b32_e32 v57, v57, v46
	v_bfe_u32 v46, v46, 2, 5
	s_delay_alu instid0(VALU_DEP_2) | instskip(NEXT) | instid1(VALU_DEP_2)
	v_and_b32_e32 v57, 3, v57
	v_cmp_eq_u32_e32 vcc_lo, 0, v46
	s_delay_alu instid0(VALU_DEP_2) | instskip(NEXT) | instid1(VALU_DEP_1)
	v_dual_cndmask_b32 v46, v46, v56 :: v_dual_cndmask_b32 v47, v47, v57
	v_lshl_add_u32 v46, v46, 23, 0x37800000
	s_delay_alu instid0(VALU_DEP_2) | instskip(NEXT) | instid1(VALU_DEP_1)
	v_lshlrev_b32_e32 v47, 21, v47
	v_or3_b32 v46, v45, v46, v47
.LBB6_936:                              ;   in Loop: Header=BB6_144 Depth=2
	s_or_b32 exec_lo, exec_lo, s24
	s_delay_alu instid0(VALU_DEP_1) | instskip(NEXT) | instid1(VALU_DEP_1)
	v_mul_f32_e32 v45, v44, v46
	v_and_b32_e32 v44, 0x7f800000, v45
	s_delay_alu instid0(VALU_DEP_1)
	v_cmp_ne_u32_e32 vcc_lo, 0x7f800000, v44
	v_mov_b32_e32 v44, 0x80
	s_and_saveexec_b32 s24, vcc_lo
	s_cbranch_execz .LBB6_944
; %bb.937:                              ;   in Loop: Header=BB6_144 Depth=2
	v_mov_b32_e32 v44, 0
	s_mov_b32 s25, exec_lo
	v_cmpx_ne_u32_e32 0, v45
	s_cbranch_execz .LBB6_943
; %bb.938:                              ;   in Loop: Header=BB6_144 Depth=2
	v_bfe_u32 v44, v45, 23, 8
	s_delay_alu instid0(VALU_DEP_1) | instskip(SKIP_1) | instid1(VALU_DEP_2)
	v_sub_nc_u32_e32 v47, 0x70, v44
	v_cmp_gt_u32_e32 vcc_lo, 0x71, v44
	v_dual_cndmask_b32 v47, 0, v47 :: v_dual_and_b32 v46, 0x7fffff, v45
	s_delay_alu instid0(VALU_DEP_1) | instskip(SKIP_2) | instid1(VALU_DEP_4)
	v_or_b32_e32 v56, 0x800000, v46
	v_cmp_eq_u32_e32 vcc_lo, 0, v44
	v_add_nc_u32_e32 v44, 0xffffff91, v44
	v_cndmask_b32_e64 v47, v47, 0x6f, vcc_lo
	s_delay_alu instid0(VALU_DEP_2) | instskip(SKIP_1) | instid1(VALU_DEP_3)
	v_cndmask_b32_e64 v44, v44, 0xffffff92, vcc_lo
	v_cndmask_b32_e32 v46, v56, v46, vcc_lo
	v_lshl_add_u32 v56, 0x200000, v47, -1
	v_lshlrev_b32_e64 v59, v47, 0x100000
	s_delay_alu instid0(VALU_DEP_3) | instskip(SKIP_1) | instid1(VALU_DEP_4)
	v_lshrrev_b32_e32 v57, v47, v46
	v_add_nc_u32_e32 v47, v47, v44
	v_and_b32_e32 v46, v56, v46
	s_delay_alu instid0(VALU_DEP_3) | instskip(NEXT) | instid1(VALU_DEP_2)
	v_bfe_u32 v58, v57, 21, 1
	v_cmp_eq_u32_e64 s11, v46, v59
	s_delay_alu instid0(VALU_DEP_2) | instskip(NEXT) | instid1(VALU_DEP_1)
	v_add_nc_u32_e32 v56, -1, v58
	v_cndmask_b32_e64 v46, 0, v56, s11
	v_lshrrev_b32_e32 v56, 23, v57
	s_mov_b32 s11, exec_lo
	s_delay_alu instid0(VALU_DEP_2) | instskip(NEXT) | instid1(VALU_DEP_2)
	v_add_nc_u32_e32 v46, v46, v57
	v_xor_b32_e32 v56, 1, v56
	s_delay_alu instid0(VALU_DEP_2) | instskip(NEXT) | instid1(VALU_DEP_1)
	v_and_b32_e32 v44, 0x1fffff, v46
	v_add_nc_u32_e32 v46, v44, v57
                                        ; implicit-def: $vgpr44
	s_delay_alu instid0(VALU_DEP_3)
	v_cmpx_ne_u32_e64 v47, v56
	s_xor_b32 s11, exec_lo, s11
; %bb.939:                              ;   in Loop: Header=BB6_144 Depth=2
	s_delay_alu instid0(VALU_DEP_2) | instskip(SKIP_2) | instid1(VALU_DEP_2)
	v_cmp_lt_u32_e32 vcc_lo, 0xffffff, v46
	v_sub_nc_u32_e32 v44, v47, v56
	v_cndmask_b32_e64 v47, 0, 1, vcc_lo
	v_add_co_ci_u32_e32 v44, vcc_lo, 0, v44, vcc_lo
	s_delay_alu instid0(VALU_DEP_2)
	v_lshrrev_b32_e32 v46, v47, v46
; %bb.940:                              ;   in Loop: Header=BB6_144 Depth=2
	s_and_not1_saveexec_b32 s11, s11
; %bb.941:                              ;   in Loop: Header=BB6_144 Depth=2
	s_delay_alu instid0(VALU_DEP_1)
	v_bfe_u32 v44, v46, 23, 1
; %bb.942:                              ;   in Loop: Header=BB6_144 Depth=2
	s_or_b32 exec_lo, exec_lo, s11
	v_lshrrev_b32_e32 v46, 21, v46
	s_delay_alu instid0(VALU_DEP_2) | instskip(SKIP_2) | instid1(VALU_DEP_2)
	v_cmp_gt_i32_e32 vcc_lo, 32, v44
	v_lshrrev_b32_e32 v45, 24, v45
	v_min_i32_e32 v47, 31, v44
	v_dual_cndmask_b32 v46, 3, v46 :: v_dual_and_b32 v45, 0x80, v45
	s_delay_alu instid0(VALU_DEP_1) | instskip(SKIP_1) | instid1(VALU_DEP_2)
	v_or_b32_e32 v44, v44, v46
	v_and_b32_e32 v56, 3, v46
	v_cmp_ne_u32_e32 vcc_lo, 0, v44
	v_lshlrev_b32_e32 v47, 2, v47
	s_delay_alu instid0(VALU_DEP_1) | instskip(NEXT) | instid1(VALU_DEP_1)
	v_or3_b32 v45, v47, v45, v56
	v_cndmask_b32_e32 v44, 0, v45, vcc_lo
.LBB6_943:                              ;   in Loop: Header=BB6_144 Depth=2
	s_or_b32 exec_lo, exec_lo, s25
.LBB6_944:                              ;   in Loop: Header=BB6_144 Depth=2
	s_delay_alu instid0(SALU_CYCLE_1) | instskip(SKIP_3) | instid1(VALU_DEP_1)
	s_or_b32 exec_lo, exec_lo, s24
	v_lshrrev_b32_e32 v46, 16, v14
	s_mov_b32 s11, 0
	s_mov_b32 s25, exec_lo
                                        ; implicit-def: $sgpr24
	v_and_b32_e32 v47, 0xff, v46
	s_delay_alu instid0(VALU_DEP_1)
	v_cmpx_lt_i16_e32 0x7f, v47
	s_xor_b32 s25, exec_lo, s25
	s_cbranch_execnz .LBB6_1566
; %bb.945:                              ;   in Loop: Header=BB6_144 Depth=2
	s_or_saveexec_b32 s25, s25
	v_mov_b32_e32 v45, s24
	s_xor_b32 exec_lo, exec_lo, s25
	s_cbranch_execnz .LBB6_1569
.LBB6_946:                              ;   in Loop: Header=BB6_144 Depth=2
	s_or_b32 exec_lo, exec_lo, s25
	s_and_saveexec_b32 s24, s11
	s_cbranch_execz .LBB6_948
.LBB6_947:                              ;   in Loop: Header=BB6_144 Depth=2
	v_bfe_u32 v45, v14, 16, 2
	v_lshlrev_b32_e32 v57, 8, v14
	s_delay_alu instid0(VALU_DEP_2) | instskip(NEXT) | instid1(VALU_DEP_1)
	v_clz_i32_u32_e32 v47, v45
	v_min_u32_e32 v47, 32, v47
	s_delay_alu instid0(VALU_DEP_1) | instskip(SKIP_1) | instid1(VALU_DEP_2)
	v_subrev_nc_u32_e32 v56, 29, v47
	v_sub_nc_u32_e32 v47, 30, v47
	v_lshlrev_b32_e32 v46, v56, v46
	v_bfe_u32 v56, v14, 18, 5
	s_delay_alu instid0(VALU_DEP_1) | instskip(NEXT) | instid1(VALU_DEP_3)
	v_cmp_eq_u32_e32 vcc_lo, 0, v56
	v_dual_cndmask_b32 v47, v56, v47 :: v_dual_and_b32 v46, 3, v46
	s_delay_alu instid0(VALU_DEP_1) | instskip(NEXT) | instid1(VALU_DEP_2)
	v_dual_cndmask_b32 v45, v45, v46 :: v_dual_and_b32 v46, 0x80000000, v57
	v_lshl_add_u32 v47, v47, 23, 0x37800000
	s_delay_alu instid0(VALU_DEP_2) | instskip(NEXT) | instid1(VALU_DEP_1)
	v_lshlrev_b32_e32 v45, 21, v45
	v_or3_b32 v45, v46, v47, v45
.LBB6_948:                              ;   in Loop: Header=BB6_144 Depth=2
	s_or_b32 exec_lo, exec_lo, s24
	v_lshrrev_b32_e32 v46, 16, v10
	s_mov_b32 s11, 0
	s_mov_b32 s25, exec_lo
                                        ; implicit-def: $sgpr24
	s_delay_alu instid0(VALU_DEP_1) | instskip(NEXT) | instid1(VALU_DEP_1)
	v_and_b32_e32 v56, 0xff, v46
	v_cmpx_lt_i16_e32 0x7f, v56
	s_xor_b32 s25, exec_lo, s25
	s_cbranch_execnz .LBB6_1570
; %bb.949:                              ;   in Loop: Header=BB6_144 Depth=2
	s_or_saveexec_b32 s25, s25
	v_mov_b32_e32 v47, s24
	s_xor_b32 exec_lo, exec_lo, s25
	s_cbranch_execnz .LBB6_1573
.LBB6_950:                              ;   in Loop: Header=BB6_144 Depth=2
	s_or_b32 exec_lo, exec_lo, s25
	s_and_saveexec_b32 s24, s11
	s_cbranch_execz .LBB6_952
.LBB6_951:                              ;   in Loop: Header=BB6_144 Depth=2
	v_bfe_u32 v47, v10, 16, 2
	v_lshlrev_b32_e32 v58, 8, v10
	s_delay_alu instid0(VALU_DEP_2) | instskip(NEXT) | instid1(VALU_DEP_1)
	v_clz_i32_u32_e32 v56, v47
	v_min_u32_e32 v56, 32, v56
	s_delay_alu instid0(VALU_DEP_1) | instskip(SKIP_1) | instid1(VALU_DEP_2)
	v_subrev_nc_u32_e32 v57, 29, v56
	v_sub_nc_u32_e32 v56, 30, v56
	v_lshlrev_b32_e32 v46, v57, v46
	v_bfe_u32 v57, v10, 18, 5
	s_delay_alu instid0(VALU_DEP_2) | instskip(NEXT) | instid1(VALU_DEP_2)
	v_and_b32_e32 v46, 3, v46
	v_cmp_eq_u32_e32 vcc_lo, 0, v57
	v_cndmask_b32_e32 v56, v57, v56, vcc_lo
	s_delay_alu instid0(VALU_DEP_3) | instskip(SKIP_1) | instid1(VALU_DEP_3)
	v_cndmask_b32_e32 v46, v47, v46, vcc_lo
	v_and_b32_e32 v47, 0x80000000, v58
	v_lshl_add_u32 v56, v56, 23, 0x37800000
	s_delay_alu instid0(VALU_DEP_3) | instskip(NEXT) | instid1(VALU_DEP_1)
	v_lshlrev_b32_e32 v46, 21, v46
	v_or3_b32 v47, v47, v56, v46
.LBB6_952:                              ;   in Loop: Header=BB6_144 Depth=2
	s_or_b32 exec_lo, exec_lo, s24
	s_delay_alu instid0(VALU_DEP_1) | instskip(NEXT) | instid1(VALU_DEP_1)
	v_mul_f32_e32 v46, v45, v47
	v_and_b32_e32 v45, 0x7f800000, v46
	s_delay_alu instid0(VALU_DEP_1)
	v_cmp_ne_u32_e32 vcc_lo, 0x7f800000, v45
	v_mov_b32_e32 v45, 0x80
	s_and_saveexec_b32 s24, vcc_lo
	s_cbranch_execz .LBB6_960
; %bb.953:                              ;   in Loop: Header=BB6_144 Depth=2
	v_mov_b32_e32 v45, 0
	s_mov_b32 s25, exec_lo
	v_cmpx_ne_u32_e32 0, v46
	s_cbranch_execz .LBB6_959
; %bb.954:                              ;   in Loop: Header=BB6_144 Depth=2
	v_bfe_u32 v45, v46, 23, 8
	s_delay_alu instid0(VALU_DEP_1) | instskip(SKIP_1) | instid1(VALU_DEP_2)
	v_sub_nc_u32_e32 v56, 0x70, v45
	v_cmp_gt_u32_e32 vcc_lo, 0x71, v45
	v_dual_cndmask_b32 v56, 0, v56 :: v_dual_and_b32 v47, 0x7fffff, v46
	s_delay_alu instid0(VALU_DEP_1) | instskip(SKIP_2) | instid1(VALU_DEP_4)
	v_or_b32_e32 v57, 0x800000, v47
	v_cmp_eq_u32_e32 vcc_lo, 0, v45
	v_add_nc_u32_e32 v45, 0xffffff91, v45
	v_cndmask_b32_e64 v56, v56, 0x6f, vcc_lo
	s_delay_alu instid0(VALU_DEP_2) | instskip(SKIP_1) | instid1(VALU_DEP_3)
	v_cndmask_b32_e64 v45, v45, 0xffffff92, vcc_lo
	v_cndmask_b32_e32 v47, v57, v47, vcc_lo
	v_lshl_add_u32 v57, 0x200000, v56, -1
	v_lshlrev_b32_e64 v60, v56, 0x100000
	s_delay_alu instid0(VALU_DEP_3) | instskip(SKIP_1) | instid1(VALU_DEP_4)
	v_lshrrev_b32_e32 v58, v56, v47
	v_add_nc_u32_e32 v56, v56, v45
	v_and_b32_e32 v47, v57, v47
	s_delay_alu instid0(VALU_DEP_3) | instskip(NEXT) | instid1(VALU_DEP_2)
	v_bfe_u32 v59, v58, 21, 1
	v_cmp_eq_u32_e64 s11, v47, v60
	s_delay_alu instid0(VALU_DEP_2) | instskip(NEXT) | instid1(VALU_DEP_1)
	v_add_nc_u32_e32 v57, -1, v59
	v_cndmask_b32_e64 v47, 0, v57, s11
	v_lshrrev_b32_e32 v57, 23, v58
	s_mov_b32 s11, exec_lo
	s_delay_alu instid0(VALU_DEP_2) | instskip(NEXT) | instid1(VALU_DEP_2)
	v_add_nc_u32_e32 v47, v47, v58
	v_xor_b32_e32 v57, 1, v57
	s_delay_alu instid0(VALU_DEP_2) | instskip(NEXT) | instid1(VALU_DEP_1)
	v_and_b32_e32 v45, 0x1fffff, v47
	v_add_nc_u32_e32 v47, v45, v58
                                        ; implicit-def: $vgpr45
	s_delay_alu instid0(VALU_DEP_3)
	v_cmpx_ne_u32_e64 v56, v57
	s_xor_b32 s11, exec_lo, s11
; %bb.955:                              ;   in Loop: Header=BB6_144 Depth=2
	s_delay_alu instid0(VALU_DEP_2) | instskip(SKIP_2) | instid1(VALU_DEP_2)
	v_cmp_lt_u32_e32 vcc_lo, 0xffffff, v47
	v_sub_nc_u32_e32 v45, v56, v57
	v_cndmask_b32_e64 v56, 0, 1, vcc_lo
	v_add_co_ci_u32_e32 v45, vcc_lo, 0, v45, vcc_lo
	s_delay_alu instid0(VALU_DEP_2)
	v_lshrrev_b32_e32 v47, v56, v47
; %bb.956:                              ;   in Loop: Header=BB6_144 Depth=2
	s_and_not1_saveexec_b32 s11, s11
; %bb.957:                              ;   in Loop: Header=BB6_144 Depth=2
	s_delay_alu instid0(VALU_DEP_1)
	v_bfe_u32 v45, v47, 23, 1
; %bb.958:                              ;   in Loop: Header=BB6_144 Depth=2
	s_or_b32 exec_lo, exec_lo, s11
	v_lshrrev_b32_e32 v47, 21, v47
	s_delay_alu instid0(VALU_DEP_2) | instskip(SKIP_2) | instid1(VALU_DEP_2)
	v_cmp_gt_i32_e32 vcc_lo, 32, v45
	v_lshrrev_b32_e32 v46, 24, v46
	v_min_i32_e32 v56, 31, v45
	v_dual_cndmask_b32 v47, 3, v47 :: v_dual_and_b32 v46, 0x80, v46
	s_delay_alu instid0(VALU_DEP_1) | instskip(SKIP_1) | instid1(VALU_DEP_2)
	v_or_b32_e32 v45, v45, v47
	v_and_b32_e32 v57, 3, v47
	v_cmp_ne_u32_e32 vcc_lo, 0, v45
	v_lshlrev_b32_e32 v56, 2, v56
	s_delay_alu instid0(VALU_DEP_1) | instskip(NEXT) | instid1(VALU_DEP_1)
	v_or3_b32 v46, v56, v46, v57
	v_cndmask_b32_e32 v45, 0, v46, vcc_lo
.LBB6_959:                              ;   in Loop: Header=BB6_144 Depth=2
	s_or_b32 exec_lo, exec_lo, s25
.LBB6_960:                              ;   in Loop: Header=BB6_144 Depth=2
	s_delay_alu instid0(SALU_CYCLE_1) | instskip(SKIP_3) | instid1(VALU_DEP_1)
	s_or_b32 exec_lo, exec_lo, s24
	v_lshrrev_b32_e32 v47, 24, v14
	s_mov_b32 s11, 0
	s_mov_b32 s25, exec_lo
                                        ; implicit-def: $sgpr24
	v_cmpx_lt_i16_e32 0x7f, v47
	s_xor_b32 s25, exec_lo, s25
	s_cbranch_execnz .LBB6_1574
; %bb.961:                              ;   in Loop: Header=BB6_144 Depth=2
	s_or_saveexec_b32 s25, s25
	v_mov_b32_e32 v46, s24
	s_xor_b32 exec_lo, exec_lo, s25
	s_cbranch_execnz .LBB6_1577
.LBB6_962:                              ;   in Loop: Header=BB6_144 Depth=2
	s_or_b32 exec_lo, exec_lo, s25
	s_and_saveexec_b32 s24, s11
	s_cbranch_execz .LBB6_964
.LBB6_963:                              ;   in Loop: Header=BB6_144 Depth=2
	v_bfe_u32 v46, v14, 24, 2
	s_delay_alu instid0(VALU_DEP_1) | instskip(NEXT) | instid1(VALU_DEP_1)
	v_clz_i32_u32_e32 v56, v46
	v_min_u32_e32 v56, 32, v56
	s_delay_alu instid0(VALU_DEP_1) | instskip(SKIP_1) | instid1(VALU_DEP_2)
	v_subrev_nc_u32_e32 v57, 29, v56
	v_sub_nc_u32_e32 v56, 30, v56
	v_lshlrev_b32_e32 v47, v57, v47
	v_bfe_u32 v57, v14, 26, 5
	v_and_b32_e32 v14, 0x80000000, v14
	s_delay_alu instid0(VALU_DEP_2) | instskip(NEXT) | instid1(VALU_DEP_4)
	v_cmp_eq_u32_e32 vcc_lo, 0, v57
	v_dual_cndmask_b32 v56, v57, v56 :: v_dual_and_b32 v47, 3, v47
	s_delay_alu instid0(VALU_DEP_1) | instskip(NEXT) | instid1(VALU_DEP_2)
	v_cndmask_b32_e32 v46, v46, v47, vcc_lo
	v_lshl_add_u32 v47, v56, 23, 0x37800000
	s_delay_alu instid0(VALU_DEP_2) | instskip(NEXT) | instid1(VALU_DEP_1)
	v_lshlrev_b32_e32 v46, 21, v46
	v_or3_b32 v46, v14, v47, v46
.LBB6_964:                              ;   in Loop: Header=BB6_144 Depth=2
	s_or_b32 exec_lo, exec_lo, s24
	v_lshrrev_b32_e32 v14, 24, v10
	s_mov_b32 s11, 0
	s_mov_b32 s25, exec_lo
                                        ; implicit-def: $sgpr24
	s_delay_alu instid0(VALU_DEP_1)
	v_cmpx_lt_i16_e32 0x7f, v14
	s_xor_b32 s25, exec_lo, s25
	s_cbranch_execnz .LBB6_1578
; %bb.965:                              ;   in Loop: Header=BB6_144 Depth=2
	s_or_saveexec_b32 s25, s25
	v_mov_b32_e32 v47, s24
	s_xor_b32 exec_lo, exec_lo, s25
	s_cbranch_execnz .LBB6_1581
.LBB6_966:                              ;   in Loop: Header=BB6_144 Depth=2
	s_or_b32 exec_lo, exec_lo, s25
	s_and_saveexec_b32 s24, s11
	s_cbranch_execz .LBB6_968
.LBB6_967:                              ;   in Loop: Header=BB6_144 Depth=2
	v_bfe_u32 v47, v10, 24, 2
	s_delay_alu instid0(VALU_DEP_1) | instskip(NEXT) | instid1(VALU_DEP_1)
	v_clz_i32_u32_e32 v56, v47
	v_min_u32_e32 v56, 32, v56
	s_delay_alu instid0(VALU_DEP_1) | instskip(SKIP_1) | instid1(VALU_DEP_2)
	v_subrev_nc_u32_e32 v57, 29, v56
	v_sub_nc_u32_e32 v56, 30, v56
	v_lshlrev_b32_e32 v14, v57, v14
	v_bfe_u32 v57, v10, 26, 5
	v_and_b32_e32 v10, 0x80000000, v10
	s_delay_alu instid0(VALU_DEP_3) | instskip(NEXT) | instid1(VALU_DEP_3)
	v_and_b32_e32 v14, 3, v14
	v_cmp_eq_u32_e32 vcc_lo, 0, v57
	v_cndmask_b32_e32 v56, v57, v56, vcc_lo
	s_delay_alu instid0(VALU_DEP_3) | instskip(NEXT) | instid1(VALU_DEP_2)
	v_cndmask_b32_e32 v14, v47, v14, vcc_lo
	v_lshl_add_u32 v47, v56, 23, 0x37800000
	s_delay_alu instid0(VALU_DEP_2) | instskip(NEXT) | instid1(VALU_DEP_1)
	v_lshlrev_b32_e32 v14, 21, v14
	v_or3_b32 v47, v10, v47, v14
.LBB6_968:                              ;   in Loop: Header=BB6_144 Depth=2
	s_or_b32 exec_lo, exec_lo, s24
	s_delay_alu instid0(VALU_DEP_1) | instskip(NEXT) | instid1(VALU_DEP_1)
	v_mul_f32_e32 v14, v46, v47
	v_and_b32_e32 v10, 0x7f800000, v14
	s_delay_alu instid0(VALU_DEP_1)
	v_cmp_ne_u32_e32 vcc_lo, 0x7f800000, v10
	v_mov_b32_e32 v10, 0x80
	s_and_saveexec_b32 s24, vcc_lo
	s_cbranch_execz .LBB6_976
; %bb.969:                              ;   in Loop: Header=BB6_144 Depth=2
	v_mov_b32_e32 v10, 0
	s_mov_b32 s25, exec_lo
	v_cmpx_ne_u32_e32 0, v14
	s_cbranch_execz .LBB6_975
; %bb.970:                              ;   in Loop: Header=BB6_144 Depth=2
	v_bfe_u32 v10, v14, 23, 8
	s_delay_alu instid0(VALU_DEP_1) | instskip(SKIP_1) | instid1(VALU_DEP_2)
	v_sub_nc_u32_e32 v47, 0x70, v10
	v_cmp_gt_u32_e32 vcc_lo, 0x71, v10
	v_dual_cndmask_b32 v47, 0, v47 :: v_dual_and_b32 v46, 0x7fffff, v14
	s_delay_alu instid0(VALU_DEP_1) | instskip(SKIP_2) | instid1(VALU_DEP_4)
	v_or_b32_e32 v56, 0x800000, v46
	v_cmp_eq_u32_e32 vcc_lo, 0, v10
	v_add_nc_u32_e32 v10, 0xffffff91, v10
	v_cndmask_b32_e64 v47, v47, 0x6f, vcc_lo
	s_delay_alu instid0(VALU_DEP_4) | instskip(NEXT) | instid1(VALU_DEP_3)
	v_cndmask_b32_e32 v46, v56, v46, vcc_lo
	v_cndmask_b32_e64 v10, v10, 0xffffff92, vcc_lo
	s_delay_alu instid0(VALU_DEP_3) | instskip(NEXT) | instid1(VALU_DEP_3)
	v_lshl_add_u32 v56, 0x200000, v47, -1
	v_lshrrev_b32_e32 v57, v47, v46
	v_lshlrev_b32_e64 v59, v47, 0x100000
	s_delay_alu instid0(VALU_DEP_4) | instskip(NEXT) | instid1(VALU_DEP_4)
	v_add_nc_u32_e32 v47, v47, v10
	v_and_b32_e32 v46, v56, v46
	s_delay_alu instid0(VALU_DEP_4) | instskip(NEXT) | instid1(VALU_DEP_2)
	v_bfe_u32 v58, v57, 21, 1
	v_cmp_eq_u32_e64 s11, v46, v59
	s_delay_alu instid0(VALU_DEP_2) | instskip(NEXT) | instid1(VALU_DEP_1)
	v_add_nc_u32_e32 v56, -1, v58
	v_cndmask_b32_e64 v46, 0, v56, s11
	v_lshrrev_b32_e32 v56, 23, v57
	s_mov_b32 s11, exec_lo
	s_delay_alu instid0(VALU_DEP_2) | instskip(NEXT) | instid1(VALU_DEP_2)
	v_add_nc_u32_e32 v46, v46, v57
	v_xor_b32_e32 v56, 1, v56
	s_delay_alu instid0(VALU_DEP_2) | instskip(NEXT) | instid1(VALU_DEP_1)
	v_and_b32_e32 v10, 0x1fffff, v46
	v_add_nc_u32_e32 v46, v10, v57
                                        ; implicit-def: $vgpr10
	s_delay_alu instid0(VALU_DEP_3)
	v_cmpx_ne_u32_e64 v47, v56
	s_xor_b32 s11, exec_lo, s11
; %bb.971:                              ;   in Loop: Header=BB6_144 Depth=2
	s_delay_alu instid0(VALU_DEP_2) | instskip(SKIP_2) | instid1(VALU_DEP_2)
	v_cmp_lt_u32_e32 vcc_lo, 0xffffff, v46
	v_sub_nc_u32_e32 v10, v47, v56
	v_cndmask_b32_e64 v47, 0, 1, vcc_lo
	v_add_co_ci_u32_e32 v10, vcc_lo, 0, v10, vcc_lo
	s_delay_alu instid0(VALU_DEP_2)
	v_lshrrev_b32_e32 v46, v47, v46
; %bb.972:                              ;   in Loop: Header=BB6_144 Depth=2
	s_and_not1_saveexec_b32 s11, s11
; %bb.973:                              ;   in Loop: Header=BB6_144 Depth=2
	s_delay_alu instid0(VALU_DEP_1)
	v_bfe_u32 v10, v46, 23, 1
; %bb.974:                              ;   in Loop: Header=BB6_144 Depth=2
	s_or_b32 exec_lo, exec_lo, s11
	v_lshrrev_b32_e32 v46, 21, v46
	s_delay_alu instid0(VALU_DEP_2) | instskip(SKIP_2) | instid1(VALU_DEP_4)
	v_cmp_gt_i32_e32 vcc_lo, 32, v10
	v_lshrrev_b32_e32 v14, 24, v14
	v_min_i32_e32 v47, 31, v10
	v_cndmask_b32_e32 v46, 3, v46, vcc_lo
	s_delay_alu instid0(VALU_DEP_3) | instskip(NEXT) | instid1(VALU_DEP_3)
	v_and_b32_e32 v14, 0x80, v14
	v_lshlrev_b32_e32 v47, 2, v47
	s_delay_alu instid0(VALU_DEP_3) | instskip(SKIP_1) | instid1(VALU_DEP_2)
	v_and_b32_e32 v56, 3, v46
	v_or_b32_e32 v10, v10, v46
	v_or3_b32 v14, v47, v14, v56
	s_delay_alu instid0(VALU_DEP_2) | instskip(NEXT) | instid1(VALU_DEP_2)
	v_cmp_ne_u32_e32 vcc_lo, 0, v10
	v_cndmask_b32_e32 v10, 0, v14, vcc_lo
.LBB6_975:                              ;   in Loop: Header=BB6_144 Depth=2
	s_or_b32 exec_lo, exec_lo, s25
.LBB6_976:                              ;   in Loop: Header=BB6_144 Depth=2
	s_delay_alu instid0(SALU_CYCLE_1) | instskip(SKIP_3) | instid1(VALU_DEP_1)
	s_or_b32 exec_lo, exec_lo, s24
	v_and_b32_e32 v46, 0xff, v15
	s_mov_b32 s11, 0
	s_mov_b32 s25, exec_lo
                                        ; implicit-def: $sgpr24
	v_cmpx_lt_i16_e32 0x7f, v46
	s_xor_b32 s25, exec_lo, s25
	s_cbranch_execnz .LBB6_1582
; %bb.977:                              ;   in Loop: Header=BB6_144 Depth=2
	s_or_saveexec_b32 s25, s25
	v_mov_b32_e32 v14, s24
	s_xor_b32 exec_lo, exec_lo, s25
	s_cbranch_execnz .LBB6_1585
.LBB6_978:                              ;   in Loop: Header=BB6_144 Depth=2
	s_or_b32 exec_lo, exec_lo, s25
	s_and_saveexec_b32 s24, s11
	s_cbranch_execz .LBB6_980
.LBB6_979:                              ;   in Loop: Header=BB6_144 Depth=2
	v_and_b32_e32 v14, 3, v15
	v_bfe_u32 v56, v15, 2, 5
	v_lshlrev_b32_e32 v57, 24, v15
	s_delay_alu instid0(VALU_DEP_3) | instskip(NEXT) | instid1(VALU_DEP_3)
	v_clz_i32_u32_e32 v46, v14
	v_cmp_eq_u32_e32 vcc_lo, 0, v56
	s_delay_alu instid0(VALU_DEP_2) | instskip(NEXT) | instid1(VALU_DEP_1)
	v_min_u32_e32 v46, 32, v46
	v_subrev_nc_u32_e32 v47, 29, v46
	v_sub_nc_u32_e32 v46, 30, v46
	s_delay_alu instid0(VALU_DEP_1) | instskip(NEXT) | instid1(VALU_DEP_1)
	v_dual_cndmask_b32 v46, v56, v46 :: v_dual_lshlrev_b32 v47, v47, v15
	v_and_b32_e32 v47, 3, v47
	s_delay_alu instid0(VALU_DEP_2) | instskip(NEXT) | instid1(VALU_DEP_2)
	v_lshl_add_u32 v46, v46, 23, 0x37800000
	v_dual_cndmask_b32 v14, v14, v47 :: v_dual_and_b32 v47, 0x80000000, v57
	s_delay_alu instid0(VALU_DEP_1) | instskip(NEXT) | instid1(VALU_DEP_1)
	v_lshlrev_b32_e32 v14, 21, v14
	v_or3_b32 v14, v47, v46, v14
.LBB6_980:                              ;   in Loop: Header=BB6_144 Depth=2
	s_or_b32 exec_lo, exec_lo, s24
	v_and_b32_e32 v47, 0xff, v11
	s_mov_b32 s11, 0
	s_mov_b32 s25, exec_lo
                                        ; implicit-def: $sgpr24
	s_delay_alu instid0(VALU_DEP_1)
	v_cmpx_lt_i16_e32 0x7f, v47
	s_xor_b32 s25, exec_lo, s25
	s_cbranch_execnz .LBB6_1586
; %bb.981:                              ;   in Loop: Header=BB6_144 Depth=2
	s_or_saveexec_b32 s25, s25
	v_mov_b32_e32 v46, s24
	s_xor_b32 exec_lo, exec_lo, s25
	s_cbranch_execnz .LBB6_1589
.LBB6_982:                              ;   in Loop: Header=BB6_144 Depth=2
	s_or_b32 exec_lo, exec_lo, s25
	s_and_saveexec_b32 s24, s11
	s_cbranch_execz .LBB6_984
.LBB6_983:                              ;   in Loop: Header=BB6_144 Depth=2
	v_and_b32_e32 v46, 3, v11
	v_bfe_u32 v57, v11, 2, 5
	v_lshlrev_b32_e32 v58, 24, v11
	s_delay_alu instid0(VALU_DEP_3) | instskip(NEXT) | instid1(VALU_DEP_3)
	v_clz_i32_u32_e32 v47, v46
	v_cmp_eq_u32_e32 vcc_lo, 0, v57
	s_delay_alu instid0(VALU_DEP_2) | instskip(NEXT) | instid1(VALU_DEP_1)
	v_min_u32_e32 v47, 32, v47
	v_subrev_nc_u32_e32 v56, 29, v47
	v_sub_nc_u32_e32 v47, 30, v47
	s_delay_alu instid0(VALU_DEP_2) | instskip(NEXT) | instid1(VALU_DEP_1)
	v_lshlrev_b32_e32 v56, v56, v11
	v_dual_cndmask_b32 v47, v57, v47 :: v_dual_and_b32 v56, 3, v56
	s_delay_alu instid0(VALU_DEP_1) | instskip(NEXT) | instid1(VALU_DEP_2)
	v_lshl_add_u32 v47, v47, 23, 0x37800000
	v_cndmask_b32_e32 v46, v46, v56, vcc_lo
	v_and_b32_e32 v56, 0x80000000, v58
	s_delay_alu instid0(VALU_DEP_2) | instskip(NEXT) | instid1(VALU_DEP_1)
	v_lshlrev_b32_e32 v46, 21, v46
	v_or3_b32 v46, v56, v47, v46
.LBB6_984:                              ;   in Loop: Header=BB6_144 Depth=2
	s_or_b32 exec_lo, exec_lo, s24
	s_delay_alu instid0(VALU_DEP_1) | instskip(NEXT) | instid1(VALU_DEP_1)
	v_mul_f32_e32 v46, v14, v46
	v_and_b32_e32 v14, 0x7f800000, v46
	s_delay_alu instid0(VALU_DEP_1)
	v_cmp_ne_u32_e32 vcc_lo, 0x7f800000, v14
	v_mov_b32_e32 v14, 0x80
	s_and_saveexec_b32 s24, vcc_lo
	s_cbranch_execz .LBB6_992
; %bb.985:                              ;   in Loop: Header=BB6_144 Depth=2
	v_mov_b32_e32 v14, 0
	s_mov_b32 s25, exec_lo
	v_cmpx_ne_u32_e32 0, v46
	s_cbranch_execz .LBB6_991
; %bb.986:                              ;   in Loop: Header=BB6_144 Depth=2
	v_bfe_u32 v14, v46, 23, 8
	s_delay_alu instid0(VALU_DEP_1) | instskip(SKIP_1) | instid1(VALU_DEP_2)
	v_sub_nc_u32_e32 v56, 0x70, v14
	v_cmp_gt_u32_e32 vcc_lo, 0x71, v14
	v_dual_cndmask_b32 v56, 0, v56 :: v_dual_and_b32 v47, 0x7fffff, v46
	s_delay_alu instid0(VALU_DEP_1) | instskip(SKIP_2) | instid1(VALU_DEP_4)
	v_or_b32_e32 v57, 0x800000, v47
	v_cmp_eq_u32_e32 vcc_lo, 0, v14
	v_add_nc_u32_e32 v14, 0xffffff91, v14
	v_cndmask_b32_e64 v56, v56, 0x6f, vcc_lo
	s_delay_alu instid0(VALU_DEP_4) | instskip(NEXT) | instid1(VALU_DEP_3)
	v_cndmask_b32_e32 v47, v57, v47, vcc_lo
	v_cndmask_b32_e64 v14, v14, 0xffffff92, vcc_lo
	s_delay_alu instid0(VALU_DEP_3) | instskip(NEXT) | instid1(VALU_DEP_3)
	v_lshl_add_u32 v57, 0x200000, v56, -1
	v_lshrrev_b32_e32 v58, v56, v47
	v_lshlrev_b32_e64 v60, v56, 0x100000
	s_delay_alu instid0(VALU_DEP_4) | instskip(NEXT) | instid1(VALU_DEP_4)
	v_add_nc_u32_e32 v56, v56, v14
	v_and_b32_e32 v47, v57, v47
	s_delay_alu instid0(VALU_DEP_4) | instskip(NEXT) | instid1(VALU_DEP_2)
	v_bfe_u32 v59, v58, 21, 1
	v_cmp_eq_u32_e64 s11, v47, v60
	s_delay_alu instid0(VALU_DEP_2) | instskip(NEXT) | instid1(VALU_DEP_1)
	v_add_nc_u32_e32 v57, -1, v59
	v_cndmask_b32_e64 v47, 0, v57, s11
	v_lshrrev_b32_e32 v57, 23, v58
	s_mov_b32 s11, exec_lo
	s_delay_alu instid0(VALU_DEP_2) | instskip(NEXT) | instid1(VALU_DEP_2)
	v_add_nc_u32_e32 v47, v47, v58
	v_xor_b32_e32 v57, 1, v57
	s_delay_alu instid0(VALU_DEP_2) | instskip(NEXT) | instid1(VALU_DEP_1)
	v_and_b32_e32 v14, 0x1fffff, v47
	v_add_nc_u32_e32 v47, v14, v58
                                        ; implicit-def: $vgpr14
	s_delay_alu instid0(VALU_DEP_3)
	v_cmpx_ne_u32_e64 v56, v57
	s_xor_b32 s11, exec_lo, s11
; %bb.987:                              ;   in Loop: Header=BB6_144 Depth=2
	s_delay_alu instid0(VALU_DEP_2) | instskip(SKIP_2) | instid1(VALU_DEP_2)
	v_cmp_lt_u32_e32 vcc_lo, 0xffffff, v47
	v_sub_nc_u32_e32 v14, v56, v57
	v_cndmask_b32_e64 v56, 0, 1, vcc_lo
	v_add_co_ci_u32_e32 v14, vcc_lo, 0, v14, vcc_lo
	s_delay_alu instid0(VALU_DEP_2)
	v_lshrrev_b32_e32 v47, v56, v47
; %bb.988:                              ;   in Loop: Header=BB6_144 Depth=2
	s_and_not1_saveexec_b32 s11, s11
; %bb.989:                              ;   in Loop: Header=BB6_144 Depth=2
	s_delay_alu instid0(VALU_DEP_1)
	v_bfe_u32 v14, v47, 23, 1
; %bb.990:                              ;   in Loop: Header=BB6_144 Depth=2
	s_or_b32 exec_lo, exec_lo, s11
	v_lshrrev_b32_e32 v47, 21, v47
	s_delay_alu instid0(VALU_DEP_2) | instskip(SKIP_2) | instid1(VALU_DEP_2)
	v_cmp_gt_i32_e32 vcc_lo, 32, v14
	v_lshrrev_b32_e32 v46, 24, v46
	v_min_i32_e32 v56, 31, v14
	v_dual_cndmask_b32 v47, 3, v47 :: v_dual_and_b32 v46, 0x80, v46
	s_delay_alu instid0(VALU_DEP_2) | instskip(NEXT) | instid1(VALU_DEP_2)
	v_lshlrev_b32_e32 v56, 2, v56
	v_or_b32_e32 v14, v14, v47
	s_delay_alu instid0(VALU_DEP_1) | instskip(SKIP_1) | instid1(VALU_DEP_1)
	v_cmp_ne_u32_e32 vcc_lo, 0, v14
	v_and_b32_e32 v57, 3, v47
	v_or3_b32 v46, v56, v46, v57
	s_delay_alu instid0(VALU_DEP_1)
	v_cndmask_b32_e32 v14, 0, v46, vcc_lo
.LBB6_991:                              ;   in Loop: Header=BB6_144 Depth=2
	s_or_b32 exec_lo, exec_lo, s25
.LBB6_992:                              ;   in Loop: Header=BB6_144 Depth=2
	s_delay_alu instid0(SALU_CYCLE_1) | instskip(SKIP_3) | instid1(VALU_DEP_1)
	s_or_b32 exec_lo, exec_lo, s24
	v_lshrrev_b16 v47, 8, v15
	s_mov_b32 s11, 0
	s_mov_b32 s25, exec_lo
                                        ; implicit-def: $sgpr24
	v_cmpx_lt_i16_e32 0x7f, v47
	s_xor_b32 s25, exec_lo, s25
	s_cbranch_execnz .LBB6_1590
; %bb.993:                              ;   in Loop: Header=BB6_144 Depth=2
	s_or_saveexec_b32 s25, s25
	v_mov_b32_e32 v46, s24
	s_xor_b32 exec_lo, exec_lo, s25
	s_cbranch_execnz .LBB6_1593
.LBB6_994:                              ;   in Loop: Header=BB6_144 Depth=2
	s_or_b32 exec_lo, exec_lo, s25
	s_and_saveexec_b32 s24, s11
	s_cbranch_execz .LBB6_996
.LBB6_995:                              ;   in Loop: Header=BB6_144 Depth=2
	v_and_b32_e32 v46, 0xffff, v47
	s_delay_alu instid0(VALU_DEP_1) | instskip(NEXT) | instid1(VALU_DEP_1)
	v_and_b32_e32 v56, 3, v46
	v_clz_i32_u32_e32 v57, v56
	s_delay_alu instid0(VALU_DEP_1) | instskip(NEXT) | instid1(VALU_DEP_1)
	v_min_u32_e32 v57, 32, v57
	v_subrev_nc_u32_e32 v58, 29, v57
	v_sub_nc_u32_e32 v57, 30, v57
	s_delay_alu instid0(VALU_DEP_2) | instskip(SKIP_1) | instid1(VALU_DEP_2)
	v_lshlrev_b32_e32 v58, v58, v46
	v_bfe_u32 v46, v46, 2, 5
	v_and_b32_e32 v58, 3, v58
	s_delay_alu instid0(VALU_DEP_2) | instskip(SKIP_1) | instid1(VALU_DEP_1)
	v_cmp_eq_u32_e32 vcc_lo, 0, v46
	v_dual_cndmask_b32 v46, v46, v57 :: v_dual_lshlrev_b32 v47, 24, v47
	v_dual_cndmask_b32 v56, v56, v58 :: v_dual_and_b32 v47, 0x80000000, v47
	s_delay_alu instid0(VALU_DEP_2) | instskip(NEXT) | instid1(VALU_DEP_2)
	v_lshl_add_u32 v46, v46, 23, 0x37800000
	v_lshlrev_b32_e32 v56, 21, v56
	s_delay_alu instid0(VALU_DEP_1)
	v_or3_b32 v46, v47, v46, v56
.LBB6_996:                              ;   in Loop: Header=BB6_144 Depth=2
	s_or_b32 exec_lo, exec_lo, s24
	v_lshrrev_b16 v47, 8, v11
	s_mov_b32 s11, 0
	s_mov_b32 s25, exec_lo
                                        ; implicit-def: $sgpr24
	s_delay_alu instid0(VALU_DEP_1)
	v_cmpx_lt_i16_e32 0x7f, v47
	s_xor_b32 s25, exec_lo, s25
	s_cbranch_execnz .LBB6_1594
; %bb.997:                              ;   in Loop: Header=BB6_144 Depth=2
	s_or_saveexec_b32 s25, s25
	v_mov_b32_e32 v56, s24
	s_xor_b32 exec_lo, exec_lo, s25
	s_cbranch_execnz .LBB6_1597
.LBB6_998:                              ;   in Loop: Header=BB6_144 Depth=2
	s_or_b32 exec_lo, exec_lo, s25
	s_and_saveexec_b32 s24, s11
	s_cbranch_execz .LBB6_1000
.LBB6_999:                              ;   in Loop: Header=BB6_144 Depth=2
	v_and_b32_e32 v56, 0xffff, v47
	v_lshlrev_b32_e32 v47, 24, v47
	s_delay_alu instid0(VALU_DEP_2) | instskip(NEXT) | instid1(VALU_DEP_2)
	v_and_b32_e32 v57, 3, v56
	v_and_b32_e32 v47, 0x80000000, v47
	s_delay_alu instid0(VALU_DEP_2) | instskip(NEXT) | instid1(VALU_DEP_1)
	v_clz_i32_u32_e32 v58, v57
	v_min_u32_e32 v58, 32, v58
	s_delay_alu instid0(VALU_DEP_1) | instskip(SKIP_1) | instid1(VALU_DEP_2)
	v_subrev_nc_u32_e32 v59, 29, v58
	v_sub_nc_u32_e32 v58, 30, v58
	v_lshlrev_b32_e32 v59, v59, v56
	v_bfe_u32 v56, v56, 2, 5
	s_delay_alu instid0(VALU_DEP_2) | instskip(NEXT) | instid1(VALU_DEP_2)
	v_and_b32_e32 v59, 3, v59
	v_cmp_eq_u32_e32 vcc_lo, 0, v56
	s_delay_alu instid0(VALU_DEP_2) | instskip(NEXT) | instid1(VALU_DEP_1)
	v_dual_cndmask_b32 v56, v56, v58 :: v_dual_cndmask_b32 v57, v57, v59
	v_lshl_add_u32 v56, v56, 23, 0x37800000
	s_delay_alu instid0(VALU_DEP_2) | instskip(NEXT) | instid1(VALU_DEP_1)
	v_lshlrev_b32_e32 v57, 21, v57
	v_or3_b32 v56, v47, v56, v57
.LBB6_1000:                             ;   in Loop: Header=BB6_144 Depth=2
	s_or_b32 exec_lo, exec_lo, s24
	s_delay_alu instid0(VALU_DEP_1) | instskip(NEXT) | instid1(VALU_DEP_1)
	v_mul_f32_e32 v47, v46, v56
	v_and_b32_e32 v46, 0x7f800000, v47
	s_delay_alu instid0(VALU_DEP_1)
	v_cmp_ne_u32_e32 vcc_lo, 0x7f800000, v46
	v_mov_b32_e32 v46, 0x8000
	s_and_saveexec_b32 s24, vcc_lo
	s_cbranch_execz .LBB6_1008
; %bb.1001:                             ;   in Loop: Header=BB6_144 Depth=2
	v_mov_b32_e32 v46, 0
	s_mov_b32 s25, exec_lo
	v_cmpx_ne_u32_e32 0, v47
	s_cbranch_execz .LBB6_1007
; %bb.1002:                             ;   in Loop: Header=BB6_144 Depth=2
	v_bfe_u32 v46, v47, 23, 8
	s_delay_alu instid0(VALU_DEP_1) | instskip(SKIP_1) | instid1(VALU_DEP_2)
	v_sub_nc_u32_e32 v57, 0x70, v46
	v_cmp_gt_u32_e32 vcc_lo, 0x71, v46
	v_dual_cndmask_b32 v57, 0, v57 :: v_dual_and_b32 v56, 0x7fffff, v47
	s_delay_alu instid0(VALU_DEP_1) | instskip(SKIP_2) | instid1(VALU_DEP_4)
	v_or_b32_e32 v58, 0x800000, v56
	v_cmp_eq_u32_e32 vcc_lo, 0, v46
	v_add_nc_u32_e32 v46, 0xffffff91, v46
	v_cndmask_b32_e64 v57, v57, 0x6f, vcc_lo
	s_delay_alu instid0(VALU_DEP_2) | instskip(SKIP_1) | instid1(VALU_DEP_3)
	v_cndmask_b32_e64 v46, v46, 0xffffff92, vcc_lo
	v_cndmask_b32_e32 v56, v58, v56, vcc_lo
	v_lshl_add_u32 v58, 0x200000, v57, -1
	v_lshlrev_b32_e64 v61, v57, 0x100000
	s_delay_alu instid0(VALU_DEP_3) | instskip(SKIP_1) | instid1(VALU_DEP_4)
	v_lshrrev_b32_e32 v59, v57, v56
	v_add_nc_u32_e32 v57, v57, v46
	v_and_b32_e32 v56, v58, v56
	s_delay_alu instid0(VALU_DEP_3) | instskip(NEXT) | instid1(VALU_DEP_2)
	v_bfe_u32 v60, v59, 21, 1
	v_cmp_eq_u32_e64 s11, v56, v61
	s_delay_alu instid0(VALU_DEP_2) | instskip(NEXT) | instid1(VALU_DEP_1)
	v_add_nc_u32_e32 v58, -1, v60
	v_cndmask_b32_e64 v56, 0, v58, s11
	v_lshrrev_b32_e32 v58, 23, v59
	s_mov_b32 s11, exec_lo
	s_delay_alu instid0(VALU_DEP_2) | instskip(NEXT) | instid1(VALU_DEP_2)
	v_add_nc_u32_e32 v56, v56, v59
	v_xor_b32_e32 v58, 1, v58
	s_delay_alu instid0(VALU_DEP_2) | instskip(NEXT) | instid1(VALU_DEP_1)
	v_and_b32_e32 v46, 0x1fffff, v56
	v_add_nc_u32_e32 v56, v46, v59
                                        ; implicit-def: $vgpr46
	s_delay_alu instid0(VALU_DEP_3)
	v_cmpx_ne_u32_e64 v57, v58
	s_xor_b32 s11, exec_lo, s11
; %bb.1003:                             ;   in Loop: Header=BB6_144 Depth=2
	s_delay_alu instid0(VALU_DEP_2) | instskip(SKIP_2) | instid1(VALU_DEP_2)
	v_cmp_lt_u32_e32 vcc_lo, 0xffffff, v56
	v_sub_nc_u32_e32 v46, v57, v58
	v_cndmask_b32_e64 v57, 0, 1, vcc_lo
	v_add_co_ci_u32_e32 v46, vcc_lo, 0, v46, vcc_lo
	s_delay_alu instid0(VALU_DEP_2)
	v_lshrrev_b32_e32 v56, v57, v56
; %bb.1004:                             ;   in Loop: Header=BB6_144 Depth=2
	s_and_not1_saveexec_b32 s11, s11
; %bb.1005:                             ;   in Loop: Header=BB6_144 Depth=2
	s_delay_alu instid0(VALU_DEP_1)
	v_bfe_u32 v46, v56, 23, 1
; %bb.1006:                             ;   in Loop: Header=BB6_144 Depth=2
	s_or_b32 exec_lo, exec_lo, s11
	v_lshrrev_b32_e32 v56, 21, v56
	s_delay_alu instid0(VALU_DEP_2) | instskip(SKIP_2) | instid1(VALU_DEP_2)
	v_cmp_gt_i32_e32 vcc_lo, 32, v46
	v_min_i32_e32 v57, 31, v46
	v_lshrrev_b32_e32 v47, 24, v47
	v_dual_cndmask_b32 v56, 3, v56 :: v_dual_lshlrev_b32 v57, 2, v57
	s_delay_alu instid0(VALU_DEP_2) | instskip(NEXT) | instid1(VALU_DEP_2)
	v_and_b32_e32 v47, 0x80, v47
	v_or_b32_e32 v46, v46, v56
	v_and_b32_e32 v58, 3, v56
	s_delay_alu instid0(VALU_DEP_2) | instskip(SKIP_1) | instid1(VALU_DEP_1)
	v_cmp_ne_u32_e32 vcc_lo, 0, v46
	v_and_b32_e32 v57, 0xfc, v57
	v_or3_b32 v47, v47, v57, v58
	s_delay_alu instid0(VALU_DEP_1) | instskip(NEXT) | instid1(VALU_DEP_1)
	v_lshlrev_b32_e32 v47, 8, v47
	v_cndmask_b32_e32 v46, 0, v47, vcc_lo
.LBB6_1007:                             ;   in Loop: Header=BB6_144 Depth=2
	s_or_b32 exec_lo, exec_lo, s25
.LBB6_1008:                             ;   in Loop: Header=BB6_144 Depth=2
	s_delay_alu instid0(SALU_CYCLE_1) | instskip(SKIP_3) | instid1(VALU_DEP_1)
	s_or_b32 exec_lo, exec_lo, s24
	v_lshrrev_b32_e32 v56, 16, v15
	s_mov_b32 s11, 0
	s_mov_b32 s25, exec_lo
                                        ; implicit-def: $sgpr24
	v_and_b32_e32 v57, 0xff, v56
	s_delay_alu instid0(VALU_DEP_1)
	v_cmpx_lt_i16_e32 0x7f, v57
	s_xor_b32 s25, exec_lo, s25
	s_cbranch_execnz .LBB6_1598
; %bb.1009:                             ;   in Loop: Header=BB6_144 Depth=2
	s_or_saveexec_b32 s25, s25
	v_mov_b32_e32 v47, s24
	s_xor_b32 exec_lo, exec_lo, s25
	s_cbranch_execnz .LBB6_1601
.LBB6_1010:                             ;   in Loop: Header=BB6_144 Depth=2
	s_or_b32 exec_lo, exec_lo, s25
	s_and_saveexec_b32 s24, s11
	s_cbranch_execz .LBB6_1012
.LBB6_1011:                             ;   in Loop: Header=BB6_144 Depth=2
	v_bfe_u32 v47, v15, 16, 2
	v_lshlrev_b32_e32 v59, 8, v15
	s_delay_alu instid0(VALU_DEP_2) | instskip(NEXT) | instid1(VALU_DEP_1)
	v_clz_i32_u32_e32 v57, v47
	v_min_u32_e32 v57, 32, v57
	s_delay_alu instid0(VALU_DEP_1) | instskip(SKIP_1) | instid1(VALU_DEP_2)
	v_subrev_nc_u32_e32 v58, 29, v57
	v_sub_nc_u32_e32 v57, 30, v57
	v_lshlrev_b32_e32 v56, v58, v56
	v_bfe_u32 v58, v15, 18, 5
	s_delay_alu instid0(VALU_DEP_1) | instskip(NEXT) | instid1(VALU_DEP_3)
	v_cmp_eq_u32_e32 vcc_lo, 0, v58
	v_dual_cndmask_b32 v57, v58, v57 :: v_dual_and_b32 v56, 3, v56
	s_delay_alu instid0(VALU_DEP_1) | instskip(NEXT) | instid1(VALU_DEP_2)
	v_dual_cndmask_b32 v47, v47, v56 :: v_dual_and_b32 v56, 0x80000000, v59
	v_lshl_add_u32 v57, v57, 23, 0x37800000
	s_delay_alu instid0(VALU_DEP_2) | instskip(NEXT) | instid1(VALU_DEP_1)
	v_lshlrev_b32_e32 v47, 21, v47
	v_or3_b32 v47, v56, v57, v47
.LBB6_1012:                             ;   in Loop: Header=BB6_144 Depth=2
	s_or_b32 exec_lo, exec_lo, s24
	v_lshrrev_b32_e32 v56, 16, v11
	s_mov_b32 s11, 0
	s_mov_b32 s25, exec_lo
                                        ; implicit-def: $sgpr24
	s_delay_alu instid0(VALU_DEP_1) | instskip(NEXT) | instid1(VALU_DEP_1)
	v_and_b32_e32 v58, 0xff, v56
	v_cmpx_lt_i16_e32 0x7f, v58
	s_xor_b32 s25, exec_lo, s25
	s_cbranch_execnz .LBB6_1602
; %bb.1013:                             ;   in Loop: Header=BB6_144 Depth=2
	s_or_saveexec_b32 s25, s25
	v_mov_b32_e32 v57, s24
	s_xor_b32 exec_lo, exec_lo, s25
	s_cbranch_execnz .LBB6_1605
.LBB6_1014:                             ;   in Loop: Header=BB6_144 Depth=2
	s_or_b32 exec_lo, exec_lo, s25
	s_and_saveexec_b32 s24, s11
	s_cbranch_execz .LBB6_1016
.LBB6_1015:                             ;   in Loop: Header=BB6_144 Depth=2
	v_bfe_u32 v57, v11, 16, 2
	v_lshlrev_b32_e32 v60, 8, v11
	s_delay_alu instid0(VALU_DEP_2) | instskip(NEXT) | instid1(VALU_DEP_1)
	v_clz_i32_u32_e32 v58, v57
	v_min_u32_e32 v58, 32, v58
	s_delay_alu instid0(VALU_DEP_1) | instskip(SKIP_1) | instid1(VALU_DEP_2)
	v_subrev_nc_u32_e32 v59, 29, v58
	v_sub_nc_u32_e32 v58, 30, v58
	v_lshlrev_b32_e32 v56, v59, v56
	v_bfe_u32 v59, v11, 18, 5
	s_delay_alu instid0(VALU_DEP_2) | instskip(NEXT) | instid1(VALU_DEP_2)
	v_and_b32_e32 v56, 3, v56
	v_cmp_eq_u32_e32 vcc_lo, 0, v59
	v_cndmask_b32_e32 v58, v59, v58, vcc_lo
	s_delay_alu instid0(VALU_DEP_3) | instskip(SKIP_1) | instid1(VALU_DEP_3)
	v_cndmask_b32_e32 v56, v57, v56, vcc_lo
	v_and_b32_e32 v57, 0x80000000, v60
	v_lshl_add_u32 v58, v58, 23, 0x37800000
	s_delay_alu instid0(VALU_DEP_3) | instskip(NEXT) | instid1(VALU_DEP_1)
	v_lshlrev_b32_e32 v56, 21, v56
	v_or3_b32 v57, v57, v58, v56
.LBB6_1016:                             ;   in Loop: Header=BB6_144 Depth=2
	s_or_b32 exec_lo, exec_lo, s24
	s_delay_alu instid0(VALU_DEP_1) | instskip(NEXT) | instid1(VALU_DEP_1)
	v_mul_f32_e32 v56, v47, v57
	v_and_b32_e32 v47, 0x7f800000, v56
	s_delay_alu instid0(VALU_DEP_1)
	v_cmp_ne_u32_e32 vcc_lo, 0x7f800000, v47
	v_mov_b32_e32 v47, 0x80
	s_and_saveexec_b32 s24, vcc_lo
	s_cbranch_execz .LBB6_1024
; %bb.1017:                             ;   in Loop: Header=BB6_144 Depth=2
	v_mov_b32_e32 v47, 0
	s_mov_b32 s25, exec_lo
	v_cmpx_ne_u32_e32 0, v56
	s_cbranch_execz .LBB6_1023
; %bb.1018:                             ;   in Loop: Header=BB6_144 Depth=2
	v_bfe_u32 v47, v56, 23, 8
	s_delay_alu instid0(VALU_DEP_1) | instskip(SKIP_1) | instid1(VALU_DEP_2)
	v_sub_nc_u32_e32 v58, 0x70, v47
	v_cmp_gt_u32_e32 vcc_lo, 0x71, v47
	v_dual_cndmask_b32 v58, 0, v58 :: v_dual_and_b32 v57, 0x7fffff, v56
	s_delay_alu instid0(VALU_DEP_1) | instskip(SKIP_2) | instid1(VALU_DEP_4)
	v_or_b32_e32 v59, 0x800000, v57
	v_cmp_eq_u32_e32 vcc_lo, 0, v47
	v_add_nc_u32_e32 v47, 0xffffff91, v47
	v_cndmask_b32_e64 v58, v58, 0x6f, vcc_lo
	s_delay_alu instid0(VALU_DEP_2) | instskip(SKIP_1) | instid1(VALU_DEP_3)
	v_cndmask_b32_e64 v47, v47, 0xffffff92, vcc_lo
	v_cndmask_b32_e32 v57, v59, v57, vcc_lo
	v_lshl_add_u32 v59, 0x200000, v58, -1
	v_lshlrev_b32_e64 v62, v58, 0x100000
	s_delay_alu instid0(VALU_DEP_3) | instskip(SKIP_1) | instid1(VALU_DEP_4)
	v_lshrrev_b32_e32 v60, v58, v57
	v_add_nc_u32_e32 v58, v58, v47
	v_and_b32_e32 v57, v59, v57
	s_delay_alu instid0(VALU_DEP_3) | instskip(NEXT) | instid1(VALU_DEP_2)
	v_bfe_u32 v61, v60, 21, 1
	v_cmp_eq_u32_e64 s11, v57, v62
	s_delay_alu instid0(VALU_DEP_2) | instskip(NEXT) | instid1(VALU_DEP_1)
	v_add_nc_u32_e32 v59, -1, v61
	v_cndmask_b32_e64 v57, 0, v59, s11
	v_lshrrev_b32_e32 v59, 23, v60
	s_mov_b32 s11, exec_lo
	s_delay_alu instid0(VALU_DEP_2) | instskip(NEXT) | instid1(VALU_DEP_2)
	v_add_nc_u32_e32 v57, v57, v60
	v_xor_b32_e32 v59, 1, v59
	s_delay_alu instid0(VALU_DEP_2) | instskip(NEXT) | instid1(VALU_DEP_1)
	v_and_b32_e32 v47, 0x1fffff, v57
	v_add_nc_u32_e32 v57, v47, v60
                                        ; implicit-def: $vgpr47
	s_delay_alu instid0(VALU_DEP_3)
	v_cmpx_ne_u32_e64 v58, v59
	s_xor_b32 s11, exec_lo, s11
; %bb.1019:                             ;   in Loop: Header=BB6_144 Depth=2
	s_delay_alu instid0(VALU_DEP_2) | instskip(SKIP_2) | instid1(VALU_DEP_2)
	v_cmp_lt_u32_e32 vcc_lo, 0xffffff, v57
	v_sub_nc_u32_e32 v47, v58, v59
	v_cndmask_b32_e64 v58, 0, 1, vcc_lo
	v_add_co_ci_u32_e32 v47, vcc_lo, 0, v47, vcc_lo
	s_delay_alu instid0(VALU_DEP_2)
	v_lshrrev_b32_e32 v57, v58, v57
; %bb.1020:                             ;   in Loop: Header=BB6_144 Depth=2
	s_and_not1_saveexec_b32 s11, s11
; %bb.1021:                             ;   in Loop: Header=BB6_144 Depth=2
	s_delay_alu instid0(VALU_DEP_1)
	v_bfe_u32 v47, v57, 23, 1
; %bb.1022:                             ;   in Loop: Header=BB6_144 Depth=2
	s_or_b32 exec_lo, exec_lo, s11
	v_lshrrev_b32_e32 v57, 21, v57
	s_delay_alu instid0(VALU_DEP_2) | instskip(SKIP_2) | instid1(VALU_DEP_2)
	v_cmp_gt_i32_e32 vcc_lo, 32, v47
	v_min_i32_e32 v58, 31, v47
	v_lshrrev_b32_e32 v56, 24, v56
	v_dual_cndmask_b32 v57, 3, v57 :: v_dual_lshlrev_b32 v58, 2, v58
	s_delay_alu instid0(VALU_DEP_2) | instskip(NEXT) | instid1(VALU_DEP_2)
	v_and_b32_e32 v56, 0x80, v56
	v_or_b32_e32 v47, v47, v57
	v_and_b32_e32 v59, 3, v57
	s_delay_alu instid0(VALU_DEP_2) | instskip(SKIP_1) | instid1(VALU_DEP_1)
	v_cmp_ne_u32_e32 vcc_lo, 0, v47
	v_and_b32_e32 v58, 0xfc, v58
	v_or3_b32 v56, v58, v56, v59
	s_delay_alu instid0(VALU_DEP_1)
	v_cndmask_b32_e32 v47, 0, v56, vcc_lo
.LBB6_1023:                             ;   in Loop: Header=BB6_144 Depth=2
	s_or_b32 exec_lo, exec_lo, s25
.LBB6_1024:                             ;   in Loop: Header=BB6_144 Depth=2
	s_delay_alu instid0(SALU_CYCLE_1) | instskip(SKIP_3) | instid1(VALU_DEP_1)
	s_or_b32 exec_lo, exec_lo, s24
	v_lshrrev_b32_e32 v57, 24, v15
	s_mov_b32 s11, 0
	s_mov_b32 s25, exec_lo
                                        ; implicit-def: $sgpr24
	v_cmpx_lt_i16_e32 0x7f, v57
	s_xor_b32 s25, exec_lo, s25
	s_cbranch_execnz .LBB6_1606
; %bb.1025:                             ;   in Loop: Header=BB6_144 Depth=2
	s_or_saveexec_b32 s25, s25
	v_mov_b32_e32 v56, s24
	s_xor_b32 exec_lo, exec_lo, s25
	s_cbranch_execnz .LBB6_1609
.LBB6_1026:                             ;   in Loop: Header=BB6_144 Depth=2
	s_or_b32 exec_lo, exec_lo, s25
	s_and_saveexec_b32 s24, s11
	s_cbranch_execz .LBB6_1028
.LBB6_1027:                             ;   in Loop: Header=BB6_144 Depth=2
	v_bfe_u32 v56, v15, 24, 2
	s_delay_alu instid0(VALU_DEP_1) | instskip(NEXT) | instid1(VALU_DEP_1)
	v_clz_i32_u32_e32 v58, v56
	v_min_u32_e32 v58, 32, v58
	s_delay_alu instid0(VALU_DEP_1) | instskip(SKIP_1) | instid1(VALU_DEP_2)
	v_subrev_nc_u32_e32 v59, 29, v58
	v_sub_nc_u32_e32 v58, 30, v58
	v_lshlrev_b32_e32 v57, v59, v57
	v_bfe_u32 v59, v15, 26, 5
	v_and_b32_e32 v15, 0x80000000, v15
	s_delay_alu instid0(VALU_DEP_2) | instskip(NEXT) | instid1(VALU_DEP_4)
	v_cmp_eq_u32_e32 vcc_lo, 0, v59
	v_dual_cndmask_b32 v58, v59, v58 :: v_dual_and_b32 v57, 3, v57
	s_delay_alu instid0(VALU_DEP_1) | instskip(NEXT) | instid1(VALU_DEP_2)
	v_cndmask_b32_e32 v56, v56, v57, vcc_lo
	v_lshl_add_u32 v57, v58, 23, 0x37800000
	s_delay_alu instid0(VALU_DEP_2) | instskip(NEXT) | instid1(VALU_DEP_1)
	v_lshlrev_b32_e32 v56, 21, v56
	v_or3_b32 v56, v15, v57, v56
.LBB6_1028:                             ;   in Loop: Header=BB6_144 Depth=2
	s_or_b32 exec_lo, exec_lo, s24
	v_lshrrev_b32_e32 v15, 24, v11
	s_mov_b32 s11, 0
	s_mov_b32 s25, exec_lo
                                        ; implicit-def: $sgpr24
	s_delay_alu instid0(VALU_DEP_1)
	v_cmpx_lt_i16_e32 0x7f, v15
	s_xor_b32 s25, exec_lo, s25
	s_cbranch_execnz .LBB6_1610
; %bb.1029:                             ;   in Loop: Header=BB6_144 Depth=2
	s_or_saveexec_b32 s25, s25
	v_mov_b32_e32 v57, s24
	s_xor_b32 exec_lo, exec_lo, s25
	s_cbranch_execnz .LBB6_1613
.LBB6_1030:                             ;   in Loop: Header=BB6_144 Depth=2
	s_or_b32 exec_lo, exec_lo, s25
	s_and_saveexec_b32 s24, s11
	s_cbranch_execz .LBB6_1032
.LBB6_1031:                             ;   in Loop: Header=BB6_144 Depth=2
	v_bfe_u32 v57, v11, 24, 2
	s_delay_alu instid0(VALU_DEP_1) | instskip(NEXT) | instid1(VALU_DEP_1)
	v_clz_i32_u32_e32 v58, v57
	v_min_u32_e32 v58, 32, v58
	s_delay_alu instid0(VALU_DEP_1) | instskip(SKIP_1) | instid1(VALU_DEP_2)
	v_subrev_nc_u32_e32 v59, 29, v58
	v_sub_nc_u32_e32 v58, 30, v58
	v_lshlrev_b32_e32 v15, v59, v15
	v_bfe_u32 v59, v11, 26, 5
	v_and_b32_e32 v11, 0x80000000, v11
	s_delay_alu instid0(VALU_DEP_2) | instskip(NEXT) | instid1(VALU_DEP_4)
	v_cmp_eq_u32_e32 vcc_lo, 0, v59
	v_dual_cndmask_b32 v58, v59, v58 :: v_dual_and_b32 v15, 3, v15
	s_delay_alu instid0(VALU_DEP_1) | instskip(NEXT) | instid1(VALU_DEP_2)
	v_cndmask_b32_e32 v15, v57, v15, vcc_lo
	v_lshl_add_u32 v57, v58, 23, 0x37800000
	s_delay_alu instid0(VALU_DEP_2) | instskip(NEXT) | instid1(VALU_DEP_1)
	v_lshlrev_b32_e32 v15, 21, v15
	v_or3_b32 v57, v11, v57, v15
.LBB6_1032:                             ;   in Loop: Header=BB6_144 Depth=2
	s_or_b32 exec_lo, exec_lo, s24
	s_delay_alu instid0(VALU_DEP_1) | instskip(NEXT) | instid1(VALU_DEP_1)
	v_mul_f32_e32 v15, v56, v57
	v_and_b32_e32 v11, 0x7f800000, v15
	s_delay_alu instid0(VALU_DEP_1)
	v_cmp_ne_u32_e32 vcc_lo, 0x7f800000, v11
	v_mov_b32_e32 v11, 0x8000
	s_and_saveexec_b32 s24, vcc_lo
	s_cbranch_execz .LBB6_1040
; %bb.1033:                             ;   in Loop: Header=BB6_144 Depth=2
	v_mov_b32_e32 v11, 0
	s_mov_b32 s25, exec_lo
	v_cmpx_ne_u32_e32 0, v15
	s_cbranch_execz .LBB6_1039
; %bb.1034:                             ;   in Loop: Header=BB6_144 Depth=2
	v_bfe_u32 v11, v15, 23, 8
	s_delay_alu instid0(VALU_DEP_1) | instskip(SKIP_1) | instid1(VALU_DEP_2)
	v_sub_nc_u32_e32 v57, 0x70, v11
	v_cmp_gt_u32_e32 vcc_lo, 0x71, v11
	v_dual_cndmask_b32 v57, 0, v57 :: v_dual_and_b32 v56, 0x7fffff, v15
	s_delay_alu instid0(VALU_DEP_1) | instskip(SKIP_2) | instid1(VALU_DEP_4)
	v_or_b32_e32 v58, 0x800000, v56
	v_cmp_eq_u32_e32 vcc_lo, 0, v11
	v_add_nc_u32_e32 v11, 0xffffff91, v11
	v_cndmask_b32_e64 v57, v57, 0x6f, vcc_lo
	s_delay_alu instid0(VALU_DEP_4) | instskip(NEXT) | instid1(VALU_DEP_3)
	v_cndmask_b32_e32 v56, v58, v56, vcc_lo
	v_cndmask_b32_e64 v11, v11, 0xffffff92, vcc_lo
	s_delay_alu instid0(VALU_DEP_3) | instskip(NEXT) | instid1(VALU_DEP_3)
	v_lshl_add_u32 v58, 0x200000, v57, -1
	v_lshrrev_b32_e32 v59, v57, v56
	v_lshlrev_b32_e64 v61, v57, 0x100000
	s_delay_alu instid0(VALU_DEP_4) | instskip(NEXT) | instid1(VALU_DEP_4)
	v_add_nc_u32_e32 v57, v57, v11
	v_and_b32_e32 v56, v58, v56
	s_delay_alu instid0(VALU_DEP_4) | instskip(NEXT) | instid1(VALU_DEP_2)
	v_bfe_u32 v60, v59, 21, 1
	v_cmp_eq_u32_e64 s11, v56, v61
	s_delay_alu instid0(VALU_DEP_2) | instskip(NEXT) | instid1(VALU_DEP_1)
	v_add_nc_u32_e32 v58, -1, v60
	v_cndmask_b32_e64 v56, 0, v58, s11
	v_lshrrev_b32_e32 v58, 23, v59
	s_mov_b32 s11, exec_lo
	s_delay_alu instid0(VALU_DEP_2) | instskip(NEXT) | instid1(VALU_DEP_2)
	v_add_nc_u32_e32 v56, v56, v59
	v_xor_b32_e32 v58, 1, v58
	s_delay_alu instid0(VALU_DEP_2) | instskip(NEXT) | instid1(VALU_DEP_1)
	v_and_b32_e32 v11, 0x1fffff, v56
	v_add_nc_u32_e32 v56, v11, v59
                                        ; implicit-def: $vgpr11
	s_delay_alu instid0(VALU_DEP_3)
	v_cmpx_ne_u32_e64 v57, v58
	s_xor_b32 s11, exec_lo, s11
; %bb.1035:                             ;   in Loop: Header=BB6_144 Depth=2
	s_delay_alu instid0(VALU_DEP_2) | instskip(SKIP_2) | instid1(VALU_DEP_2)
	v_cmp_lt_u32_e32 vcc_lo, 0xffffff, v56
	v_sub_nc_u32_e32 v11, v57, v58
	v_cndmask_b32_e64 v57, 0, 1, vcc_lo
	v_add_co_ci_u32_e32 v11, vcc_lo, 0, v11, vcc_lo
	s_delay_alu instid0(VALU_DEP_2)
	v_lshrrev_b32_e32 v56, v57, v56
; %bb.1036:                             ;   in Loop: Header=BB6_144 Depth=2
	s_and_not1_saveexec_b32 s11, s11
; %bb.1037:                             ;   in Loop: Header=BB6_144 Depth=2
	s_delay_alu instid0(VALU_DEP_1)
	v_bfe_u32 v11, v56, 23, 1
; %bb.1038:                             ;   in Loop: Header=BB6_144 Depth=2
	s_or_b32 exec_lo, exec_lo, s11
	v_lshrrev_b32_e32 v56, 21, v56
	s_delay_alu instid0(VALU_DEP_2) | instskip(SKIP_2) | instid1(VALU_DEP_2)
	v_cmp_gt_i32_e32 vcc_lo, 32, v11
	v_min_i32_e32 v57, 31, v11
	v_lshrrev_b32_e32 v15, 24, v15
	v_dual_cndmask_b32 v56, 3, v56 :: v_dual_lshlrev_b32 v57, 2, v57
	s_delay_alu instid0(VALU_DEP_2) | instskip(NEXT) | instid1(VALU_DEP_2)
	v_and_b32_e32 v15, 0x80, v15
	v_or_b32_e32 v11, v11, v56
	s_delay_alu instid0(VALU_DEP_3) | instskip(NEXT) | instid1(VALU_DEP_2)
	v_and_b32_e32 v57, 0xfc, v57
	v_cmp_ne_u32_e32 vcc_lo, 0, v11
	v_and_b32_e32 v58, 3, v56
	s_delay_alu instid0(VALU_DEP_1) | instskip(NEXT) | instid1(VALU_DEP_1)
	v_or3_b32 v15, v15, v57, v58
	v_lshlrev_b32_e32 v15, 8, v15
	s_delay_alu instid0(VALU_DEP_1)
	v_cndmask_b32_e32 v11, 0, v15, vcc_lo
.LBB6_1039:                             ;   in Loop: Header=BB6_144 Depth=2
	s_or_b32 exec_lo, exec_lo, s25
.LBB6_1040:                             ;   in Loop: Header=BB6_144 Depth=2
	s_delay_alu instid0(SALU_CYCLE_1) | instskip(SKIP_3) | instid1(VALU_DEP_1)
	s_or_b32 exec_lo, exec_lo, s24
	v_and_b32_e32 v56, 0xff, v16
	s_mov_b32 s11, 0
	s_mov_b32 s25, exec_lo
                                        ; implicit-def: $sgpr24
	v_cmpx_lt_i16_e32 0x7f, v56
	s_xor_b32 s25, exec_lo, s25
	s_cbranch_execnz .LBB6_1614
; %bb.1041:                             ;   in Loop: Header=BB6_144 Depth=2
	s_or_saveexec_b32 s25, s25
	v_mov_b32_e32 v15, s24
	s_xor_b32 exec_lo, exec_lo, s25
	s_cbranch_execnz .LBB6_1617
.LBB6_1042:                             ;   in Loop: Header=BB6_144 Depth=2
	s_or_b32 exec_lo, exec_lo, s25
	s_and_saveexec_b32 s24, s11
	s_cbranch_execz .LBB6_1044
.LBB6_1043:                             ;   in Loop: Header=BB6_144 Depth=2
	v_and_b32_e32 v15, 3, v16
	v_bfe_u32 v58, v16, 2, 5
	v_lshlrev_b32_e32 v59, 24, v16
	s_delay_alu instid0(VALU_DEP_3) | instskip(NEXT) | instid1(VALU_DEP_3)
	v_clz_i32_u32_e32 v56, v15
	v_cmp_eq_u32_e32 vcc_lo, 0, v58
	s_delay_alu instid0(VALU_DEP_2) | instskip(NEXT) | instid1(VALU_DEP_1)
	v_min_u32_e32 v56, 32, v56
	v_subrev_nc_u32_e32 v57, 29, v56
	v_sub_nc_u32_e32 v56, 30, v56
	s_delay_alu instid0(VALU_DEP_2) | instskip(NEXT) | instid1(VALU_DEP_1)
	v_lshlrev_b32_e32 v57, v57, v16
	v_dual_cndmask_b32 v56, v58, v56 :: v_dual_and_b32 v57, 3, v57
	s_delay_alu instid0(VALU_DEP_1) | instskip(NEXT) | instid1(VALU_DEP_2)
	v_lshl_add_u32 v56, v56, 23, 0x37800000
	v_cndmask_b32_e32 v15, v15, v57, vcc_lo
	v_and_b32_e32 v57, 0x80000000, v59
	s_delay_alu instid0(VALU_DEP_2) | instskip(NEXT) | instid1(VALU_DEP_1)
	v_lshlrev_b32_e32 v15, 21, v15
	v_or3_b32 v15, v57, v56, v15
.LBB6_1044:                             ;   in Loop: Header=BB6_144 Depth=2
	s_or_b32 exec_lo, exec_lo, s24
	v_and_b32_e32 v57, 0xff, v12
	s_mov_b32 s11, 0
	s_mov_b32 s25, exec_lo
                                        ; implicit-def: $sgpr24
	s_delay_alu instid0(VALU_DEP_1)
	v_cmpx_lt_i16_e32 0x7f, v57
	s_xor_b32 s25, exec_lo, s25
	s_cbranch_execnz .LBB6_1618
; %bb.1045:                             ;   in Loop: Header=BB6_144 Depth=2
	s_or_saveexec_b32 s25, s25
	v_mov_b32_e32 v56, s24
	s_xor_b32 exec_lo, exec_lo, s25
	s_cbranch_execnz .LBB6_1621
.LBB6_1046:                             ;   in Loop: Header=BB6_144 Depth=2
	s_or_b32 exec_lo, exec_lo, s25
	s_and_saveexec_b32 s24, s11
	s_cbranch_execz .LBB6_1048
.LBB6_1047:                             ;   in Loop: Header=BB6_144 Depth=2
	v_bfe_u32 v59, v12, 2, 5
	v_lshlrev_b32_e32 v60, 24, v12
	s_delay_alu instid0(VALU_DEP_2) | instskip(SKIP_1) | instid1(VALU_DEP_1)
	v_cmp_eq_u32_e32 vcc_lo, 0, v59
	v_and_b32_e32 v56, 3, v12
	v_clz_i32_u32_e32 v57, v56
	s_delay_alu instid0(VALU_DEP_1) | instskip(NEXT) | instid1(VALU_DEP_1)
	v_min_u32_e32 v57, 32, v57
	v_subrev_nc_u32_e32 v58, 29, v57
	v_sub_nc_u32_e32 v57, 30, v57
	s_delay_alu instid0(VALU_DEP_1) | instskip(NEXT) | instid1(VALU_DEP_1)
	v_dual_cndmask_b32 v57, v59, v57 :: v_dual_lshlrev_b32 v58, v58, v12
	v_and_b32_e32 v58, 3, v58
	s_delay_alu instid0(VALU_DEP_2) | instskip(NEXT) | instid1(VALU_DEP_2)
	v_lshl_add_u32 v57, v57, 23, 0x37800000
	v_cndmask_b32_e32 v56, v56, v58, vcc_lo
	v_and_b32_e32 v58, 0x80000000, v60
	s_delay_alu instid0(VALU_DEP_2) | instskip(NEXT) | instid1(VALU_DEP_1)
	v_lshlrev_b32_e32 v56, 21, v56
	v_or3_b32 v56, v58, v57, v56
.LBB6_1048:                             ;   in Loop: Header=BB6_144 Depth=2
	s_or_b32 exec_lo, exec_lo, s24
	s_delay_alu instid0(VALU_DEP_1) | instskip(NEXT) | instid1(VALU_DEP_1)
	v_mul_f32_e32 v56, v15, v56
	v_and_b32_e32 v15, 0x7f800000, v56
	s_delay_alu instid0(VALU_DEP_1)
	v_cmp_ne_u32_e32 vcc_lo, 0x7f800000, v15
	v_mov_b32_e32 v15, 0x80
	s_and_saveexec_b32 s24, vcc_lo
	s_cbranch_execz .LBB6_1056
; %bb.1049:                             ;   in Loop: Header=BB6_144 Depth=2
	v_mov_b32_e32 v15, 0
	s_mov_b32 s25, exec_lo
	v_cmpx_ne_u32_e32 0, v56
	s_cbranch_execz .LBB6_1055
; %bb.1050:                             ;   in Loop: Header=BB6_144 Depth=2
	v_bfe_u32 v15, v56, 23, 8
	s_delay_alu instid0(VALU_DEP_1) | instskip(SKIP_1) | instid1(VALU_DEP_2)
	v_sub_nc_u32_e32 v58, 0x70, v15
	v_cmp_gt_u32_e32 vcc_lo, 0x71, v15
	v_dual_cndmask_b32 v58, 0, v58 :: v_dual_and_b32 v57, 0x7fffff, v56
	s_delay_alu instid0(VALU_DEP_1) | instskip(SKIP_2) | instid1(VALU_DEP_4)
	v_or_b32_e32 v59, 0x800000, v57
	v_cmp_eq_u32_e32 vcc_lo, 0, v15
	v_add_nc_u32_e32 v15, 0xffffff91, v15
	v_cndmask_b32_e64 v58, v58, 0x6f, vcc_lo
	s_delay_alu instid0(VALU_DEP_2) | instskip(SKIP_1) | instid1(VALU_DEP_3)
	v_cndmask_b32_e64 v15, v15, 0xffffff92, vcc_lo
	v_cndmask_b32_e32 v57, v59, v57, vcc_lo
	v_lshl_add_u32 v59, 0x200000, v58, -1
	v_lshlrev_b32_e64 v62, v58, 0x100000
	s_delay_alu instid0(VALU_DEP_3) | instskip(SKIP_1) | instid1(VALU_DEP_4)
	v_lshrrev_b32_e32 v60, v58, v57
	v_add_nc_u32_e32 v58, v58, v15
	v_and_b32_e32 v57, v59, v57
	s_delay_alu instid0(VALU_DEP_3) | instskip(NEXT) | instid1(VALU_DEP_2)
	v_bfe_u32 v61, v60, 21, 1
	v_cmp_eq_u32_e64 s11, v57, v62
	s_delay_alu instid0(VALU_DEP_2) | instskip(NEXT) | instid1(VALU_DEP_1)
	v_add_nc_u32_e32 v59, -1, v61
	v_cndmask_b32_e64 v57, 0, v59, s11
	v_lshrrev_b32_e32 v59, 23, v60
	s_mov_b32 s11, exec_lo
	s_delay_alu instid0(VALU_DEP_2) | instskip(NEXT) | instid1(VALU_DEP_2)
	v_add_nc_u32_e32 v57, v57, v60
	v_xor_b32_e32 v59, 1, v59
	s_delay_alu instid0(VALU_DEP_2) | instskip(NEXT) | instid1(VALU_DEP_1)
	v_and_b32_e32 v15, 0x1fffff, v57
	v_add_nc_u32_e32 v57, v15, v60
                                        ; implicit-def: $vgpr15
	s_delay_alu instid0(VALU_DEP_3)
	v_cmpx_ne_u32_e64 v58, v59
	s_xor_b32 s11, exec_lo, s11
; %bb.1051:                             ;   in Loop: Header=BB6_144 Depth=2
	s_delay_alu instid0(VALU_DEP_2) | instskip(SKIP_2) | instid1(VALU_DEP_2)
	v_cmp_lt_u32_e32 vcc_lo, 0xffffff, v57
	v_sub_nc_u32_e32 v15, v58, v59
	v_cndmask_b32_e64 v58, 0, 1, vcc_lo
	v_add_co_ci_u32_e32 v15, vcc_lo, 0, v15, vcc_lo
	s_delay_alu instid0(VALU_DEP_2)
	v_lshrrev_b32_e32 v57, v58, v57
; %bb.1052:                             ;   in Loop: Header=BB6_144 Depth=2
	s_and_not1_saveexec_b32 s11, s11
; %bb.1053:                             ;   in Loop: Header=BB6_144 Depth=2
	s_delay_alu instid0(VALU_DEP_1)
	v_bfe_u32 v15, v57, 23, 1
; %bb.1054:                             ;   in Loop: Header=BB6_144 Depth=2
	s_or_b32 exec_lo, exec_lo, s11
	v_lshrrev_b32_e32 v57, 21, v57
	s_delay_alu instid0(VALU_DEP_2) | instskip(SKIP_2) | instid1(VALU_DEP_2)
	v_cmp_gt_i32_e32 vcc_lo, 32, v15
	v_lshrrev_b32_e32 v56, 24, v56
	v_min_i32_e32 v58, 31, v15
	v_dual_cndmask_b32 v57, 3, v57 :: v_dual_and_b32 v56, 0x80, v56
	s_delay_alu instid0(VALU_DEP_1) | instskip(SKIP_1) | instid1(VALU_DEP_2)
	v_or_b32_e32 v15, v15, v57
	v_and_b32_e32 v59, 3, v57
	v_cmp_ne_u32_e32 vcc_lo, 0, v15
	v_lshlrev_b32_e32 v58, 2, v58
	s_delay_alu instid0(VALU_DEP_1) | instskip(NEXT) | instid1(VALU_DEP_1)
	v_or3_b32 v56, v58, v56, v59
	v_cndmask_b32_e32 v15, 0, v56, vcc_lo
.LBB6_1055:                             ;   in Loop: Header=BB6_144 Depth=2
	s_or_b32 exec_lo, exec_lo, s25
.LBB6_1056:                             ;   in Loop: Header=BB6_144 Depth=2
	s_delay_alu instid0(SALU_CYCLE_1) | instskip(SKIP_3) | instid1(VALU_DEP_1)
	s_or_b32 exec_lo, exec_lo, s24
	v_lshrrev_b16 v57, 8, v16
	s_mov_b32 s11, 0
	s_mov_b32 s25, exec_lo
                                        ; implicit-def: $sgpr24
	v_cmpx_lt_i16_e32 0x7f, v57
	s_xor_b32 s25, exec_lo, s25
	s_cbranch_execnz .LBB6_1622
; %bb.1057:                             ;   in Loop: Header=BB6_144 Depth=2
	s_or_saveexec_b32 s25, s25
	v_mov_b32_e32 v56, s24
	s_xor_b32 exec_lo, exec_lo, s25
	s_cbranch_execnz .LBB6_1625
.LBB6_1058:                             ;   in Loop: Header=BB6_144 Depth=2
	s_or_b32 exec_lo, exec_lo, s25
	s_and_saveexec_b32 s24, s11
	s_cbranch_execz .LBB6_1060
.LBB6_1059:                             ;   in Loop: Header=BB6_144 Depth=2
	v_and_b32_e32 v56, 0xffff, v57
	s_delay_alu instid0(VALU_DEP_1) | instskip(NEXT) | instid1(VALU_DEP_1)
	v_and_b32_e32 v58, 3, v56
	v_clz_i32_u32_e32 v59, v58
	s_delay_alu instid0(VALU_DEP_1) | instskip(NEXT) | instid1(VALU_DEP_1)
	v_min_u32_e32 v59, 32, v59
	v_subrev_nc_u32_e32 v60, 29, v59
	v_sub_nc_u32_e32 v59, 30, v59
	s_delay_alu instid0(VALU_DEP_2) | instskip(SKIP_1) | instid1(VALU_DEP_2)
	v_lshlrev_b32_e32 v60, v60, v56
	v_bfe_u32 v56, v56, 2, 5
	v_and_b32_e32 v60, 3, v60
	s_delay_alu instid0(VALU_DEP_2) | instskip(SKIP_1) | instid1(VALU_DEP_1)
	v_cmp_eq_u32_e32 vcc_lo, 0, v56
	v_dual_cndmask_b32 v56, v56, v59 :: v_dual_lshlrev_b32 v57, 24, v57
	v_dual_cndmask_b32 v58, v58, v60 :: v_dual_and_b32 v57, 0x80000000, v57
	s_delay_alu instid0(VALU_DEP_2) | instskip(NEXT) | instid1(VALU_DEP_2)
	v_lshl_add_u32 v56, v56, 23, 0x37800000
	v_lshlrev_b32_e32 v58, 21, v58
	s_delay_alu instid0(VALU_DEP_1)
	v_or3_b32 v56, v57, v56, v58
.LBB6_1060:                             ;   in Loop: Header=BB6_144 Depth=2
	s_or_b32 exec_lo, exec_lo, s24
	v_lshrrev_b16 v57, 8, v12
	s_mov_b32 s11, 0
	s_mov_b32 s25, exec_lo
                                        ; implicit-def: $sgpr24
	s_delay_alu instid0(VALU_DEP_1)
	v_cmpx_lt_i16_e32 0x7f, v57
	s_xor_b32 s25, exec_lo, s25
	s_cbranch_execnz .LBB6_1626
; %bb.1061:                             ;   in Loop: Header=BB6_144 Depth=2
	s_or_saveexec_b32 s25, s25
	v_mov_b32_e32 v58, s24
	s_xor_b32 exec_lo, exec_lo, s25
	s_cbranch_execnz .LBB6_1629
.LBB6_1062:                             ;   in Loop: Header=BB6_144 Depth=2
	s_or_b32 exec_lo, exec_lo, s25
	s_and_saveexec_b32 s24, s11
	s_cbranch_execz .LBB6_1064
.LBB6_1063:                             ;   in Loop: Header=BB6_144 Depth=2
	v_and_b32_e32 v58, 0xffff, v57
	v_lshlrev_b32_e32 v57, 24, v57
	s_delay_alu instid0(VALU_DEP_2) | instskip(NEXT) | instid1(VALU_DEP_2)
	v_and_b32_e32 v59, 3, v58
	v_and_b32_e32 v57, 0x80000000, v57
	s_delay_alu instid0(VALU_DEP_2) | instskip(NEXT) | instid1(VALU_DEP_1)
	v_clz_i32_u32_e32 v60, v59
	v_min_u32_e32 v60, 32, v60
	s_delay_alu instid0(VALU_DEP_1) | instskip(SKIP_1) | instid1(VALU_DEP_2)
	v_subrev_nc_u32_e32 v61, 29, v60
	v_sub_nc_u32_e32 v60, 30, v60
	v_lshlrev_b32_e32 v61, v61, v58
	v_bfe_u32 v58, v58, 2, 5
	s_delay_alu instid0(VALU_DEP_2) | instskip(NEXT) | instid1(VALU_DEP_2)
	v_and_b32_e32 v61, 3, v61
	v_cmp_eq_u32_e32 vcc_lo, 0, v58
	s_delay_alu instid0(VALU_DEP_2) | instskip(NEXT) | instid1(VALU_DEP_1)
	v_dual_cndmask_b32 v58, v58, v60 :: v_dual_cndmask_b32 v59, v59, v61
	v_lshl_add_u32 v58, v58, 23, 0x37800000
	s_delay_alu instid0(VALU_DEP_2) | instskip(NEXT) | instid1(VALU_DEP_1)
	v_lshlrev_b32_e32 v59, 21, v59
	v_or3_b32 v58, v57, v58, v59
.LBB6_1064:                             ;   in Loop: Header=BB6_144 Depth=2
	s_or_b32 exec_lo, exec_lo, s24
	s_delay_alu instid0(VALU_DEP_1) | instskip(NEXT) | instid1(VALU_DEP_1)
	v_mul_f32_e32 v57, v56, v58
	v_and_b32_e32 v56, 0x7f800000, v57
	s_delay_alu instid0(VALU_DEP_1)
	v_cmp_ne_u32_e32 vcc_lo, 0x7f800000, v56
	v_mov_b32_e32 v56, 0x80
	s_and_saveexec_b32 s24, vcc_lo
	s_cbranch_execz .LBB6_1072
; %bb.1065:                             ;   in Loop: Header=BB6_144 Depth=2
	v_mov_b32_e32 v56, 0
	s_mov_b32 s25, exec_lo
	v_cmpx_ne_u32_e32 0, v57
	s_cbranch_execz .LBB6_1071
; %bb.1066:                             ;   in Loop: Header=BB6_144 Depth=2
	v_bfe_u32 v56, v57, 23, 8
	s_delay_alu instid0(VALU_DEP_1) | instskip(SKIP_1) | instid1(VALU_DEP_2)
	v_sub_nc_u32_e32 v59, 0x70, v56
	v_cmp_gt_u32_e32 vcc_lo, 0x71, v56
	v_dual_cndmask_b32 v59, 0, v59 :: v_dual_and_b32 v58, 0x7fffff, v57
	s_delay_alu instid0(VALU_DEP_1) | instskip(SKIP_2) | instid1(VALU_DEP_4)
	v_or_b32_e32 v60, 0x800000, v58
	v_cmp_eq_u32_e32 vcc_lo, 0, v56
	v_add_nc_u32_e32 v56, 0xffffff91, v56
	v_cndmask_b32_e64 v59, v59, 0x6f, vcc_lo
	s_delay_alu instid0(VALU_DEP_2) | instskip(SKIP_1) | instid1(VALU_DEP_3)
	v_cndmask_b32_e64 v56, v56, 0xffffff92, vcc_lo
	v_cndmask_b32_e32 v58, v60, v58, vcc_lo
	v_lshl_add_u32 v60, 0x200000, v59, -1
	v_lshlrev_b32_e64 v63, v59, 0x100000
	s_delay_alu instid0(VALU_DEP_3) | instskip(SKIP_1) | instid1(VALU_DEP_4)
	v_lshrrev_b32_e32 v61, v59, v58
	v_add_nc_u32_e32 v59, v59, v56
	v_and_b32_e32 v58, v60, v58
	s_delay_alu instid0(VALU_DEP_3) | instskip(NEXT) | instid1(VALU_DEP_2)
	v_bfe_u32 v62, v61, 21, 1
	v_cmp_eq_u32_e64 s11, v58, v63
	s_delay_alu instid0(VALU_DEP_2) | instskip(NEXT) | instid1(VALU_DEP_1)
	v_add_nc_u32_e32 v60, -1, v62
	v_cndmask_b32_e64 v58, 0, v60, s11
	v_lshrrev_b32_e32 v60, 23, v61
	s_mov_b32 s11, exec_lo
	s_delay_alu instid0(VALU_DEP_2) | instskip(NEXT) | instid1(VALU_DEP_2)
	v_add_nc_u32_e32 v58, v58, v61
	v_xor_b32_e32 v60, 1, v60
	s_delay_alu instid0(VALU_DEP_2) | instskip(NEXT) | instid1(VALU_DEP_1)
	v_and_b32_e32 v56, 0x1fffff, v58
	v_add_nc_u32_e32 v58, v56, v61
                                        ; implicit-def: $vgpr56
	s_delay_alu instid0(VALU_DEP_3)
	v_cmpx_ne_u32_e64 v59, v60
	s_xor_b32 s11, exec_lo, s11
; %bb.1067:                             ;   in Loop: Header=BB6_144 Depth=2
	s_delay_alu instid0(VALU_DEP_2) | instskip(SKIP_2) | instid1(VALU_DEP_2)
	v_cmp_lt_u32_e32 vcc_lo, 0xffffff, v58
	v_sub_nc_u32_e32 v56, v59, v60
	v_cndmask_b32_e64 v59, 0, 1, vcc_lo
	v_add_co_ci_u32_e32 v56, vcc_lo, 0, v56, vcc_lo
	s_delay_alu instid0(VALU_DEP_2)
	v_lshrrev_b32_e32 v58, v59, v58
; %bb.1068:                             ;   in Loop: Header=BB6_144 Depth=2
	s_and_not1_saveexec_b32 s11, s11
; %bb.1069:                             ;   in Loop: Header=BB6_144 Depth=2
	s_delay_alu instid0(VALU_DEP_1)
	v_bfe_u32 v56, v58, 23, 1
; %bb.1070:                             ;   in Loop: Header=BB6_144 Depth=2
	s_or_b32 exec_lo, exec_lo, s11
	v_lshrrev_b32_e32 v58, 21, v58
	s_delay_alu instid0(VALU_DEP_2) | instskip(SKIP_2) | instid1(VALU_DEP_2)
	v_cmp_gt_i32_e32 vcc_lo, 32, v56
	v_lshrrev_b32_e32 v57, 24, v57
	v_min_i32_e32 v59, 31, v56
	v_dual_cndmask_b32 v58, 3, v58 :: v_dual_and_b32 v57, 0x80, v57
	s_delay_alu instid0(VALU_DEP_1) | instskip(SKIP_1) | instid1(VALU_DEP_2)
	v_or_b32_e32 v56, v56, v58
	v_and_b32_e32 v60, 3, v58
	v_cmp_ne_u32_e32 vcc_lo, 0, v56
	v_lshlrev_b32_e32 v59, 2, v59
	s_delay_alu instid0(VALU_DEP_1) | instskip(NEXT) | instid1(VALU_DEP_1)
	v_or3_b32 v57, v59, v57, v60
	v_cndmask_b32_e32 v56, 0, v57, vcc_lo
.LBB6_1071:                             ;   in Loop: Header=BB6_144 Depth=2
	s_or_b32 exec_lo, exec_lo, s25
.LBB6_1072:                             ;   in Loop: Header=BB6_144 Depth=2
	s_delay_alu instid0(SALU_CYCLE_1) | instskip(SKIP_3) | instid1(VALU_DEP_1)
	s_or_b32 exec_lo, exec_lo, s24
	v_lshrrev_b32_e32 v58, 16, v16
	s_mov_b32 s11, 0
	s_mov_b32 s25, exec_lo
                                        ; implicit-def: $sgpr24
	v_and_b32_e32 v59, 0xff, v58
	s_delay_alu instid0(VALU_DEP_1)
	v_cmpx_lt_i16_e32 0x7f, v59
	s_xor_b32 s25, exec_lo, s25
	s_cbranch_execnz .LBB6_1630
; %bb.1073:                             ;   in Loop: Header=BB6_144 Depth=2
	s_or_saveexec_b32 s25, s25
	v_mov_b32_e32 v57, s24
	s_xor_b32 exec_lo, exec_lo, s25
	s_cbranch_execnz .LBB6_1633
.LBB6_1074:                             ;   in Loop: Header=BB6_144 Depth=2
	s_or_b32 exec_lo, exec_lo, s25
	s_and_saveexec_b32 s24, s11
	s_cbranch_execz .LBB6_1076
.LBB6_1075:                             ;   in Loop: Header=BB6_144 Depth=2
	v_bfe_u32 v57, v16, 16, 2
	v_lshlrev_b32_e32 v61, 8, v16
	s_delay_alu instid0(VALU_DEP_2) | instskip(NEXT) | instid1(VALU_DEP_1)
	v_clz_i32_u32_e32 v59, v57
	v_min_u32_e32 v59, 32, v59
	s_delay_alu instid0(VALU_DEP_1) | instskip(SKIP_1) | instid1(VALU_DEP_2)
	v_subrev_nc_u32_e32 v60, 29, v59
	v_sub_nc_u32_e32 v59, 30, v59
	v_lshlrev_b32_e32 v58, v60, v58
	v_bfe_u32 v60, v16, 18, 5
	s_delay_alu instid0(VALU_DEP_1) | instskip(NEXT) | instid1(VALU_DEP_3)
	v_cmp_eq_u32_e32 vcc_lo, 0, v60
	v_dual_cndmask_b32 v59, v60, v59 :: v_dual_and_b32 v58, 3, v58
	s_delay_alu instid0(VALU_DEP_1) | instskip(NEXT) | instid1(VALU_DEP_2)
	v_dual_cndmask_b32 v57, v57, v58 :: v_dual_and_b32 v58, 0x80000000, v61
	v_lshl_add_u32 v59, v59, 23, 0x37800000
	s_delay_alu instid0(VALU_DEP_2) | instskip(NEXT) | instid1(VALU_DEP_1)
	v_lshlrev_b32_e32 v57, 21, v57
	v_or3_b32 v57, v58, v59, v57
.LBB6_1076:                             ;   in Loop: Header=BB6_144 Depth=2
	s_or_b32 exec_lo, exec_lo, s24
	v_lshrrev_b32_e32 v58, 16, v12
	s_mov_b32 s11, 0
	s_mov_b32 s25, exec_lo
                                        ; implicit-def: $sgpr24
	s_delay_alu instid0(VALU_DEP_1) | instskip(NEXT) | instid1(VALU_DEP_1)
	v_and_b32_e32 v60, 0xff, v58
	v_cmpx_lt_i16_e32 0x7f, v60
	s_xor_b32 s25, exec_lo, s25
	s_cbranch_execnz .LBB6_1634
; %bb.1077:                             ;   in Loop: Header=BB6_144 Depth=2
	s_or_saveexec_b32 s25, s25
	v_mov_b32_e32 v59, s24
	s_xor_b32 exec_lo, exec_lo, s25
	s_cbranch_execnz .LBB6_1637
.LBB6_1078:                             ;   in Loop: Header=BB6_144 Depth=2
	s_or_b32 exec_lo, exec_lo, s25
	s_and_saveexec_b32 s24, s11
	s_cbranch_execz .LBB6_1080
.LBB6_1079:                             ;   in Loop: Header=BB6_144 Depth=2
	v_bfe_u32 v59, v12, 16, 2
	v_lshlrev_b32_e32 v62, 8, v12
	s_delay_alu instid0(VALU_DEP_2) | instskip(NEXT) | instid1(VALU_DEP_1)
	v_clz_i32_u32_e32 v60, v59
	v_min_u32_e32 v60, 32, v60
	s_delay_alu instid0(VALU_DEP_1) | instskip(SKIP_1) | instid1(VALU_DEP_2)
	v_subrev_nc_u32_e32 v61, 29, v60
	v_sub_nc_u32_e32 v60, 30, v60
	v_lshlrev_b32_e32 v58, v61, v58
	v_bfe_u32 v61, v12, 18, 5
	s_delay_alu instid0(VALU_DEP_2) | instskip(NEXT) | instid1(VALU_DEP_2)
	v_and_b32_e32 v58, 3, v58
	v_cmp_eq_u32_e32 vcc_lo, 0, v61
	v_cndmask_b32_e32 v60, v61, v60, vcc_lo
	s_delay_alu instid0(VALU_DEP_3) | instskip(SKIP_1) | instid1(VALU_DEP_3)
	v_cndmask_b32_e32 v58, v59, v58, vcc_lo
	v_and_b32_e32 v59, 0x80000000, v62
	v_lshl_add_u32 v60, v60, 23, 0x37800000
	s_delay_alu instid0(VALU_DEP_3) | instskip(NEXT) | instid1(VALU_DEP_1)
	v_lshlrev_b32_e32 v58, 21, v58
	v_or3_b32 v59, v59, v60, v58
.LBB6_1080:                             ;   in Loop: Header=BB6_144 Depth=2
	s_or_b32 exec_lo, exec_lo, s24
	s_delay_alu instid0(VALU_DEP_1) | instskip(NEXT) | instid1(VALU_DEP_1)
	v_mul_f32_e32 v58, v57, v59
	v_and_b32_e32 v57, 0x7f800000, v58
	s_delay_alu instid0(VALU_DEP_1)
	v_cmp_ne_u32_e32 vcc_lo, 0x7f800000, v57
	v_mov_b32_e32 v57, 0x80
	s_and_saveexec_b32 s24, vcc_lo
	s_cbranch_execz .LBB6_1088
; %bb.1081:                             ;   in Loop: Header=BB6_144 Depth=2
	v_mov_b32_e32 v57, 0
	s_mov_b32 s25, exec_lo
	v_cmpx_ne_u32_e32 0, v58
	s_cbranch_execz .LBB6_1087
; %bb.1082:                             ;   in Loop: Header=BB6_144 Depth=2
	v_bfe_u32 v57, v58, 23, 8
	s_delay_alu instid0(VALU_DEP_1) | instskip(SKIP_1) | instid1(VALU_DEP_2)
	v_sub_nc_u32_e32 v60, 0x70, v57
	v_cmp_gt_u32_e32 vcc_lo, 0x71, v57
	v_dual_cndmask_b32 v60, 0, v60 :: v_dual_and_b32 v59, 0x7fffff, v58
	s_delay_alu instid0(VALU_DEP_1) | instskip(SKIP_2) | instid1(VALU_DEP_4)
	v_or_b32_e32 v61, 0x800000, v59
	v_cmp_eq_u32_e32 vcc_lo, 0, v57
	v_add_nc_u32_e32 v57, 0xffffff91, v57
	v_cndmask_b32_e64 v60, v60, 0x6f, vcc_lo
	s_delay_alu instid0(VALU_DEP_2) | instskip(SKIP_1) | instid1(VALU_DEP_3)
	v_cndmask_b32_e64 v57, v57, 0xffffff92, vcc_lo
	v_cndmask_b32_e32 v59, v61, v59, vcc_lo
	v_lshl_add_u32 v61, 0x200000, v60, -1
	v_lshlrev_b32_e64 v72, v60, 0x100000
	s_delay_alu instid0(VALU_DEP_3) | instskip(SKIP_1) | instid1(VALU_DEP_4)
	v_lshrrev_b32_e32 v62, v60, v59
	v_add_nc_u32_e32 v60, v60, v57
	v_and_b32_e32 v59, v61, v59
	s_delay_alu instid0(VALU_DEP_3) | instskip(NEXT) | instid1(VALU_DEP_2)
	v_bfe_u32 v63, v62, 21, 1
	v_cmp_eq_u32_e64 s11, v59, v72
	s_delay_alu instid0(VALU_DEP_2) | instskip(NEXT) | instid1(VALU_DEP_1)
	v_add_nc_u32_e32 v61, -1, v63
	v_cndmask_b32_e64 v59, 0, v61, s11
	v_lshrrev_b32_e32 v61, 23, v62
	s_mov_b32 s11, exec_lo
	s_delay_alu instid0(VALU_DEP_2) | instskip(NEXT) | instid1(VALU_DEP_2)
	v_add_nc_u32_e32 v59, v59, v62
	v_xor_b32_e32 v61, 1, v61
	s_delay_alu instid0(VALU_DEP_2) | instskip(NEXT) | instid1(VALU_DEP_1)
	v_and_b32_e32 v57, 0x1fffff, v59
	v_add_nc_u32_e32 v59, v57, v62
                                        ; implicit-def: $vgpr57
	s_delay_alu instid0(VALU_DEP_3)
	v_cmpx_ne_u32_e64 v60, v61
	s_xor_b32 s11, exec_lo, s11
; %bb.1083:                             ;   in Loop: Header=BB6_144 Depth=2
	s_delay_alu instid0(VALU_DEP_2) | instskip(SKIP_2) | instid1(VALU_DEP_2)
	v_cmp_lt_u32_e32 vcc_lo, 0xffffff, v59
	v_sub_nc_u32_e32 v57, v60, v61
	v_cndmask_b32_e64 v60, 0, 1, vcc_lo
	v_add_co_ci_u32_e32 v57, vcc_lo, 0, v57, vcc_lo
	s_delay_alu instid0(VALU_DEP_2)
	v_lshrrev_b32_e32 v59, v60, v59
; %bb.1084:                             ;   in Loop: Header=BB6_144 Depth=2
	s_and_not1_saveexec_b32 s11, s11
; %bb.1085:                             ;   in Loop: Header=BB6_144 Depth=2
	s_delay_alu instid0(VALU_DEP_1)
	v_bfe_u32 v57, v59, 23, 1
; %bb.1086:                             ;   in Loop: Header=BB6_144 Depth=2
	s_or_b32 exec_lo, exec_lo, s11
	v_lshrrev_b32_e32 v59, 21, v59
	s_delay_alu instid0(VALU_DEP_2) | instskip(SKIP_2) | instid1(VALU_DEP_2)
	v_cmp_gt_i32_e32 vcc_lo, 32, v57
	v_lshrrev_b32_e32 v58, 24, v58
	v_min_i32_e32 v60, 31, v57
	v_dual_cndmask_b32 v59, 3, v59 :: v_dual_and_b32 v58, 0x80, v58
	s_delay_alu instid0(VALU_DEP_1) | instskip(SKIP_1) | instid1(VALU_DEP_2)
	v_or_b32_e32 v57, v57, v59
	v_and_b32_e32 v61, 3, v59
	v_cmp_ne_u32_e32 vcc_lo, 0, v57
	v_lshlrev_b32_e32 v60, 2, v60
	s_delay_alu instid0(VALU_DEP_1) | instskip(NEXT) | instid1(VALU_DEP_1)
	v_or3_b32 v58, v60, v58, v61
	v_cndmask_b32_e32 v57, 0, v58, vcc_lo
.LBB6_1087:                             ;   in Loop: Header=BB6_144 Depth=2
	s_or_b32 exec_lo, exec_lo, s25
.LBB6_1088:                             ;   in Loop: Header=BB6_144 Depth=2
	s_delay_alu instid0(SALU_CYCLE_1) | instskip(SKIP_3) | instid1(VALU_DEP_1)
	s_or_b32 exec_lo, exec_lo, s24
	v_lshrrev_b32_e32 v59, 24, v16
	s_mov_b32 s11, 0
	s_mov_b32 s25, exec_lo
                                        ; implicit-def: $sgpr24
	v_cmpx_lt_i16_e32 0x7f, v59
	s_xor_b32 s25, exec_lo, s25
	s_cbranch_execnz .LBB6_1638
; %bb.1089:                             ;   in Loop: Header=BB6_144 Depth=2
	s_or_saveexec_b32 s25, s25
	v_mov_b32_e32 v58, s24
	s_xor_b32 exec_lo, exec_lo, s25
	s_cbranch_execnz .LBB6_1641
.LBB6_1090:                             ;   in Loop: Header=BB6_144 Depth=2
	s_or_b32 exec_lo, exec_lo, s25
	s_and_saveexec_b32 s24, s11
	s_cbranch_execz .LBB6_1092
.LBB6_1091:                             ;   in Loop: Header=BB6_144 Depth=2
	v_bfe_u32 v58, v16, 24, 2
	s_delay_alu instid0(VALU_DEP_1) | instskip(NEXT) | instid1(VALU_DEP_1)
	v_clz_i32_u32_e32 v60, v58
	v_min_u32_e32 v60, 32, v60
	s_delay_alu instid0(VALU_DEP_1) | instskip(SKIP_1) | instid1(VALU_DEP_2)
	v_subrev_nc_u32_e32 v61, 29, v60
	v_sub_nc_u32_e32 v60, 30, v60
	v_lshlrev_b32_e32 v59, v61, v59
	v_bfe_u32 v61, v16, 26, 5
	v_and_b32_e32 v16, 0x80000000, v16
	s_delay_alu instid0(VALU_DEP_2) | instskip(NEXT) | instid1(VALU_DEP_4)
	v_cmp_eq_u32_e32 vcc_lo, 0, v61
	v_dual_cndmask_b32 v60, v61, v60 :: v_dual_and_b32 v59, 3, v59
	s_delay_alu instid0(VALU_DEP_1) | instskip(NEXT) | instid1(VALU_DEP_2)
	v_cndmask_b32_e32 v58, v58, v59, vcc_lo
	v_lshl_add_u32 v59, v60, 23, 0x37800000
	s_delay_alu instid0(VALU_DEP_2) | instskip(NEXT) | instid1(VALU_DEP_1)
	v_lshlrev_b32_e32 v58, 21, v58
	v_or3_b32 v58, v16, v59, v58
.LBB6_1092:                             ;   in Loop: Header=BB6_144 Depth=2
	s_or_b32 exec_lo, exec_lo, s24
	v_lshrrev_b32_e32 v16, 24, v12
	s_mov_b32 s11, 0
	s_mov_b32 s25, exec_lo
                                        ; implicit-def: $sgpr24
	s_delay_alu instid0(VALU_DEP_1)
	v_cmpx_lt_i16_e32 0x7f, v16
	s_xor_b32 s25, exec_lo, s25
	s_cbranch_execnz .LBB6_1642
; %bb.1093:                             ;   in Loop: Header=BB6_144 Depth=2
	s_or_saveexec_b32 s25, s25
	v_mov_b32_e32 v59, s24
	s_xor_b32 exec_lo, exec_lo, s25
	s_cbranch_execnz .LBB6_1645
.LBB6_1094:                             ;   in Loop: Header=BB6_144 Depth=2
	s_or_b32 exec_lo, exec_lo, s25
	s_and_saveexec_b32 s24, s11
	s_cbranch_execz .LBB6_1096
.LBB6_1095:                             ;   in Loop: Header=BB6_144 Depth=2
	v_bfe_u32 v59, v12, 24, 2
	s_delay_alu instid0(VALU_DEP_1) | instskip(NEXT) | instid1(VALU_DEP_1)
	v_clz_i32_u32_e32 v60, v59
	v_min_u32_e32 v60, 32, v60
	s_delay_alu instid0(VALU_DEP_1) | instskip(SKIP_1) | instid1(VALU_DEP_2)
	v_subrev_nc_u32_e32 v61, 29, v60
	v_sub_nc_u32_e32 v60, 30, v60
	v_lshlrev_b32_e32 v16, v61, v16
	v_bfe_u32 v61, v12, 26, 5
	v_and_b32_e32 v12, 0x80000000, v12
	s_delay_alu instid0(VALU_DEP_3) | instskip(NEXT) | instid1(VALU_DEP_3)
	v_and_b32_e32 v16, 3, v16
	v_cmp_eq_u32_e32 vcc_lo, 0, v61
	v_cndmask_b32_e32 v60, v61, v60, vcc_lo
	s_delay_alu instid0(VALU_DEP_3) | instskip(NEXT) | instid1(VALU_DEP_2)
	v_cndmask_b32_e32 v16, v59, v16, vcc_lo
	v_lshl_add_u32 v59, v60, 23, 0x37800000
	s_delay_alu instid0(VALU_DEP_2) | instskip(NEXT) | instid1(VALU_DEP_1)
	v_lshlrev_b32_e32 v16, 21, v16
	v_or3_b32 v59, v12, v59, v16
.LBB6_1096:                             ;   in Loop: Header=BB6_144 Depth=2
	s_or_b32 exec_lo, exec_lo, s24
	s_delay_alu instid0(VALU_DEP_1) | instskip(NEXT) | instid1(VALU_DEP_1)
	v_mul_f32_e32 v16, v58, v59
	v_and_b32_e32 v12, 0x7f800000, v16
	s_delay_alu instid0(VALU_DEP_1)
	v_cmp_ne_u32_e32 vcc_lo, 0x7f800000, v12
	v_mov_b32_e32 v12, 0x80
	s_and_saveexec_b32 s24, vcc_lo
	s_cbranch_execz .LBB6_1104
; %bb.1097:                             ;   in Loop: Header=BB6_144 Depth=2
	v_mov_b32_e32 v12, 0
	s_mov_b32 s25, exec_lo
	v_cmpx_ne_u32_e32 0, v16
	s_cbranch_execz .LBB6_1103
; %bb.1098:                             ;   in Loop: Header=BB6_144 Depth=2
	v_bfe_u32 v12, v16, 23, 8
	s_delay_alu instid0(VALU_DEP_1) | instskip(SKIP_1) | instid1(VALU_DEP_2)
	v_sub_nc_u32_e32 v59, 0x70, v12
	v_cmp_gt_u32_e32 vcc_lo, 0x71, v12
	v_dual_cndmask_b32 v59, 0, v59 :: v_dual_and_b32 v58, 0x7fffff, v16
	s_delay_alu instid0(VALU_DEP_1) | instskip(SKIP_2) | instid1(VALU_DEP_4)
	v_or_b32_e32 v60, 0x800000, v58
	v_cmp_eq_u32_e32 vcc_lo, 0, v12
	v_add_nc_u32_e32 v12, 0xffffff91, v12
	v_cndmask_b32_e64 v59, v59, 0x6f, vcc_lo
	s_delay_alu instid0(VALU_DEP_2) | instskip(SKIP_1) | instid1(VALU_DEP_3)
	v_cndmask_b32_e64 v12, v12, 0xffffff92, vcc_lo
	v_cndmask_b32_e32 v58, v60, v58, vcc_lo
	v_lshl_add_u32 v60, 0x200000, v59, -1
	v_lshlrev_b32_e64 v63, v59, 0x100000
	s_delay_alu instid0(VALU_DEP_3) | instskip(SKIP_1) | instid1(VALU_DEP_4)
	v_lshrrev_b32_e32 v61, v59, v58
	v_add_nc_u32_e32 v59, v59, v12
	v_and_b32_e32 v58, v60, v58
	s_delay_alu instid0(VALU_DEP_3) | instskip(NEXT) | instid1(VALU_DEP_2)
	v_bfe_u32 v62, v61, 21, 1
	v_cmp_eq_u32_e64 s11, v58, v63
	s_delay_alu instid0(VALU_DEP_2) | instskip(NEXT) | instid1(VALU_DEP_1)
	v_add_nc_u32_e32 v60, -1, v62
	v_cndmask_b32_e64 v58, 0, v60, s11
	v_lshrrev_b32_e32 v60, 23, v61
	s_mov_b32 s11, exec_lo
	s_delay_alu instid0(VALU_DEP_2) | instskip(NEXT) | instid1(VALU_DEP_2)
	v_add_nc_u32_e32 v58, v58, v61
	v_xor_b32_e32 v60, 1, v60
	s_delay_alu instid0(VALU_DEP_2) | instskip(NEXT) | instid1(VALU_DEP_1)
	v_and_b32_e32 v12, 0x1fffff, v58
	v_add_nc_u32_e32 v58, v12, v61
                                        ; implicit-def: $vgpr12
	s_delay_alu instid0(VALU_DEP_3)
	v_cmpx_ne_u32_e64 v59, v60
	s_xor_b32 s11, exec_lo, s11
; %bb.1099:                             ;   in Loop: Header=BB6_144 Depth=2
	s_delay_alu instid0(VALU_DEP_2) | instskip(SKIP_2) | instid1(VALU_DEP_2)
	v_cmp_lt_u32_e32 vcc_lo, 0xffffff, v58
	v_sub_nc_u32_e32 v12, v59, v60
	v_cndmask_b32_e64 v59, 0, 1, vcc_lo
	v_add_co_ci_u32_e32 v12, vcc_lo, 0, v12, vcc_lo
	s_delay_alu instid0(VALU_DEP_2)
	v_lshrrev_b32_e32 v58, v59, v58
; %bb.1100:                             ;   in Loop: Header=BB6_144 Depth=2
	s_and_not1_saveexec_b32 s11, s11
; %bb.1101:                             ;   in Loop: Header=BB6_144 Depth=2
	s_delay_alu instid0(VALU_DEP_1)
	v_bfe_u32 v12, v58, 23, 1
; %bb.1102:                             ;   in Loop: Header=BB6_144 Depth=2
	s_or_b32 exec_lo, exec_lo, s11
	v_lshrrev_b32_e32 v58, 21, v58
	s_delay_alu instid0(VALU_DEP_2) | instskip(SKIP_2) | instid1(VALU_DEP_4)
	v_cmp_gt_i32_e32 vcc_lo, 32, v12
	v_lshrrev_b32_e32 v16, 24, v16
	v_min_i32_e32 v59, 31, v12
	v_cndmask_b32_e32 v58, 3, v58, vcc_lo
	s_delay_alu instid0(VALU_DEP_3) | instskip(NEXT) | instid1(VALU_DEP_3)
	v_and_b32_e32 v16, 0x80, v16
	v_lshlrev_b32_e32 v59, 2, v59
	s_delay_alu instid0(VALU_DEP_3) | instskip(SKIP_1) | instid1(VALU_DEP_2)
	v_and_b32_e32 v60, 3, v58
	v_or_b32_e32 v12, v12, v58
	v_or3_b32 v16, v59, v16, v60
	s_delay_alu instid0(VALU_DEP_2) | instskip(NEXT) | instid1(VALU_DEP_2)
	v_cmp_ne_u32_e32 vcc_lo, 0, v12
	v_cndmask_b32_e32 v12, 0, v16, vcc_lo
.LBB6_1103:                             ;   in Loop: Header=BB6_144 Depth=2
	s_or_b32 exec_lo, exec_lo, s25
.LBB6_1104:                             ;   in Loop: Header=BB6_144 Depth=2
	s_delay_alu instid0(SALU_CYCLE_1) | instskip(SKIP_3) | instid1(VALU_DEP_1)
	s_or_b32 exec_lo, exec_lo, s24
	v_and_b32_e32 v58, 0xff, v17
	s_mov_b32 s11, 0
	s_mov_b32 s25, exec_lo
                                        ; implicit-def: $sgpr24
	v_cmpx_lt_i16_e32 0x7f, v58
	s_xor_b32 s25, exec_lo, s25
	s_cbranch_execnz .LBB6_1646
; %bb.1105:                             ;   in Loop: Header=BB6_144 Depth=2
	s_or_saveexec_b32 s25, s25
	v_mov_b32_e32 v16, s24
	s_xor_b32 exec_lo, exec_lo, s25
	s_cbranch_execnz .LBB6_1649
.LBB6_1106:                             ;   in Loop: Header=BB6_144 Depth=2
	s_or_b32 exec_lo, exec_lo, s25
	s_and_saveexec_b32 s24, s11
	s_cbranch_execz .LBB6_1108
.LBB6_1107:                             ;   in Loop: Header=BB6_144 Depth=2
	v_and_b32_e32 v16, 3, v17
	v_bfe_u32 v60, v17, 2, 5
	s_delay_alu instid0(VALU_DEP_2) | instskip(NEXT) | instid1(VALU_DEP_2)
	v_clz_i32_u32_e32 v58, v16
	v_cmp_eq_u32_e32 vcc_lo, 0, v60
	s_delay_alu instid0(VALU_DEP_2) | instskip(NEXT) | instid1(VALU_DEP_1)
	v_min_u32_e32 v58, 32, v58
	v_subrev_nc_u32_e32 v59, 29, v58
	v_sub_nc_u32_e32 v58, 30, v58
	s_delay_alu instid0(VALU_DEP_1) | instskip(NEXT) | instid1(VALU_DEP_1)
	v_dual_cndmask_b32 v58, v60, v58 :: v_dual_lshlrev_b32 v59, v59, v17
	v_and_b32_e32 v59, 3, v59
	v_lshlrev_b32_e32 v61, 24, v17
	s_delay_alu instid0(VALU_DEP_3) | instskip(NEXT) | instid1(VALU_DEP_2)
	v_lshl_add_u32 v58, v58, 23, 0x37800000
	v_dual_cndmask_b32 v16, v16, v59 :: v_dual_and_b32 v59, 0x80000000, v61
	s_delay_alu instid0(VALU_DEP_1) | instskip(NEXT) | instid1(VALU_DEP_1)
	v_lshlrev_b32_e32 v16, 21, v16
	v_or3_b32 v16, v59, v58, v16
.LBB6_1108:                             ;   in Loop: Header=BB6_144 Depth=2
	s_or_b32 exec_lo, exec_lo, s24
	v_and_b32_e32 v59, 0xff, v13
	s_mov_b32 s11, 0
	s_mov_b32 s25, exec_lo
                                        ; implicit-def: $sgpr24
	s_delay_alu instid0(VALU_DEP_1)
	v_cmpx_lt_i16_e32 0x7f, v59
	s_xor_b32 s25, exec_lo, s25
	s_cbranch_execnz .LBB6_1650
; %bb.1109:                             ;   in Loop: Header=BB6_144 Depth=2
	s_or_saveexec_b32 s25, s25
	v_mov_b32_e32 v58, s24
	s_xor_b32 exec_lo, exec_lo, s25
	s_cbranch_execnz .LBB6_1653
.LBB6_1110:                             ;   in Loop: Header=BB6_144 Depth=2
	s_or_b32 exec_lo, exec_lo, s25
	s_and_saveexec_b32 s24, s11
	s_cbranch_execz .LBB6_1112
.LBB6_1111:                             ;   in Loop: Header=BB6_144 Depth=2
	v_bfe_u32 v61, v13, 2, 5
	v_lshlrev_b32_e32 v62, 24, v13
	s_delay_alu instid0(VALU_DEP_2) | instskip(SKIP_1) | instid1(VALU_DEP_1)
	v_cmp_eq_u32_e32 vcc_lo, 0, v61
	v_and_b32_e32 v58, 3, v13
	v_clz_i32_u32_e32 v59, v58
	s_delay_alu instid0(VALU_DEP_1) | instskip(NEXT) | instid1(VALU_DEP_1)
	v_min_u32_e32 v59, 32, v59
	v_subrev_nc_u32_e32 v60, 29, v59
	v_sub_nc_u32_e32 v59, 30, v59
	s_delay_alu instid0(VALU_DEP_1) | instskip(NEXT) | instid1(VALU_DEP_1)
	v_dual_cndmask_b32 v59, v61, v59 :: v_dual_lshlrev_b32 v60, v60, v13
	v_and_b32_e32 v60, 3, v60
	s_delay_alu instid0(VALU_DEP_2) | instskip(NEXT) | instid1(VALU_DEP_2)
	v_lshl_add_u32 v59, v59, 23, 0x37800000
	v_cndmask_b32_e32 v58, v58, v60, vcc_lo
	v_and_b32_e32 v60, 0x80000000, v62
	s_delay_alu instid0(VALU_DEP_2) | instskip(NEXT) | instid1(VALU_DEP_1)
	v_lshlrev_b32_e32 v58, 21, v58
	v_or3_b32 v58, v60, v59, v58
.LBB6_1112:                             ;   in Loop: Header=BB6_144 Depth=2
	s_or_b32 exec_lo, exec_lo, s24
	s_delay_alu instid0(VALU_DEP_1) | instskip(NEXT) | instid1(VALU_DEP_1)
	v_mul_f32_e32 v58, v16, v58
	v_and_b32_e32 v16, 0x7f800000, v58
	s_delay_alu instid0(VALU_DEP_1)
	v_cmp_ne_u32_e32 vcc_lo, 0x7f800000, v16
	v_mov_b32_e32 v16, 0x80
	s_and_saveexec_b32 s24, vcc_lo
	s_cbranch_execz .LBB6_1120
; %bb.1113:                             ;   in Loop: Header=BB6_144 Depth=2
	v_mov_b32_e32 v16, 0
	s_mov_b32 s25, exec_lo
	v_cmpx_ne_u32_e32 0, v58
	s_cbranch_execz .LBB6_1119
; %bb.1114:                             ;   in Loop: Header=BB6_144 Depth=2
	v_bfe_u32 v16, v58, 23, 8
	s_delay_alu instid0(VALU_DEP_1) | instskip(SKIP_1) | instid1(VALU_DEP_2)
	v_sub_nc_u32_e32 v60, 0x70, v16
	v_cmp_gt_u32_e32 vcc_lo, 0x71, v16
	v_dual_cndmask_b32 v60, 0, v60 :: v_dual_and_b32 v59, 0x7fffff, v58
	s_delay_alu instid0(VALU_DEP_1) | instskip(SKIP_2) | instid1(VALU_DEP_4)
	v_or_b32_e32 v61, 0x800000, v59
	v_cmp_eq_u32_e32 vcc_lo, 0, v16
	v_add_nc_u32_e32 v16, 0xffffff91, v16
	v_cndmask_b32_e64 v60, v60, 0x6f, vcc_lo
	s_delay_alu instid0(VALU_DEP_4) | instskip(NEXT) | instid1(VALU_DEP_3)
	v_cndmask_b32_e32 v59, v61, v59, vcc_lo
	v_cndmask_b32_e64 v16, v16, 0xffffff92, vcc_lo
	s_delay_alu instid0(VALU_DEP_3) | instskip(NEXT) | instid1(VALU_DEP_3)
	v_lshl_add_u32 v61, 0x200000, v60, -1
	v_lshrrev_b32_e32 v62, v60, v59
	v_lshlrev_b32_e64 v72, v60, 0x100000
	s_delay_alu instid0(VALU_DEP_4) | instskip(NEXT) | instid1(VALU_DEP_4)
	v_add_nc_u32_e32 v60, v60, v16
	v_and_b32_e32 v59, v61, v59
	s_delay_alu instid0(VALU_DEP_4) | instskip(NEXT) | instid1(VALU_DEP_2)
	v_bfe_u32 v63, v62, 21, 1
	v_cmp_eq_u32_e64 s11, v59, v72
	s_delay_alu instid0(VALU_DEP_2) | instskip(NEXT) | instid1(VALU_DEP_1)
	v_add_nc_u32_e32 v61, -1, v63
	v_cndmask_b32_e64 v59, 0, v61, s11
	v_lshrrev_b32_e32 v61, 23, v62
	s_mov_b32 s11, exec_lo
	s_delay_alu instid0(VALU_DEP_2) | instskip(NEXT) | instid1(VALU_DEP_2)
	v_add_nc_u32_e32 v59, v59, v62
	v_xor_b32_e32 v61, 1, v61
	s_delay_alu instid0(VALU_DEP_2) | instskip(NEXT) | instid1(VALU_DEP_1)
	v_and_b32_e32 v16, 0x1fffff, v59
	v_add_nc_u32_e32 v59, v16, v62
                                        ; implicit-def: $vgpr16
	s_delay_alu instid0(VALU_DEP_3)
	v_cmpx_ne_u32_e64 v60, v61
	s_xor_b32 s11, exec_lo, s11
; %bb.1115:                             ;   in Loop: Header=BB6_144 Depth=2
	s_delay_alu instid0(VALU_DEP_2) | instskip(SKIP_2) | instid1(VALU_DEP_2)
	v_cmp_lt_u32_e32 vcc_lo, 0xffffff, v59
	v_sub_nc_u32_e32 v16, v60, v61
	v_cndmask_b32_e64 v60, 0, 1, vcc_lo
	v_add_co_ci_u32_e32 v16, vcc_lo, 0, v16, vcc_lo
	s_delay_alu instid0(VALU_DEP_2)
	v_lshrrev_b32_e32 v59, v60, v59
; %bb.1116:                             ;   in Loop: Header=BB6_144 Depth=2
	s_and_not1_saveexec_b32 s11, s11
; %bb.1117:                             ;   in Loop: Header=BB6_144 Depth=2
	s_delay_alu instid0(VALU_DEP_1)
	v_bfe_u32 v16, v59, 23, 1
; %bb.1118:                             ;   in Loop: Header=BB6_144 Depth=2
	s_or_b32 exec_lo, exec_lo, s11
	v_lshrrev_b32_e32 v59, 21, v59
	s_delay_alu instid0(VALU_DEP_2) | instskip(SKIP_2) | instid1(VALU_DEP_2)
	v_cmp_gt_i32_e32 vcc_lo, 32, v16
	v_lshrrev_b32_e32 v58, 24, v58
	v_min_i32_e32 v60, 31, v16
	v_dual_cndmask_b32 v59, 3, v59 :: v_dual_and_b32 v58, 0x80, v58
	s_delay_alu instid0(VALU_DEP_2) | instskip(NEXT) | instid1(VALU_DEP_2)
	v_lshlrev_b32_e32 v60, 2, v60
	v_or_b32_e32 v16, v16, v59
	s_delay_alu instid0(VALU_DEP_1) | instskip(SKIP_1) | instid1(VALU_DEP_1)
	v_cmp_ne_u32_e32 vcc_lo, 0, v16
	v_and_b32_e32 v61, 3, v59
	v_or3_b32 v58, v60, v58, v61
	s_delay_alu instid0(VALU_DEP_1)
	v_cndmask_b32_e32 v16, 0, v58, vcc_lo
.LBB6_1119:                             ;   in Loop: Header=BB6_144 Depth=2
	s_or_b32 exec_lo, exec_lo, s25
.LBB6_1120:                             ;   in Loop: Header=BB6_144 Depth=2
	s_delay_alu instid0(SALU_CYCLE_1) | instskip(SKIP_3) | instid1(VALU_DEP_1)
	s_or_b32 exec_lo, exec_lo, s24
	v_lshrrev_b16 v59, 8, v17
	s_mov_b32 s11, 0
	s_mov_b32 s25, exec_lo
                                        ; implicit-def: $sgpr24
	v_cmpx_lt_i16_e32 0x7f, v59
	s_xor_b32 s25, exec_lo, s25
	s_cbranch_execnz .LBB6_1654
; %bb.1121:                             ;   in Loop: Header=BB6_144 Depth=2
	s_or_saveexec_b32 s25, s25
	v_mov_b32_e32 v58, s24
	s_xor_b32 exec_lo, exec_lo, s25
	s_cbranch_execnz .LBB6_1657
.LBB6_1122:                             ;   in Loop: Header=BB6_144 Depth=2
	s_or_b32 exec_lo, exec_lo, s25
	s_and_saveexec_b32 s24, s11
	s_cbranch_execz .LBB6_1124
.LBB6_1123:                             ;   in Loop: Header=BB6_144 Depth=2
	v_and_b32_e32 v58, 0xffff, v59
	s_delay_alu instid0(VALU_DEP_1) | instskip(NEXT) | instid1(VALU_DEP_1)
	v_and_b32_e32 v60, 3, v58
	v_clz_i32_u32_e32 v61, v60
	s_delay_alu instid0(VALU_DEP_1) | instskip(NEXT) | instid1(VALU_DEP_1)
	v_min_u32_e32 v61, 32, v61
	v_subrev_nc_u32_e32 v62, 29, v61
	v_sub_nc_u32_e32 v61, 30, v61
	s_delay_alu instid0(VALU_DEP_2) | instskip(SKIP_1) | instid1(VALU_DEP_2)
	v_lshlrev_b32_e32 v62, v62, v58
	v_bfe_u32 v58, v58, 2, 5
	v_and_b32_e32 v62, 3, v62
	s_delay_alu instid0(VALU_DEP_2) | instskip(SKIP_1) | instid1(VALU_DEP_1)
	v_cmp_eq_u32_e32 vcc_lo, 0, v58
	v_dual_cndmask_b32 v58, v58, v61 :: v_dual_lshlrev_b32 v59, 24, v59
	v_dual_cndmask_b32 v60, v60, v62 :: v_dual_and_b32 v59, 0x80000000, v59
	s_delay_alu instid0(VALU_DEP_2) | instskip(NEXT) | instid1(VALU_DEP_2)
	v_lshl_add_u32 v58, v58, 23, 0x37800000
	v_lshlrev_b32_e32 v60, 21, v60
	s_delay_alu instid0(VALU_DEP_1)
	v_or3_b32 v58, v59, v58, v60
.LBB6_1124:                             ;   in Loop: Header=BB6_144 Depth=2
	s_or_b32 exec_lo, exec_lo, s24
	v_lshrrev_b16 v59, 8, v13
	s_mov_b32 s11, 0
	s_mov_b32 s25, exec_lo
                                        ; implicit-def: $sgpr24
	s_delay_alu instid0(VALU_DEP_1)
	v_cmpx_lt_i16_e32 0x7f, v59
	s_xor_b32 s25, exec_lo, s25
	s_cbranch_execnz .LBB6_1658
; %bb.1125:                             ;   in Loop: Header=BB6_144 Depth=2
	s_or_saveexec_b32 s25, s25
	v_mov_b32_e32 v60, s24
	s_xor_b32 exec_lo, exec_lo, s25
	s_cbranch_execnz .LBB6_1661
.LBB6_1126:                             ;   in Loop: Header=BB6_144 Depth=2
	s_or_b32 exec_lo, exec_lo, s25
	s_and_saveexec_b32 s24, s11
	s_cbranch_execz .LBB6_1128
.LBB6_1127:                             ;   in Loop: Header=BB6_144 Depth=2
	v_and_b32_e32 v60, 0xffff, v59
	v_lshlrev_b32_e32 v59, 24, v59
	s_delay_alu instid0(VALU_DEP_2) | instskip(NEXT) | instid1(VALU_DEP_2)
	v_and_b32_e32 v61, 3, v60
	v_and_b32_e32 v59, 0x80000000, v59
	s_delay_alu instid0(VALU_DEP_2) | instskip(NEXT) | instid1(VALU_DEP_1)
	v_clz_i32_u32_e32 v62, v61
	v_min_u32_e32 v62, 32, v62
	s_delay_alu instid0(VALU_DEP_1) | instskip(SKIP_1) | instid1(VALU_DEP_2)
	v_subrev_nc_u32_e32 v63, 29, v62
	v_sub_nc_u32_e32 v62, 30, v62
	v_lshlrev_b32_e32 v63, v63, v60
	v_bfe_u32 v60, v60, 2, 5
	s_delay_alu instid0(VALU_DEP_2) | instskip(NEXT) | instid1(VALU_DEP_2)
	v_and_b32_e32 v63, 3, v63
	v_cmp_eq_u32_e32 vcc_lo, 0, v60
	s_delay_alu instid0(VALU_DEP_2) | instskip(NEXT) | instid1(VALU_DEP_1)
	v_dual_cndmask_b32 v60, v60, v62 :: v_dual_cndmask_b32 v61, v61, v63
	v_lshl_add_u32 v60, v60, 23, 0x37800000
	s_delay_alu instid0(VALU_DEP_2) | instskip(NEXT) | instid1(VALU_DEP_1)
	v_lshlrev_b32_e32 v61, 21, v61
	v_or3_b32 v60, v59, v60, v61
.LBB6_1128:                             ;   in Loop: Header=BB6_144 Depth=2
	s_or_b32 exec_lo, exec_lo, s24
	s_delay_alu instid0(VALU_DEP_1) | instskip(NEXT) | instid1(VALU_DEP_1)
	v_mul_f32_e32 v59, v58, v60
	v_and_b32_e32 v58, 0x7f800000, v59
	s_delay_alu instid0(VALU_DEP_1)
	v_cmp_ne_u32_e32 vcc_lo, 0x7f800000, v58
	v_mov_b32_e32 v58, 0x8000
	s_and_saveexec_b32 s24, vcc_lo
	s_cbranch_execz .LBB6_1136
; %bb.1129:                             ;   in Loop: Header=BB6_144 Depth=2
	v_mov_b32_e32 v58, 0
	s_mov_b32 s25, exec_lo
	v_cmpx_ne_u32_e32 0, v59
	s_cbranch_execz .LBB6_1135
; %bb.1130:                             ;   in Loop: Header=BB6_144 Depth=2
	v_bfe_u32 v58, v59, 23, 8
	s_delay_alu instid0(VALU_DEP_1) | instskip(SKIP_1) | instid1(VALU_DEP_2)
	v_sub_nc_u32_e32 v61, 0x70, v58
	v_cmp_gt_u32_e32 vcc_lo, 0x71, v58
	v_dual_cndmask_b32 v61, 0, v61 :: v_dual_and_b32 v60, 0x7fffff, v59
	s_delay_alu instid0(VALU_DEP_1) | instskip(SKIP_2) | instid1(VALU_DEP_4)
	v_or_b32_e32 v62, 0x800000, v60
	v_cmp_eq_u32_e32 vcc_lo, 0, v58
	v_add_nc_u32_e32 v58, 0xffffff91, v58
	v_cndmask_b32_e64 v61, v61, 0x6f, vcc_lo
	s_delay_alu instid0(VALU_DEP_2) | instskip(SKIP_1) | instid1(VALU_DEP_3)
	v_cndmask_b32_e64 v58, v58, 0xffffff92, vcc_lo
	v_cndmask_b32_e32 v60, v62, v60, vcc_lo
	v_lshl_add_u32 v62, 0x200000, v61, -1
	v_lshlrev_b32_e64 v73, v61, 0x100000
	s_delay_alu instid0(VALU_DEP_3) | instskip(SKIP_1) | instid1(VALU_DEP_4)
	v_lshrrev_b32_e32 v63, v61, v60
	v_add_nc_u32_e32 v61, v61, v58
	v_and_b32_e32 v60, v62, v60
	s_delay_alu instid0(VALU_DEP_3) | instskip(NEXT) | instid1(VALU_DEP_2)
	v_bfe_u32 v72, v63, 21, 1
	v_cmp_eq_u32_e64 s11, v60, v73
	s_delay_alu instid0(VALU_DEP_2) | instskip(NEXT) | instid1(VALU_DEP_1)
	v_add_nc_u32_e32 v62, -1, v72
	v_cndmask_b32_e64 v60, 0, v62, s11
	v_lshrrev_b32_e32 v62, 23, v63
	s_mov_b32 s11, exec_lo
	s_delay_alu instid0(VALU_DEP_2) | instskip(NEXT) | instid1(VALU_DEP_2)
	v_add_nc_u32_e32 v60, v60, v63
	v_xor_b32_e32 v62, 1, v62
	s_delay_alu instid0(VALU_DEP_2) | instskip(NEXT) | instid1(VALU_DEP_1)
	v_and_b32_e32 v58, 0x1fffff, v60
	v_add_nc_u32_e32 v60, v58, v63
                                        ; implicit-def: $vgpr58
	s_delay_alu instid0(VALU_DEP_3)
	v_cmpx_ne_u32_e64 v61, v62
	s_xor_b32 s11, exec_lo, s11
; %bb.1131:                             ;   in Loop: Header=BB6_144 Depth=2
	s_delay_alu instid0(VALU_DEP_2) | instskip(SKIP_2) | instid1(VALU_DEP_2)
	v_cmp_lt_u32_e32 vcc_lo, 0xffffff, v60
	v_sub_nc_u32_e32 v58, v61, v62
	v_cndmask_b32_e64 v61, 0, 1, vcc_lo
	v_add_co_ci_u32_e32 v58, vcc_lo, 0, v58, vcc_lo
	s_delay_alu instid0(VALU_DEP_2)
	v_lshrrev_b32_e32 v60, v61, v60
; %bb.1132:                             ;   in Loop: Header=BB6_144 Depth=2
	s_and_not1_saveexec_b32 s11, s11
; %bb.1133:                             ;   in Loop: Header=BB6_144 Depth=2
	s_delay_alu instid0(VALU_DEP_1)
	v_bfe_u32 v58, v60, 23, 1
; %bb.1134:                             ;   in Loop: Header=BB6_144 Depth=2
	s_or_b32 exec_lo, exec_lo, s11
	v_lshrrev_b32_e32 v60, 21, v60
	s_delay_alu instid0(VALU_DEP_2) | instskip(SKIP_2) | instid1(VALU_DEP_2)
	v_cmp_gt_i32_e32 vcc_lo, 32, v58
	v_min_i32_e32 v61, 31, v58
	v_lshrrev_b32_e32 v59, 24, v59
	v_dual_cndmask_b32 v60, 3, v60 :: v_dual_lshlrev_b32 v61, 2, v61
	s_delay_alu instid0(VALU_DEP_2) | instskip(NEXT) | instid1(VALU_DEP_2)
	v_and_b32_e32 v59, 0x80, v59
	v_or_b32_e32 v58, v58, v60
	v_and_b32_e32 v62, 3, v60
	s_delay_alu instid0(VALU_DEP_2) | instskip(SKIP_1) | instid1(VALU_DEP_1)
	v_cmp_ne_u32_e32 vcc_lo, 0, v58
	v_and_b32_e32 v61, 0xfc, v61
	v_or3_b32 v59, v59, v61, v62
	s_delay_alu instid0(VALU_DEP_1) | instskip(NEXT) | instid1(VALU_DEP_1)
	v_lshlrev_b32_e32 v59, 8, v59
	v_cndmask_b32_e32 v58, 0, v59, vcc_lo
.LBB6_1135:                             ;   in Loop: Header=BB6_144 Depth=2
	s_or_b32 exec_lo, exec_lo, s25
.LBB6_1136:                             ;   in Loop: Header=BB6_144 Depth=2
	s_delay_alu instid0(SALU_CYCLE_1) | instskip(SKIP_3) | instid1(VALU_DEP_1)
	s_or_b32 exec_lo, exec_lo, s24
	v_lshrrev_b32_e32 v60, 16, v17
	s_mov_b32 s11, 0
	s_mov_b32 s25, exec_lo
                                        ; implicit-def: $sgpr24
	v_and_b32_e32 v61, 0xff, v60
	s_delay_alu instid0(VALU_DEP_1)
	v_cmpx_lt_i16_e32 0x7f, v61
	s_xor_b32 s25, exec_lo, s25
	s_cbranch_execnz .LBB6_1662
; %bb.1137:                             ;   in Loop: Header=BB6_144 Depth=2
	s_or_saveexec_b32 s25, s25
	v_mov_b32_e32 v59, s24
	s_xor_b32 exec_lo, exec_lo, s25
	s_cbranch_execnz .LBB6_1665
.LBB6_1138:                             ;   in Loop: Header=BB6_144 Depth=2
	s_or_b32 exec_lo, exec_lo, s25
	s_and_saveexec_b32 s24, s11
	s_cbranch_execz .LBB6_1140
.LBB6_1139:                             ;   in Loop: Header=BB6_144 Depth=2
	v_bfe_u32 v59, v17, 16, 2
	v_lshlrev_b32_e32 v63, 8, v17
	s_delay_alu instid0(VALU_DEP_2) | instskip(NEXT) | instid1(VALU_DEP_1)
	v_clz_i32_u32_e32 v61, v59
	v_min_u32_e32 v61, 32, v61
	s_delay_alu instid0(VALU_DEP_1) | instskip(SKIP_1) | instid1(VALU_DEP_2)
	v_subrev_nc_u32_e32 v62, 29, v61
	v_sub_nc_u32_e32 v61, 30, v61
	v_lshlrev_b32_e32 v60, v62, v60
	v_bfe_u32 v62, v17, 18, 5
	s_delay_alu instid0(VALU_DEP_1) | instskip(NEXT) | instid1(VALU_DEP_3)
	v_cmp_eq_u32_e32 vcc_lo, 0, v62
	v_dual_cndmask_b32 v61, v62, v61 :: v_dual_and_b32 v60, 3, v60
	s_delay_alu instid0(VALU_DEP_1) | instskip(NEXT) | instid1(VALU_DEP_2)
	v_dual_cndmask_b32 v59, v59, v60 :: v_dual_and_b32 v60, 0x80000000, v63
	v_lshl_add_u32 v61, v61, 23, 0x37800000
	s_delay_alu instid0(VALU_DEP_2) | instskip(NEXT) | instid1(VALU_DEP_1)
	v_lshlrev_b32_e32 v59, 21, v59
	v_or3_b32 v59, v60, v61, v59
.LBB6_1140:                             ;   in Loop: Header=BB6_144 Depth=2
	s_or_b32 exec_lo, exec_lo, s24
	v_lshrrev_b32_e32 v60, 16, v13
	s_mov_b32 s11, 0
	s_mov_b32 s25, exec_lo
                                        ; implicit-def: $sgpr24
	s_delay_alu instid0(VALU_DEP_1) | instskip(NEXT) | instid1(VALU_DEP_1)
	v_and_b32_e32 v62, 0xff, v60
	v_cmpx_lt_i16_e32 0x7f, v62
	s_xor_b32 s25, exec_lo, s25
	s_cbranch_execnz .LBB6_1666
; %bb.1141:                             ;   in Loop: Header=BB6_144 Depth=2
	s_or_saveexec_b32 s25, s25
	v_mov_b32_e32 v61, s24
	s_xor_b32 exec_lo, exec_lo, s25
	s_cbranch_execnz .LBB6_1669
.LBB6_1142:                             ;   in Loop: Header=BB6_144 Depth=2
	s_or_b32 exec_lo, exec_lo, s25
	s_and_saveexec_b32 s24, s11
	s_cbranch_execz .LBB6_1144
.LBB6_1143:                             ;   in Loop: Header=BB6_144 Depth=2
	v_bfe_u32 v61, v13, 16, 2
	v_lshlrev_b32_e32 v72, 8, v13
	s_delay_alu instid0(VALU_DEP_2) | instskip(NEXT) | instid1(VALU_DEP_1)
	v_clz_i32_u32_e32 v62, v61
	v_min_u32_e32 v62, 32, v62
	s_delay_alu instid0(VALU_DEP_1) | instskip(SKIP_1) | instid1(VALU_DEP_2)
	v_subrev_nc_u32_e32 v63, 29, v62
	v_sub_nc_u32_e32 v62, 30, v62
	v_lshlrev_b32_e32 v60, v63, v60
	v_bfe_u32 v63, v13, 18, 5
	s_delay_alu instid0(VALU_DEP_2) | instskip(NEXT) | instid1(VALU_DEP_2)
	v_and_b32_e32 v60, 3, v60
	v_cmp_eq_u32_e32 vcc_lo, 0, v63
	v_cndmask_b32_e32 v62, v63, v62, vcc_lo
	s_delay_alu instid0(VALU_DEP_3) | instskip(SKIP_1) | instid1(VALU_DEP_3)
	v_cndmask_b32_e32 v60, v61, v60, vcc_lo
	v_and_b32_e32 v61, 0x80000000, v72
	v_lshl_add_u32 v62, v62, 23, 0x37800000
	s_delay_alu instid0(VALU_DEP_3) | instskip(NEXT) | instid1(VALU_DEP_1)
	v_lshlrev_b32_e32 v60, 21, v60
	v_or3_b32 v61, v61, v62, v60
.LBB6_1144:                             ;   in Loop: Header=BB6_144 Depth=2
	s_or_b32 exec_lo, exec_lo, s24
	s_delay_alu instid0(VALU_DEP_1) | instskip(NEXT) | instid1(VALU_DEP_1)
	v_mul_f32_e32 v60, v59, v61
	v_and_b32_e32 v59, 0x7f800000, v60
	s_delay_alu instid0(VALU_DEP_1)
	v_cmp_ne_u32_e32 vcc_lo, 0x7f800000, v59
	v_mov_b32_e32 v59, 0x80
	s_and_saveexec_b32 s24, vcc_lo
	s_cbranch_execz .LBB6_1152
; %bb.1145:                             ;   in Loop: Header=BB6_144 Depth=2
	v_mov_b32_e32 v59, 0
	s_mov_b32 s25, exec_lo
	v_cmpx_ne_u32_e32 0, v60
	s_cbranch_execz .LBB6_1151
; %bb.1146:                             ;   in Loop: Header=BB6_144 Depth=2
	v_bfe_u32 v59, v60, 23, 8
	s_delay_alu instid0(VALU_DEP_1) | instskip(SKIP_1) | instid1(VALU_DEP_2)
	v_sub_nc_u32_e32 v62, 0x70, v59
	v_cmp_gt_u32_e32 vcc_lo, 0x71, v59
	v_dual_cndmask_b32 v62, 0, v62 :: v_dual_and_b32 v61, 0x7fffff, v60
	s_delay_alu instid0(VALU_DEP_1) | instskip(SKIP_2) | instid1(VALU_DEP_4)
	v_or_b32_e32 v63, 0x800000, v61
	v_cmp_eq_u32_e32 vcc_lo, 0, v59
	v_add_nc_u32_e32 v59, 0xffffff91, v59
	v_cndmask_b32_e64 v62, v62, 0x6f, vcc_lo
	s_delay_alu instid0(VALU_DEP_2) | instskip(SKIP_1) | instid1(VALU_DEP_3)
	v_cndmask_b32_e64 v59, v59, 0xffffff92, vcc_lo
	v_cndmask_b32_e32 v61, v63, v61, vcc_lo
	v_lshl_add_u32 v63, 0x200000, v62, -1
	v_lshlrev_b32_e64 v74, v62, 0x100000
	s_delay_alu instid0(VALU_DEP_3) | instskip(SKIP_1) | instid1(VALU_DEP_4)
	v_lshrrev_b32_e32 v72, v62, v61
	v_add_nc_u32_e32 v62, v62, v59
	v_and_b32_e32 v61, v63, v61
	s_delay_alu instid0(VALU_DEP_3) | instskip(NEXT) | instid1(VALU_DEP_2)
	v_bfe_u32 v73, v72, 21, 1
	v_cmp_eq_u32_e64 s11, v61, v74
	s_delay_alu instid0(VALU_DEP_2) | instskip(NEXT) | instid1(VALU_DEP_1)
	v_add_nc_u32_e32 v63, -1, v73
	v_cndmask_b32_e64 v61, 0, v63, s11
	v_lshrrev_b32_e32 v63, 23, v72
	s_mov_b32 s11, exec_lo
	s_delay_alu instid0(VALU_DEP_2) | instskip(NEXT) | instid1(VALU_DEP_2)
	v_add_nc_u32_e32 v61, v61, v72
	v_xor_b32_e32 v63, 1, v63
	s_delay_alu instid0(VALU_DEP_2) | instskip(NEXT) | instid1(VALU_DEP_1)
	v_and_b32_e32 v59, 0x1fffff, v61
	v_add_nc_u32_e32 v61, v59, v72
                                        ; implicit-def: $vgpr59
	s_delay_alu instid0(VALU_DEP_3)
	v_cmpx_ne_u32_e64 v62, v63
	s_xor_b32 s11, exec_lo, s11
; %bb.1147:                             ;   in Loop: Header=BB6_144 Depth=2
	s_delay_alu instid0(VALU_DEP_2) | instskip(SKIP_2) | instid1(VALU_DEP_2)
	v_cmp_lt_u32_e32 vcc_lo, 0xffffff, v61
	v_sub_nc_u32_e32 v59, v62, v63
	v_cndmask_b32_e64 v62, 0, 1, vcc_lo
	v_add_co_ci_u32_e32 v59, vcc_lo, 0, v59, vcc_lo
	s_delay_alu instid0(VALU_DEP_2)
	v_lshrrev_b32_e32 v61, v62, v61
; %bb.1148:                             ;   in Loop: Header=BB6_144 Depth=2
	s_and_not1_saveexec_b32 s11, s11
; %bb.1149:                             ;   in Loop: Header=BB6_144 Depth=2
	s_delay_alu instid0(VALU_DEP_1)
	v_bfe_u32 v59, v61, 23, 1
; %bb.1150:                             ;   in Loop: Header=BB6_144 Depth=2
	s_or_b32 exec_lo, exec_lo, s11
	v_lshrrev_b32_e32 v61, 21, v61
	s_delay_alu instid0(VALU_DEP_2) | instskip(SKIP_2) | instid1(VALU_DEP_2)
	v_cmp_gt_i32_e32 vcc_lo, 32, v59
	v_min_i32_e32 v62, 31, v59
	v_lshrrev_b32_e32 v60, 24, v60
	v_dual_cndmask_b32 v61, 3, v61 :: v_dual_lshlrev_b32 v62, 2, v62
	s_delay_alu instid0(VALU_DEP_2) | instskip(NEXT) | instid1(VALU_DEP_2)
	v_and_b32_e32 v60, 0x80, v60
	v_or_b32_e32 v59, v59, v61
	v_and_b32_e32 v63, 3, v61
	s_delay_alu instid0(VALU_DEP_2) | instskip(SKIP_1) | instid1(VALU_DEP_1)
	v_cmp_ne_u32_e32 vcc_lo, 0, v59
	v_and_b32_e32 v62, 0xfc, v62
	v_or3_b32 v60, v62, v60, v63
	s_delay_alu instid0(VALU_DEP_1)
	v_cndmask_b32_e32 v59, 0, v60, vcc_lo
.LBB6_1151:                             ;   in Loop: Header=BB6_144 Depth=2
	s_or_b32 exec_lo, exec_lo, s25
.LBB6_1152:                             ;   in Loop: Header=BB6_144 Depth=2
	s_delay_alu instid0(SALU_CYCLE_1) | instskip(SKIP_3) | instid1(VALU_DEP_1)
	s_or_b32 exec_lo, exec_lo, s24
	v_lshrrev_b32_e32 v61, 24, v17
	s_mov_b32 s11, 0
	s_mov_b32 s25, exec_lo
                                        ; implicit-def: $sgpr24
	v_cmpx_lt_i16_e32 0x7f, v61
	s_xor_b32 s25, exec_lo, s25
	s_cbranch_execnz .LBB6_1670
; %bb.1153:                             ;   in Loop: Header=BB6_144 Depth=2
	s_or_saveexec_b32 s25, s25
	v_mov_b32_e32 v60, s24
	s_xor_b32 exec_lo, exec_lo, s25
	s_cbranch_execnz .LBB6_1673
.LBB6_1154:                             ;   in Loop: Header=BB6_144 Depth=2
	s_or_b32 exec_lo, exec_lo, s25
	s_and_saveexec_b32 s24, s11
	s_cbranch_execz .LBB6_1156
.LBB6_1155:                             ;   in Loop: Header=BB6_144 Depth=2
	v_bfe_u32 v60, v17, 24, 2
	s_delay_alu instid0(VALU_DEP_1) | instskip(NEXT) | instid1(VALU_DEP_1)
	v_clz_i32_u32_e32 v62, v60
	v_min_u32_e32 v62, 32, v62
	s_delay_alu instid0(VALU_DEP_1) | instskip(SKIP_1) | instid1(VALU_DEP_2)
	v_subrev_nc_u32_e32 v63, 29, v62
	v_sub_nc_u32_e32 v62, 30, v62
	v_lshlrev_b32_e32 v61, v63, v61
	v_bfe_u32 v63, v17, 26, 5
	v_and_b32_e32 v17, 0x80000000, v17
	s_delay_alu instid0(VALU_DEP_2) | instskip(NEXT) | instid1(VALU_DEP_4)
	v_cmp_eq_u32_e32 vcc_lo, 0, v63
	v_dual_cndmask_b32 v62, v63, v62 :: v_dual_and_b32 v61, 3, v61
	s_delay_alu instid0(VALU_DEP_1) | instskip(NEXT) | instid1(VALU_DEP_2)
	v_cndmask_b32_e32 v60, v60, v61, vcc_lo
	v_lshl_add_u32 v61, v62, 23, 0x37800000
	s_delay_alu instid0(VALU_DEP_2) | instskip(NEXT) | instid1(VALU_DEP_1)
	v_lshlrev_b32_e32 v60, 21, v60
	v_or3_b32 v60, v17, v61, v60
.LBB6_1156:                             ;   in Loop: Header=BB6_144 Depth=2
	s_or_b32 exec_lo, exec_lo, s24
	v_lshrrev_b32_e32 v17, 24, v13
	s_mov_b32 s11, 0
	s_mov_b32 s25, exec_lo
                                        ; implicit-def: $sgpr24
	s_delay_alu instid0(VALU_DEP_1)
	v_cmpx_lt_i16_e32 0x7f, v17
	s_xor_b32 s25, exec_lo, s25
	s_cbranch_execnz .LBB6_1674
; %bb.1157:                             ;   in Loop: Header=BB6_144 Depth=2
	s_or_saveexec_b32 s25, s25
	v_mov_b32_e32 v61, s24
	s_xor_b32 exec_lo, exec_lo, s25
	s_cbranch_execnz .LBB6_1677
.LBB6_1158:                             ;   in Loop: Header=BB6_144 Depth=2
	s_or_b32 exec_lo, exec_lo, s25
	s_and_saveexec_b32 s24, s11
	s_cbranch_execz .LBB6_1160
.LBB6_1159:                             ;   in Loop: Header=BB6_144 Depth=2
	v_bfe_u32 v61, v13, 24, 2
	s_delay_alu instid0(VALU_DEP_1) | instskip(NEXT) | instid1(VALU_DEP_1)
	v_clz_i32_u32_e32 v62, v61
	v_min_u32_e32 v62, 32, v62
	s_delay_alu instid0(VALU_DEP_1) | instskip(SKIP_1) | instid1(VALU_DEP_2)
	v_subrev_nc_u32_e32 v63, 29, v62
	v_sub_nc_u32_e32 v62, 30, v62
	v_lshlrev_b32_e32 v17, v63, v17
	v_bfe_u32 v63, v13, 26, 5
	v_and_b32_e32 v13, 0x80000000, v13
	s_delay_alu instid0(VALU_DEP_2) | instskip(NEXT) | instid1(VALU_DEP_4)
	v_cmp_eq_u32_e32 vcc_lo, 0, v63
	v_dual_cndmask_b32 v62, v63, v62 :: v_dual_and_b32 v17, 3, v17
	s_delay_alu instid0(VALU_DEP_1) | instskip(NEXT) | instid1(VALU_DEP_2)
	v_cndmask_b32_e32 v17, v61, v17, vcc_lo
	v_lshl_add_u32 v61, v62, 23, 0x37800000
	s_delay_alu instid0(VALU_DEP_2) | instskip(NEXT) | instid1(VALU_DEP_1)
	v_lshlrev_b32_e32 v17, 21, v17
	v_or3_b32 v61, v13, v61, v17
.LBB6_1160:                             ;   in Loop: Header=BB6_144 Depth=2
	s_or_b32 exec_lo, exec_lo, s24
	s_delay_alu instid0(VALU_DEP_1) | instskip(NEXT) | instid1(VALU_DEP_1)
	v_mul_f32_e32 v17, v60, v61
	v_and_b32_e32 v13, 0x7f800000, v17
	s_delay_alu instid0(VALU_DEP_1)
	v_cmp_ne_u32_e32 vcc_lo, 0x7f800000, v13
	v_mov_b32_e32 v13, 0x8000
	s_and_saveexec_b32 s24, vcc_lo
	s_cbranch_execz .LBB6_143
; %bb.1161:                             ;   in Loop: Header=BB6_144 Depth=2
	v_mov_b32_e32 v13, 0
	s_mov_b32 s25, exec_lo
	v_cmpx_ne_u32_e32 0, v17
	s_cbranch_execz .LBB6_142
; %bb.1162:                             ;   in Loop: Header=BB6_144 Depth=2
	v_bfe_u32 v13, v17, 23, 8
	v_and_b32_e32 v60, 0x7fffff, v17
	s_delay_alu instid0(VALU_DEP_2) | instskip(SKIP_1) | instid1(VALU_DEP_3)
	v_sub_nc_u32_e32 v61, 0x70, v13
	v_cmp_gt_u32_e32 vcc_lo, 0x71, v13
	v_or_b32_e32 v62, 0x800000, v60
	s_delay_alu instid0(VALU_DEP_3) | instskip(SKIP_1) | instid1(VALU_DEP_3)
	v_cndmask_b32_e32 v61, 0, v61, vcc_lo
	v_cmp_eq_u32_e32 vcc_lo, 0, v13
	v_dual_cndmask_b32 v60, v62, v60 :: v_dual_add_nc_u32 v13, 0xffffff91, v13
	s_delay_alu instid0(VALU_DEP_3) | instskip(NEXT) | instid1(VALU_DEP_2)
	v_cndmask_b32_e64 v61, v61, 0x6f, vcc_lo
	v_cndmask_b32_e64 v13, v13, 0xffffff92, vcc_lo
	s_delay_alu instid0(VALU_DEP_2) | instskip(SKIP_2) | instid1(VALU_DEP_4)
	v_lshrrev_b32_e32 v63, v61, v60
	v_lshl_add_u32 v62, 0x200000, v61, -1
	v_lshlrev_b32_e64 v73, v61, 0x100000
	v_add_nc_u32_e32 v61, v61, v13
	s_delay_alu instid0(VALU_DEP_4) | instskip(NEXT) | instid1(VALU_DEP_4)
	v_bfe_u32 v72, v63, 21, 1
	v_and_b32_e32 v60, v62, v60
	s_delay_alu instid0(VALU_DEP_2) | instskip(NEXT) | instid1(VALU_DEP_2)
	v_add_nc_u32_e32 v62, -1, v72
	v_cmp_eq_u32_e64 s11, v60, v73
	s_delay_alu instid0(VALU_DEP_1) | instskip(SKIP_2) | instid1(VALU_DEP_2)
	v_cndmask_b32_e64 v60, 0, v62, s11
	v_lshrrev_b32_e32 v62, 23, v63
	s_mov_b32 s11, exec_lo
	v_add_nc_u32_e32 v60, v60, v63
	s_delay_alu instid0(VALU_DEP_2) | instskip(NEXT) | instid1(VALU_DEP_2)
	v_xor_b32_e32 v62, 1, v62
	v_and_b32_e32 v13, 0x1fffff, v60
	s_delay_alu instid0(VALU_DEP_1) | instskip(NEXT) | instid1(VALU_DEP_3)
	v_add_nc_u32_e32 v60, v13, v63
                                        ; implicit-def: $vgpr13
	v_cmpx_ne_u32_e64 v61, v62
	s_xor_b32 s11, exec_lo, s11
; %bb.1163:                             ;   in Loop: Header=BB6_144 Depth=2
	s_delay_alu instid0(VALU_DEP_2) | instskip(SKIP_2) | instid1(VALU_DEP_2)
	v_cmp_lt_u32_e32 vcc_lo, 0xffffff, v60
	v_sub_nc_u32_e32 v13, v61, v62
	v_cndmask_b32_e64 v61, 0, 1, vcc_lo
	v_add_co_ci_u32_e32 v13, vcc_lo, 0, v13, vcc_lo
	s_delay_alu instid0(VALU_DEP_2)
	v_lshrrev_b32_e32 v60, v61, v60
; %bb.1164:                             ;   in Loop: Header=BB6_144 Depth=2
	s_and_not1_saveexec_b32 s11, s11
	s_cbranch_execz .LBB6_141
; %bb.1165:                             ;   in Loop: Header=BB6_144 Depth=2
	s_delay_alu instid0(VALU_DEP_1)
	v_bfe_u32 v13, v60, 23, 1
	s_branch .LBB6_141
.LBB6_1166:                             ;   in Loop: Header=BB6_144 Depth=2
	s_mov_b32 s11, -1
	s_mov_b32 s26, exec_lo
                                        ; implicit-def: $sgpr24
	v_cmpx_eq_u16_e64 0x80, v148
; %bb.1167:                             ;   in Loop: Header=BB6_144 Depth=2
	s_mov_b32 s24, 0x7f800001
	s_xor_b32 s11, exec_lo, -1
; %bb.1168:                             ;   in Loop: Header=BB6_144 Depth=2
	s_or_b32 exec_lo, exec_lo, s26
	s_delay_alu instid0(SALU_CYCLE_1)
	s_and_b32 s11, s11, exec_lo
                                        ; implicit-def: $vgpr148
	s_or_saveexec_b32 s25, s25
	v_mov_b32_e32 v147, s24
	s_xor_b32 exec_lo, exec_lo, s25
	s_cbranch_execz .LBB6_146
.LBB6_1169:                             ;   in Loop: Header=BB6_144 Depth=2
	v_cmp_ne_u16_e64 vcc_lo, 0, v148
	v_mov_b32_e32 v147, 0
	s_and_not1_b32 s11, s11, exec_lo
	s_delay_alu instid0(VALU_DEP_2) | instskip(NEXT) | instid1(SALU_CYCLE_1)
	s_and_b32 s24, vcc_lo, exec_lo
	s_or_b32 s11, s11, s24
	s_or_b32 exec_lo, exec_lo, s25
	s_and_saveexec_b32 s24, s11
	s_cbranch_execnz .LBB6_147
	s_branch .LBB6_148
.LBB6_1170:                             ;   in Loop: Header=BB6_144 Depth=2
	s_mov_b32 s11, -1
	s_mov_b32 s26, exec_lo
                                        ; implicit-def: $sgpr24
	v_cmpx_eq_u16_e64 0x80, v149
; %bb.1171:                             ;   in Loop: Header=BB6_144 Depth=2
	s_mov_b32 s24, 0x7f800001
	s_xor_b32 s11, exec_lo, -1
; %bb.1172:                             ;   in Loop: Header=BB6_144 Depth=2
	s_or_b32 exec_lo, exec_lo, s26
	s_delay_alu instid0(SALU_CYCLE_1)
	s_and_b32 s11, s11, exec_lo
                                        ; implicit-def: $vgpr149
	s_or_saveexec_b32 s25, s25
	v_mov_b32_e32 v148, s24
	s_xor_b32 exec_lo, exec_lo, s25
	s_cbranch_execz .LBB6_150
.LBB6_1173:                             ;   in Loop: Header=BB6_144 Depth=2
	v_cmp_ne_u16_e64 vcc_lo, 0, v149
	v_mov_b32_e32 v148, 0
	s_and_not1_b32 s11, s11, exec_lo
	s_delay_alu instid0(VALU_DEP_2) | instskip(NEXT) | instid1(SALU_CYCLE_1)
	s_and_b32 s24, vcc_lo, exec_lo
	s_or_b32 s11, s11, s24
	s_or_b32 exec_lo, exec_lo, s25
	s_and_saveexec_b32 s24, s11
	s_cbranch_execnz .LBB6_151
	s_branch .LBB6_152
.LBB6_1174:                             ;   in Loop: Header=BB6_144 Depth=2
	s_mov_b32 s11, -1
	s_mov_b32 s26, exec_lo
                                        ; implicit-def: $sgpr24
	v_cmpx_eq_u16_e64 0x80, v149
; %bb.1175:                             ;   in Loop: Header=BB6_144 Depth=2
	s_mov_b32 s24, 0x7f800001
	s_xor_b32 s11, exec_lo, -1
; %bb.1176:                             ;   in Loop: Header=BB6_144 Depth=2
	s_or_b32 exec_lo, exec_lo, s26
	s_delay_alu instid0(SALU_CYCLE_1)
	s_and_b32 s11, s11, exec_lo
	s_or_saveexec_b32 s25, s25
	v_mov_b32_e32 v148, s24
	s_xor_b32 exec_lo, exec_lo, s25
	s_cbranch_execz .LBB6_162
.LBB6_1177:                             ;   in Loop: Header=BB6_144 Depth=2
	v_cmp_ne_u16_e64 vcc_lo, 0, v149
	v_mov_b32_e32 v148, 0
	s_and_not1_b32 s11, s11, exec_lo
	s_delay_alu instid0(VALU_DEP_2) | instskip(NEXT) | instid1(SALU_CYCLE_1)
	s_and_b32 s24, vcc_lo, exec_lo
	s_or_b32 s11, s11, s24
	s_or_b32 exec_lo, exec_lo, s25
	s_and_saveexec_b32 s24, s11
	s_cbranch_execnz .LBB6_163
	s_branch .LBB6_164
.LBB6_1178:                             ;   in Loop: Header=BB6_144 Depth=2
	s_mov_b32 s11, -1
	s_mov_b32 s26, exec_lo
                                        ; implicit-def: $sgpr24
	v_cmpx_eq_u16_e64 0x80, v149
; %bb.1179:                             ;   in Loop: Header=BB6_144 Depth=2
	s_mov_b32 s24, 0x7f800001
	s_xor_b32 s11, exec_lo, -1
; %bb.1180:                             ;   in Loop: Header=BB6_144 Depth=2
	s_or_b32 exec_lo, exec_lo, s26
	s_delay_alu instid0(SALU_CYCLE_1)
	s_and_b32 s11, s11, exec_lo
	s_or_saveexec_b32 s25, s25
	v_mov_b32_e32 v150, s24
	s_xor_b32 exec_lo, exec_lo, s25
	s_cbranch_execz .LBB6_166
.LBB6_1181:                             ;   in Loop: Header=BB6_144 Depth=2
	v_cmp_ne_u16_e64 vcc_lo, 0, v149
	v_mov_b32_e32 v150, 0
	s_and_not1_b32 s11, s11, exec_lo
	s_delay_alu instid0(VALU_DEP_2) | instskip(NEXT) | instid1(SALU_CYCLE_1)
	s_and_b32 s24, vcc_lo, exec_lo
	s_or_b32 s11, s11, s24
	s_or_b32 exec_lo, exec_lo, s25
	s_and_saveexec_b32 s24, s11
	s_cbranch_execnz .LBB6_167
	s_branch .LBB6_168
.LBB6_1182:                             ;   in Loop: Header=BB6_144 Depth=2
	s_mov_b32 s11, -1
	s_mov_b32 s26, exec_lo
                                        ; implicit-def: $sgpr24
	v_cmpx_eq_u16_e64 0x80, v151
; %bb.1183:                             ;   in Loop: Header=BB6_144 Depth=2
	s_mov_b32 s24, 0x7f800001
	s_xor_b32 s11, exec_lo, -1
; %bb.1184:                             ;   in Loop: Header=BB6_144 Depth=2
	s_or_b32 exec_lo, exec_lo, s26
	s_delay_alu instid0(SALU_CYCLE_1)
	s_and_b32 s11, s11, exec_lo
                                        ; implicit-def: $vgpr151
	s_or_saveexec_b32 s25, s25
	v_mov_b32_e32 v149, s24
	s_xor_b32 exec_lo, exec_lo, s25
	s_cbranch_execz .LBB6_178
.LBB6_1185:                             ;   in Loop: Header=BB6_144 Depth=2
	v_cmp_ne_u16_e64 vcc_lo, 0, v151
	v_mov_b32_e32 v149, 0
	s_and_not1_b32 s11, s11, exec_lo
	s_delay_alu instid0(VALU_DEP_2) | instskip(NEXT) | instid1(SALU_CYCLE_1)
	s_and_b32 s24, vcc_lo, exec_lo
	s_or_b32 s11, s11, s24
	s_or_b32 exec_lo, exec_lo, s25
	s_and_saveexec_b32 s24, s11
	s_cbranch_execnz .LBB6_179
	s_branch .LBB6_180
.LBB6_1186:                             ;   in Loop: Header=BB6_144 Depth=2
	s_mov_b32 s11, -1
	s_mov_b32 s26, exec_lo
                                        ; implicit-def: $sgpr24
	v_cmpx_eq_u16_e64 0x80, v160
; %bb.1187:                             ;   in Loop: Header=BB6_144 Depth=2
	s_mov_b32 s24, 0x7f800001
	s_xor_b32 s11, exec_lo, -1
; %bb.1188:                             ;   in Loop: Header=BB6_144 Depth=2
	s_or_b32 exec_lo, exec_lo, s26
	s_delay_alu instid0(SALU_CYCLE_1)
	s_and_b32 s11, s11, exec_lo
                                        ; implicit-def: $vgpr160
	s_or_saveexec_b32 s25, s25
	v_mov_b32_e32 v151, s24
	s_xor_b32 exec_lo, exec_lo, s25
	s_cbranch_execz .LBB6_182
.LBB6_1189:                             ;   in Loop: Header=BB6_144 Depth=2
	v_cmp_ne_u16_e64 vcc_lo, 0, v160
	v_mov_b32_e32 v151, 0
	s_and_not1_b32 s11, s11, exec_lo
	s_delay_alu instid0(VALU_DEP_2) | instskip(NEXT) | instid1(SALU_CYCLE_1)
	s_and_b32 s24, vcc_lo, exec_lo
	s_or_b32 s11, s11, s24
	s_or_b32 exec_lo, exec_lo, s25
	s_and_saveexec_b32 s24, s11
	s_cbranch_execnz .LBB6_183
	s_branch .LBB6_184
.LBB6_1190:                             ;   in Loop: Header=BB6_144 Depth=2
	s_mov_b32 s11, -1
	s_mov_b32 s26, exec_lo
                                        ; implicit-def: $sgpr24
	v_cmpx_eq_u16_e64 0x80, v151
; %bb.1191:                             ;   in Loop: Header=BB6_144 Depth=2
	s_mov_b32 s24, 0x7f800001
	s_xor_b32 s11, exec_lo, -1
; %bb.1192:                             ;   in Loop: Header=BB6_144 Depth=2
	s_or_b32 exec_lo, exec_lo, s26
	s_delay_alu instid0(SALU_CYCLE_1)
	s_and_b32 s11, s11, exec_lo
	s_or_saveexec_b32 s25, s25
	v_mov_b32_e32 v150, s24
	s_xor_b32 exec_lo, exec_lo, s25
	s_cbranch_execz .LBB6_194
.LBB6_1193:                             ;   in Loop: Header=BB6_144 Depth=2
	v_cmp_ne_u16_e64 vcc_lo, 0, v151
	v_mov_b32_e32 v150, 0
	s_and_not1_b32 s11, s11, exec_lo
	s_delay_alu instid0(VALU_DEP_2) | instskip(NEXT) | instid1(SALU_CYCLE_1)
	s_and_b32 s24, vcc_lo, exec_lo
	s_or_b32 s11, s11, s24
	s_or_b32 exec_lo, exec_lo, s25
	s_and_saveexec_b32 s24, s11
	s_cbranch_execnz .LBB6_195
	s_branch .LBB6_196
.LBB6_1194:                             ;   in Loop: Header=BB6_144 Depth=2
	s_mov_b32 s11, -1
	s_mov_b32 s26, exec_lo
                                        ; implicit-def: $sgpr24
	v_cmpx_eq_u16_e32 0x80, v48
; %bb.1195:                             ;   in Loop: Header=BB6_144 Depth=2
	s_mov_b32 s24, 0x7f800001
	s_xor_b32 s11, exec_lo, -1
; %bb.1196:                             ;   in Loop: Header=BB6_144 Depth=2
	s_or_b32 exec_lo, exec_lo, s26
	s_delay_alu instid0(SALU_CYCLE_1)
	s_and_b32 s11, s11, exec_lo
	s_or_saveexec_b32 s25, s25
	v_mov_b32_e32 v151, s24
	s_xor_b32 exec_lo, exec_lo, s25
	s_cbranch_execz .LBB6_198
.LBB6_1197:                             ;   in Loop: Header=BB6_144 Depth=2
	v_cmp_ne_u16_e32 vcc_lo, 0, v48
	v_mov_b32_e32 v151, 0
	s_and_not1_b32 s11, s11, exec_lo
	s_and_b32 s24, vcc_lo, exec_lo
	s_delay_alu instid0(SALU_CYCLE_1)
	s_or_b32 s11, s11, s24
	s_or_b32 exec_lo, exec_lo, s25
	s_and_saveexec_b32 s24, s11
	s_cbranch_execnz .LBB6_199
	s_branch .LBB6_200
.LBB6_1198:                             ;   in Loop: Header=BB6_144 Depth=2
	s_mov_b32 s11, -1
	s_mov_b32 s26, exec_lo
                                        ; implicit-def: $sgpr24
	v_cmpx_eq_u16_e64 0x80, v150
; %bb.1199:                             ;   in Loop: Header=BB6_144 Depth=2
	s_mov_b32 s24, 0x7f800001
	s_xor_b32 s11, exec_lo, -1
; %bb.1200:                             ;   in Loop: Header=BB6_144 Depth=2
	s_or_b32 exec_lo, exec_lo, s26
	s_delay_alu instid0(SALU_CYCLE_1)
	s_and_b32 s11, s11, exec_lo
                                        ; implicit-def: $vgpr150
	s_or_saveexec_b32 s25, s25
	v_mov_b32_e32 v48, s24
	s_xor_b32 exec_lo, exec_lo, s25
	s_cbranch_execz .LBB6_210
.LBB6_1201:                             ;   in Loop: Header=BB6_144 Depth=2
	v_cmp_ne_u16_e64 vcc_lo, 0, v150
	v_mov_b32_e32 v48, 0
	s_and_not1_b32 s11, s11, exec_lo
	s_delay_alu instid0(VALU_DEP_2) | instskip(NEXT) | instid1(SALU_CYCLE_1)
	s_and_b32 s24, vcc_lo, exec_lo
	s_or_b32 s11, s11, s24
	s_or_b32 exec_lo, exec_lo, s25
	s_and_saveexec_b32 s24, s11
	s_cbranch_execnz .LBB6_211
	s_branch .LBB6_212
.LBB6_1202:                             ;   in Loop: Header=BB6_144 Depth=2
	s_mov_b32 s11, -1
	s_mov_b32 s26, exec_lo
                                        ; implicit-def: $sgpr24
	v_cmpx_eq_u16_e64 0x80, v151
; %bb.1203:                             ;   in Loop: Header=BB6_144 Depth=2
	s_mov_b32 s24, 0x7f800001
	s_xor_b32 s11, exec_lo, -1
; %bb.1204:                             ;   in Loop: Header=BB6_144 Depth=2
	s_or_b32 exec_lo, exec_lo, s26
	s_delay_alu instid0(SALU_CYCLE_1)
	s_and_b32 s11, s11, exec_lo
                                        ; implicit-def: $vgpr151
	s_or_saveexec_b32 s25, s25
	v_mov_b32_e32 v150, s24
	s_xor_b32 exec_lo, exec_lo, s25
	s_cbranch_execz .LBB6_214
.LBB6_1205:                             ;   in Loop: Header=BB6_144 Depth=2
	v_cmp_ne_u16_e64 vcc_lo, 0, v151
	v_mov_b32_e32 v150, 0
	s_and_not1_b32 s11, s11, exec_lo
	s_delay_alu instid0(VALU_DEP_2) | instskip(NEXT) | instid1(SALU_CYCLE_1)
	s_and_b32 s24, vcc_lo, exec_lo
	s_or_b32 s11, s11, s24
	s_or_b32 exec_lo, exec_lo, s25
	s_and_saveexec_b32 s24, s11
	s_cbranch_execnz .LBB6_215
	s_branch .LBB6_216
.LBB6_1206:                             ;   in Loop: Header=BB6_144 Depth=2
	s_mov_b32 s11, -1
	s_mov_b32 s26, exec_lo
                                        ; implicit-def: $sgpr24
	v_cmpx_eq_u16_e64 0x80, v151
; %bb.1207:                             ;   in Loop: Header=BB6_144 Depth=2
	s_mov_b32 s24, 0x7f800001
	s_xor_b32 s11, exec_lo, -1
; %bb.1208:                             ;   in Loop: Header=BB6_144 Depth=2
	s_or_b32 exec_lo, exec_lo, s26
	s_delay_alu instid0(SALU_CYCLE_1)
	s_and_b32 s11, s11, exec_lo
	s_or_saveexec_b32 s25, s25
	v_mov_b32_e32 v150, s24
	s_xor_b32 exec_lo, exec_lo, s25
	s_cbranch_execz .LBB6_226
.LBB6_1209:                             ;   in Loop: Header=BB6_144 Depth=2
	v_cmp_ne_u16_e64 vcc_lo, 0, v151
	v_mov_b32_e32 v150, 0
	s_and_not1_b32 s11, s11, exec_lo
	s_delay_alu instid0(VALU_DEP_2) | instskip(NEXT) | instid1(SALU_CYCLE_1)
	s_and_b32 s24, vcc_lo, exec_lo
	s_or_b32 s11, s11, s24
	s_or_b32 exec_lo, exec_lo, s25
	s_and_saveexec_b32 s24, s11
	s_cbranch_execnz .LBB6_227
	s_branch .LBB6_228
.LBB6_1210:                             ;   in Loop: Header=BB6_144 Depth=2
	s_mov_b32 s11, -1
	s_mov_b32 s26, exec_lo
                                        ; implicit-def: $sgpr24
	v_cmpx_eq_u16_e64 0x80, v151
; %bb.1211:                             ;   in Loop: Header=BB6_144 Depth=2
	s_mov_b32 s24, 0x7f800001
	s_xor_b32 s11, exec_lo, -1
; %bb.1212:                             ;   in Loop: Header=BB6_144 Depth=2
	s_or_b32 exec_lo, exec_lo, s26
	s_delay_alu instid0(SALU_CYCLE_1)
	s_and_b32 s11, s11, exec_lo
	s_or_saveexec_b32 s25, s25
	v_mov_b32_e32 v160, s24
	s_xor_b32 exec_lo, exec_lo, s25
	s_cbranch_execz .LBB6_230
.LBB6_1213:                             ;   in Loop: Header=BB6_144 Depth=2
	v_cmp_ne_u16_e64 vcc_lo, 0, v151
	v_mov_b32_e32 v160, 0
	s_and_not1_b32 s11, s11, exec_lo
	s_delay_alu instid0(VALU_DEP_2) | instskip(NEXT) | instid1(SALU_CYCLE_1)
	s_and_b32 s24, vcc_lo, exec_lo
	s_or_b32 s11, s11, s24
	s_or_b32 exec_lo, exec_lo, s25
	s_and_saveexec_b32 s24, s11
	s_cbranch_execnz .LBB6_231
	s_branch .LBB6_232
.LBB6_1214:                             ;   in Loop: Header=BB6_144 Depth=2
	s_mov_b32 s11, -1
	s_mov_b32 s26, exec_lo
                                        ; implicit-def: $sgpr24
	v_cmpx_eq_u16_e64 0x80, v161
; %bb.1215:                             ;   in Loop: Header=BB6_144 Depth=2
	s_mov_b32 s24, 0x7f800001
	s_xor_b32 s11, exec_lo, -1
; %bb.1216:                             ;   in Loop: Header=BB6_144 Depth=2
	s_or_b32 exec_lo, exec_lo, s26
	s_delay_alu instid0(SALU_CYCLE_1)
	s_and_b32 s11, s11, exec_lo
                                        ; implicit-def: $vgpr161
	s_or_saveexec_b32 s25, s25
	v_mov_b32_e32 v151, s24
	s_xor_b32 exec_lo, exec_lo, s25
	s_cbranch_execz .LBB6_242
.LBB6_1217:                             ;   in Loop: Header=BB6_144 Depth=2
	v_cmp_ne_u16_e64 vcc_lo, 0, v161
	v_mov_b32_e32 v151, 0
	s_and_not1_b32 s11, s11, exec_lo
	s_delay_alu instid0(VALU_DEP_2) | instskip(NEXT) | instid1(SALU_CYCLE_1)
	s_and_b32 s24, vcc_lo, exec_lo
	s_or_b32 s11, s11, s24
	s_or_b32 exec_lo, exec_lo, s25
	s_and_saveexec_b32 s24, s11
	s_cbranch_execnz .LBB6_243
	s_branch .LBB6_244
.LBB6_1218:                             ;   in Loop: Header=BB6_144 Depth=2
	s_mov_b32 s11, -1
	s_mov_b32 s26, exec_lo
                                        ; implicit-def: $sgpr24
	v_cmpx_eq_u16_e64 0x80, v162
; %bb.1219:                             ;   in Loop: Header=BB6_144 Depth=2
	s_mov_b32 s24, 0x7f800001
	s_xor_b32 s11, exec_lo, -1
; %bb.1220:                             ;   in Loop: Header=BB6_144 Depth=2
	s_or_b32 exec_lo, exec_lo, s26
	s_delay_alu instid0(SALU_CYCLE_1)
	s_and_b32 s11, s11, exec_lo
                                        ; implicit-def: $vgpr162
	s_or_saveexec_b32 s25, s25
	v_mov_b32_e32 v161, s24
	s_xor_b32 exec_lo, exec_lo, s25
	s_cbranch_execz .LBB6_246
.LBB6_1221:                             ;   in Loop: Header=BB6_144 Depth=2
	v_cmp_ne_u16_e64 vcc_lo, 0, v162
	v_mov_b32_e32 v161, 0
	s_and_not1_b32 s11, s11, exec_lo
	s_delay_alu instid0(VALU_DEP_2) | instskip(NEXT) | instid1(SALU_CYCLE_1)
	s_and_b32 s24, vcc_lo, exec_lo
	s_or_b32 s11, s11, s24
	s_or_b32 exec_lo, exec_lo, s25
	s_and_saveexec_b32 s24, s11
	s_cbranch_execnz .LBB6_247
	s_branch .LBB6_248
.LBB6_1222:                             ;   in Loop: Header=BB6_144 Depth=2
	s_mov_b32 s11, -1
	s_mov_b32 s26, exec_lo
                                        ; implicit-def: $sgpr24
	v_cmpx_eq_u16_e64 0x80, v161
; %bb.1223:                             ;   in Loop: Header=BB6_144 Depth=2
	s_mov_b32 s24, 0x7f800001
	s_xor_b32 s11, exec_lo, -1
; %bb.1224:                             ;   in Loop: Header=BB6_144 Depth=2
	s_or_b32 exec_lo, exec_lo, s26
	s_delay_alu instid0(SALU_CYCLE_1)
	s_and_b32 s11, s11, exec_lo
	s_or_saveexec_b32 s25, s25
	v_mov_b32_e32 v160, s24
	s_xor_b32 exec_lo, exec_lo, s25
	s_cbranch_execz .LBB6_258
.LBB6_1225:                             ;   in Loop: Header=BB6_144 Depth=2
	v_cmp_ne_u16_e64 vcc_lo, 0, v161
	v_mov_b32_e32 v160, 0
	s_and_not1_b32 s11, s11, exec_lo
	s_delay_alu instid0(VALU_DEP_2) | instskip(NEXT) | instid1(SALU_CYCLE_1)
	s_and_b32 s24, vcc_lo, exec_lo
	s_or_b32 s11, s11, s24
	s_or_b32 exec_lo, exec_lo, s25
	s_and_saveexec_b32 s24, s11
	s_cbranch_execnz .LBB6_259
	s_branch .LBB6_260
.LBB6_1226:                             ;   in Loop: Header=BB6_144 Depth=2
	s_mov_b32 s11, -1
	s_mov_b32 s26, exec_lo
                                        ; implicit-def: $sgpr24
	v_cmpx_eq_u16_e32 0x80, v49
; %bb.1227:                             ;   in Loop: Header=BB6_144 Depth=2
	s_mov_b32 s24, 0x7f800001
	s_xor_b32 s11, exec_lo, -1
; %bb.1228:                             ;   in Loop: Header=BB6_144 Depth=2
	s_or_b32 exec_lo, exec_lo, s26
	s_delay_alu instid0(SALU_CYCLE_1)
	s_and_b32 s11, s11, exec_lo
	s_or_saveexec_b32 s25, s25
	v_mov_b32_e32 v161, s24
	s_xor_b32 exec_lo, exec_lo, s25
	s_cbranch_execz .LBB6_262
.LBB6_1229:                             ;   in Loop: Header=BB6_144 Depth=2
	v_cmp_ne_u16_e32 vcc_lo, 0, v49
	v_mov_b32_e32 v161, 0
	s_and_not1_b32 s11, s11, exec_lo
	s_and_b32 s24, vcc_lo, exec_lo
	s_delay_alu instid0(SALU_CYCLE_1)
	s_or_b32 s11, s11, s24
	s_or_b32 exec_lo, exec_lo, s25
	s_and_saveexec_b32 s24, s11
	s_cbranch_execnz .LBB6_263
	s_branch .LBB6_264
.LBB6_1230:                             ;   in Loop: Header=BB6_144 Depth=2
	s_mov_b32 s11, -1
	s_mov_b32 s26, exec_lo
                                        ; implicit-def: $sgpr24
	v_cmpx_eq_u16_e64 0x80, v160
; %bb.1231:                             ;   in Loop: Header=BB6_144 Depth=2
	s_mov_b32 s24, 0x7f800001
	s_xor_b32 s11, exec_lo, -1
; %bb.1232:                             ;   in Loop: Header=BB6_144 Depth=2
	s_or_b32 exec_lo, exec_lo, s26
	s_delay_alu instid0(SALU_CYCLE_1)
	s_and_b32 s11, s11, exec_lo
                                        ; implicit-def: $vgpr160
	s_or_saveexec_b32 s25, s25
	v_mov_b32_e32 v49, s24
	s_xor_b32 exec_lo, exec_lo, s25
	s_cbranch_execz .LBB6_274
.LBB6_1233:                             ;   in Loop: Header=BB6_144 Depth=2
	v_cmp_ne_u16_e64 vcc_lo, 0, v160
	v_mov_b32_e32 v49, 0
	s_and_not1_b32 s11, s11, exec_lo
	s_delay_alu instid0(VALU_DEP_2) | instskip(NEXT) | instid1(SALU_CYCLE_1)
	s_and_b32 s24, vcc_lo, exec_lo
	s_or_b32 s11, s11, s24
	s_or_b32 exec_lo, exec_lo, s25
	s_and_saveexec_b32 s24, s11
	s_cbranch_execnz .LBB6_275
	s_branch .LBB6_276
.LBB6_1234:                             ;   in Loop: Header=BB6_144 Depth=2
	s_mov_b32 s11, -1
	s_mov_b32 s26, exec_lo
                                        ; implicit-def: $sgpr24
	v_cmpx_eq_u16_e64 0x80, v161
; %bb.1235:                             ;   in Loop: Header=BB6_144 Depth=2
	s_mov_b32 s24, 0x7f800001
	s_xor_b32 s11, exec_lo, -1
; %bb.1236:                             ;   in Loop: Header=BB6_144 Depth=2
	s_or_b32 exec_lo, exec_lo, s26
	s_delay_alu instid0(SALU_CYCLE_1)
	s_and_b32 s11, s11, exec_lo
                                        ; implicit-def: $vgpr161
	s_or_saveexec_b32 s25, s25
	v_mov_b32_e32 v160, s24
	s_xor_b32 exec_lo, exec_lo, s25
	s_cbranch_execz .LBB6_278
.LBB6_1237:                             ;   in Loop: Header=BB6_144 Depth=2
	v_cmp_ne_u16_e64 vcc_lo, 0, v161
	v_mov_b32_e32 v160, 0
	s_and_not1_b32 s11, s11, exec_lo
	s_delay_alu instid0(VALU_DEP_2) | instskip(NEXT) | instid1(SALU_CYCLE_1)
	s_and_b32 s24, vcc_lo, exec_lo
	s_or_b32 s11, s11, s24
	s_or_b32 exec_lo, exec_lo, s25
	s_and_saveexec_b32 s24, s11
	s_cbranch_execnz .LBB6_279
	s_branch .LBB6_280
.LBB6_1238:                             ;   in Loop: Header=BB6_144 Depth=2
	s_mov_b32 s11, -1
	s_mov_b32 s26, exec_lo
                                        ; implicit-def: $sgpr24
	v_cmpx_eq_u16_e64 0x80, v161
; %bb.1239:                             ;   in Loop: Header=BB6_144 Depth=2
	s_mov_b32 s24, 0x7f800001
	s_xor_b32 s11, exec_lo, -1
; %bb.1240:                             ;   in Loop: Header=BB6_144 Depth=2
	s_or_b32 exec_lo, exec_lo, s26
	s_delay_alu instid0(SALU_CYCLE_1)
	s_and_b32 s11, s11, exec_lo
	s_or_saveexec_b32 s25, s25
	v_mov_b32_e32 v160, s24
	s_xor_b32 exec_lo, exec_lo, s25
	s_cbranch_execz .LBB6_290
.LBB6_1241:                             ;   in Loop: Header=BB6_144 Depth=2
	v_cmp_ne_u16_e64 vcc_lo, 0, v161
	v_mov_b32_e32 v160, 0
	s_and_not1_b32 s11, s11, exec_lo
	s_delay_alu instid0(VALU_DEP_2) | instskip(NEXT) | instid1(SALU_CYCLE_1)
	s_and_b32 s24, vcc_lo, exec_lo
	s_or_b32 s11, s11, s24
	s_or_b32 exec_lo, exec_lo, s25
	s_and_saveexec_b32 s24, s11
	s_cbranch_execnz .LBB6_291
	s_branch .LBB6_292
.LBB6_1242:                             ;   in Loop: Header=BB6_144 Depth=2
	s_mov_b32 s11, -1
	s_mov_b32 s26, exec_lo
                                        ; implicit-def: $sgpr24
	v_cmpx_eq_u16_e64 0x80, v161
; %bb.1243:                             ;   in Loop: Header=BB6_144 Depth=2
	s_mov_b32 s24, 0x7f800001
	s_xor_b32 s11, exec_lo, -1
; %bb.1244:                             ;   in Loop: Header=BB6_144 Depth=2
	s_or_b32 exec_lo, exec_lo, s26
	s_delay_alu instid0(SALU_CYCLE_1)
	s_and_b32 s11, s11, exec_lo
	s_or_saveexec_b32 s25, s25
	v_mov_b32_e32 v162, s24
	s_xor_b32 exec_lo, exec_lo, s25
	s_cbranch_execz .LBB6_294
.LBB6_1245:                             ;   in Loop: Header=BB6_144 Depth=2
	v_cmp_ne_u16_e64 vcc_lo, 0, v161
	v_mov_b32_e32 v162, 0
	s_and_not1_b32 s11, s11, exec_lo
	s_delay_alu instid0(VALU_DEP_2) | instskip(NEXT) | instid1(SALU_CYCLE_1)
	s_and_b32 s24, vcc_lo, exec_lo
	s_or_b32 s11, s11, s24
	s_or_b32 exec_lo, exec_lo, s25
	s_and_saveexec_b32 s24, s11
	s_cbranch_execnz .LBB6_295
	s_branch .LBB6_296
.LBB6_1246:                             ;   in Loop: Header=BB6_144 Depth=2
	s_mov_b32 s11, -1
	s_mov_b32 s26, exec_lo
                                        ; implicit-def: $sgpr24
	v_cmpx_eq_u16_e64 0x80, v163
; %bb.1247:                             ;   in Loop: Header=BB6_144 Depth=2
	s_mov_b32 s24, 0x7f800001
	s_xor_b32 s11, exec_lo, -1
; %bb.1248:                             ;   in Loop: Header=BB6_144 Depth=2
	s_or_b32 exec_lo, exec_lo, s26
	s_delay_alu instid0(SALU_CYCLE_1)
	s_and_b32 s11, s11, exec_lo
                                        ; implicit-def: $vgpr163
	s_or_saveexec_b32 s25, s25
	v_mov_b32_e32 v161, s24
	s_xor_b32 exec_lo, exec_lo, s25
	s_cbranch_execz .LBB6_306
.LBB6_1249:                             ;   in Loop: Header=BB6_144 Depth=2
	v_cmp_ne_u16_e64 vcc_lo, 0, v163
	v_mov_b32_e32 v161, 0
	s_and_not1_b32 s11, s11, exec_lo
	s_delay_alu instid0(VALU_DEP_2) | instskip(NEXT) | instid1(SALU_CYCLE_1)
	s_and_b32 s24, vcc_lo, exec_lo
	s_or_b32 s11, s11, s24
	s_or_b32 exec_lo, exec_lo, s25
	s_and_saveexec_b32 s24, s11
	s_cbranch_execnz .LBB6_307
	s_branch .LBB6_308
.LBB6_1250:                             ;   in Loop: Header=BB6_144 Depth=2
	s_mov_b32 s11, -1
	s_mov_b32 s26, exec_lo
                                        ; implicit-def: $sgpr24
	v_cmpx_eq_u16_e64 0x80, v164
; %bb.1251:                             ;   in Loop: Header=BB6_144 Depth=2
	s_mov_b32 s24, 0x7f800001
	s_xor_b32 s11, exec_lo, -1
; %bb.1252:                             ;   in Loop: Header=BB6_144 Depth=2
	s_or_b32 exec_lo, exec_lo, s26
	s_delay_alu instid0(SALU_CYCLE_1)
	s_and_b32 s11, s11, exec_lo
                                        ; implicit-def: $vgpr164
	s_or_saveexec_b32 s25, s25
	v_mov_b32_e32 v163, s24
	s_xor_b32 exec_lo, exec_lo, s25
	s_cbranch_execz .LBB6_310
.LBB6_1253:                             ;   in Loop: Header=BB6_144 Depth=2
	v_cmp_ne_u16_e64 vcc_lo, 0, v164
	v_mov_b32_e32 v163, 0
	s_and_not1_b32 s11, s11, exec_lo
	s_delay_alu instid0(VALU_DEP_2) | instskip(NEXT) | instid1(SALU_CYCLE_1)
	s_and_b32 s24, vcc_lo, exec_lo
	s_or_b32 s11, s11, s24
	s_or_b32 exec_lo, exec_lo, s25
	s_and_saveexec_b32 s24, s11
	s_cbranch_execnz .LBB6_311
	s_branch .LBB6_312
.LBB6_1254:                             ;   in Loop: Header=BB6_144 Depth=2
	s_mov_b32 s11, -1
	s_mov_b32 s26, exec_lo
                                        ; implicit-def: $sgpr24
	v_cmpx_eq_u16_e64 0x80, v163
; %bb.1255:                             ;   in Loop: Header=BB6_144 Depth=2
	s_mov_b32 s24, 0x7f800001
	s_xor_b32 s11, exec_lo, -1
; %bb.1256:                             ;   in Loop: Header=BB6_144 Depth=2
	s_or_b32 exec_lo, exec_lo, s26
	s_delay_alu instid0(SALU_CYCLE_1)
	s_and_b32 s11, s11, exec_lo
	s_or_saveexec_b32 s25, s25
	v_mov_b32_e32 v162, s24
	s_xor_b32 exec_lo, exec_lo, s25
	s_cbranch_execz .LBB6_322
.LBB6_1257:                             ;   in Loop: Header=BB6_144 Depth=2
	v_cmp_ne_u16_e64 vcc_lo, 0, v163
	v_mov_b32_e32 v162, 0
	s_and_not1_b32 s11, s11, exec_lo
	s_delay_alu instid0(VALU_DEP_2) | instskip(NEXT) | instid1(SALU_CYCLE_1)
	s_and_b32 s24, vcc_lo, exec_lo
	s_or_b32 s11, s11, s24
	s_or_b32 exec_lo, exec_lo, s25
	s_and_saveexec_b32 s24, s11
	s_cbranch_execnz .LBB6_323
	s_branch .LBB6_324
.LBB6_1258:                             ;   in Loop: Header=BB6_144 Depth=2
	s_mov_b32 s11, -1
	s_mov_b32 s26, exec_lo
                                        ; implicit-def: $sgpr24
	v_cmpx_eq_u16_e32 0x80, v50
; %bb.1259:                             ;   in Loop: Header=BB6_144 Depth=2
	s_mov_b32 s24, 0x7f800001
	s_xor_b32 s11, exec_lo, -1
; %bb.1260:                             ;   in Loop: Header=BB6_144 Depth=2
	s_or_b32 exec_lo, exec_lo, s26
	s_delay_alu instid0(SALU_CYCLE_1)
	s_and_b32 s11, s11, exec_lo
	s_or_saveexec_b32 s25, s25
	v_mov_b32_e32 v163, s24
	s_xor_b32 exec_lo, exec_lo, s25
	s_cbranch_execz .LBB6_326
.LBB6_1261:                             ;   in Loop: Header=BB6_144 Depth=2
	v_cmp_ne_u16_e32 vcc_lo, 0, v50
	v_mov_b32_e32 v163, 0
	s_and_not1_b32 s11, s11, exec_lo
	s_and_b32 s24, vcc_lo, exec_lo
	s_delay_alu instid0(SALU_CYCLE_1)
	s_or_b32 s11, s11, s24
	s_or_b32 exec_lo, exec_lo, s25
	s_and_saveexec_b32 s24, s11
	s_cbranch_execnz .LBB6_327
	s_branch .LBB6_328
.LBB6_1262:                             ;   in Loop: Header=BB6_144 Depth=2
	s_mov_b32 s11, -1
	s_mov_b32 s26, exec_lo
                                        ; implicit-def: $sgpr24
	v_cmpx_eq_u16_e64 0x80, v162
; %bb.1263:                             ;   in Loop: Header=BB6_144 Depth=2
	s_mov_b32 s24, 0x7f800001
	s_xor_b32 s11, exec_lo, -1
; %bb.1264:                             ;   in Loop: Header=BB6_144 Depth=2
	s_or_b32 exec_lo, exec_lo, s26
	s_delay_alu instid0(SALU_CYCLE_1)
	s_and_b32 s11, s11, exec_lo
                                        ; implicit-def: $vgpr162
	s_or_saveexec_b32 s25, s25
	v_mov_b32_e32 v50, s24
	s_xor_b32 exec_lo, exec_lo, s25
	s_cbranch_execz .LBB6_338
.LBB6_1265:                             ;   in Loop: Header=BB6_144 Depth=2
	v_cmp_ne_u16_e64 vcc_lo, 0, v162
	v_mov_b32_e32 v50, 0
	s_and_not1_b32 s11, s11, exec_lo
	s_delay_alu instid0(VALU_DEP_2) | instskip(NEXT) | instid1(SALU_CYCLE_1)
	s_and_b32 s24, vcc_lo, exec_lo
	s_or_b32 s11, s11, s24
	s_or_b32 exec_lo, exec_lo, s25
	s_and_saveexec_b32 s24, s11
	s_cbranch_execnz .LBB6_339
	s_branch .LBB6_340
.LBB6_1266:                             ;   in Loop: Header=BB6_144 Depth=2
	s_mov_b32 s11, -1
	s_mov_b32 s26, exec_lo
                                        ; implicit-def: $sgpr24
	v_cmpx_eq_u16_e64 0x80, v163
; %bb.1267:                             ;   in Loop: Header=BB6_144 Depth=2
	s_mov_b32 s24, 0x7f800001
	s_xor_b32 s11, exec_lo, -1
; %bb.1268:                             ;   in Loop: Header=BB6_144 Depth=2
	s_or_b32 exec_lo, exec_lo, s26
	s_delay_alu instid0(SALU_CYCLE_1)
	s_and_b32 s11, s11, exec_lo
                                        ; implicit-def: $vgpr163
	s_or_saveexec_b32 s25, s25
	v_mov_b32_e32 v162, s24
	s_xor_b32 exec_lo, exec_lo, s25
	s_cbranch_execz .LBB6_342
.LBB6_1269:                             ;   in Loop: Header=BB6_144 Depth=2
	v_cmp_ne_u16_e64 vcc_lo, 0, v163
	v_mov_b32_e32 v162, 0
	s_and_not1_b32 s11, s11, exec_lo
	s_delay_alu instid0(VALU_DEP_2) | instskip(NEXT) | instid1(SALU_CYCLE_1)
	s_and_b32 s24, vcc_lo, exec_lo
	s_or_b32 s11, s11, s24
	s_or_b32 exec_lo, exec_lo, s25
	s_and_saveexec_b32 s24, s11
	s_cbranch_execnz .LBB6_343
	s_branch .LBB6_344
.LBB6_1270:                             ;   in Loop: Header=BB6_144 Depth=2
	s_mov_b32 s11, -1
	s_mov_b32 s26, exec_lo
                                        ; implicit-def: $sgpr24
	v_cmpx_eq_u16_e64 0x80, v163
; %bb.1271:                             ;   in Loop: Header=BB6_144 Depth=2
	s_mov_b32 s24, 0x7f800001
	s_xor_b32 s11, exec_lo, -1
; %bb.1272:                             ;   in Loop: Header=BB6_144 Depth=2
	s_or_b32 exec_lo, exec_lo, s26
	s_delay_alu instid0(SALU_CYCLE_1)
	s_and_b32 s11, s11, exec_lo
	s_or_saveexec_b32 s25, s25
	v_mov_b32_e32 v162, s24
	s_xor_b32 exec_lo, exec_lo, s25
	s_cbranch_execz .LBB6_354
.LBB6_1273:                             ;   in Loop: Header=BB6_144 Depth=2
	v_cmp_ne_u16_e64 vcc_lo, 0, v163
	v_mov_b32_e32 v162, 0
	s_and_not1_b32 s11, s11, exec_lo
	s_delay_alu instid0(VALU_DEP_2) | instskip(NEXT) | instid1(SALU_CYCLE_1)
	s_and_b32 s24, vcc_lo, exec_lo
	s_or_b32 s11, s11, s24
	s_or_b32 exec_lo, exec_lo, s25
	s_and_saveexec_b32 s24, s11
	s_cbranch_execnz .LBB6_355
	s_branch .LBB6_356
.LBB6_1274:                             ;   in Loop: Header=BB6_144 Depth=2
	s_mov_b32 s11, -1
	s_mov_b32 s26, exec_lo
                                        ; implicit-def: $sgpr24
	v_cmpx_eq_u16_e64 0x80, v163
; %bb.1275:                             ;   in Loop: Header=BB6_144 Depth=2
	s_mov_b32 s24, 0x7f800001
	s_xor_b32 s11, exec_lo, -1
; %bb.1276:                             ;   in Loop: Header=BB6_144 Depth=2
	s_or_b32 exec_lo, exec_lo, s26
	s_delay_alu instid0(SALU_CYCLE_1)
	s_and_b32 s11, s11, exec_lo
	s_or_saveexec_b32 s25, s25
	v_mov_b32_e32 v164, s24
	s_xor_b32 exec_lo, exec_lo, s25
	s_cbranch_execz .LBB6_358
.LBB6_1277:                             ;   in Loop: Header=BB6_144 Depth=2
	v_cmp_ne_u16_e64 vcc_lo, 0, v163
	v_mov_b32_e32 v164, 0
	s_and_not1_b32 s11, s11, exec_lo
	s_delay_alu instid0(VALU_DEP_2) | instskip(NEXT) | instid1(SALU_CYCLE_1)
	s_and_b32 s24, vcc_lo, exec_lo
	s_or_b32 s11, s11, s24
	s_or_b32 exec_lo, exec_lo, s25
	s_and_saveexec_b32 s24, s11
	s_cbranch_execnz .LBB6_359
	s_branch .LBB6_360
.LBB6_1278:                             ;   in Loop: Header=BB6_144 Depth=2
	s_mov_b32 s11, -1
	s_mov_b32 s26, exec_lo
                                        ; implicit-def: $sgpr24
	v_cmpx_eq_u16_e64 0x80, v165
; %bb.1279:                             ;   in Loop: Header=BB6_144 Depth=2
	s_mov_b32 s24, 0x7f800001
	s_xor_b32 s11, exec_lo, -1
; %bb.1280:                             ;   in Loop: Header=BB6_144 Depth=2
	s_or_b32 exec_lo, exec_lo, s26
	s_delay_alu instid0(SALU_CYCLE_1)
	s_and_b32 s11, s11, exec_lo
                                        ; implicit-def: $vgpr165
	s_or_saveexec_b32 s25, s25
	v_mov_b32_e32 v163, s24
	s_xor_b32 exec_lo, exec_lo, s25
	s_cbranch_execz .LBB6_370
.LBB6_1281:                             ;   in Loop: Header=BB6_144 Depth=2
	v_cmp_ne_u16_e64 vcc_lo, 0, v165
	v_mov_b32_e32 v163, 0
	s_and_not1_b32 s11, s11, exec_lo
	s_delay_alu instid0(VALU_DEP_2) | instskip(NEXT) | instid1(SALU_CYCLE_1)
	s_and_b32 s24, vcc_lo, exec_lo
	s_or_b32 s11, s11, s24
	s_or_b32 exec_lo, exec_lo, s25
	s_and_saveexec_b32 s24, s11
	s_cbranch_execnz .LBB6_371
	s_branch .LBB6_372
.LBB6_1282:                             ;   in Loop: Header=BB6_144 Depth=2
	s_mov_b32 s11, -1
	s_mov_b32 s26, exec_lo
                                        ; implicit-def: $sgpr24
	v_cmpx_eq_u16_e64 0x80, v166
; %bb.1283:                             ;   in Loop: Header=BB6_144 Depth=2
	s_mov_b32 s24, 0x7f800001
	s_xor_b32 s11, exec_lo, -1
; %bb.1284:                             ;   in Loop: Header=BB6_144 Depth=2
	s_or_b32 exec_lo, exec_lo, s26
	s_delay_alu instid0(SALU_CYCLE_1)
	s_and_b32 s11, s11, exec_lo
                                        ; implicit-def: $vgpr166
	s_or_saveexec_b32 s25, s25
	v_mov_b32_e32 v165, s24
	s_xor_b32 exec_lo, exec_lo, s25
	s_cbranch_execz .LBB6_374
.LBB6_1285:                             ;   in Loop: Header=BB6_144 Depth=2
	v_cmp_ne_u16_e64 vcc_lo, 0, v166
	v_mov_b32_e32 v165, 0
	s_and_not1_b32 s11, s11, exec_lo
	s_delay_alu instid0(VALU_DEP_2) | instskip(NEXT) | instid1(SALU_CYCLE_1)
	s_and_b32 s24, vcc_lo, exec_lo
	s_or_b32 s11, s11, s24
	s_or_b32 exec_lo, exec_lo, s25
	s_and_saveexec_b32 s24, s11
	s_cbranch_execnz .LBB6_375
	s_branch .LBB6_376
.LBB6_1286:                             ;   in Loop: Header=BB6_144 Depth=2
	s_mov_b32 s11, -1
	s_mov_b32 s26, exec_lo
                                        ; implicit-def: $sgpr24
	v_cmpx_eq_u16_e64 0x80, v165
; %bb.1287:                             ;   in Loop: Header=BB6_144 Depth=2
	s_mov_b32 s24, 0x7f800001
	s_xor_b32 s11, exec_lo, -1
; %bb.1288:                             ;   in Loop: Header=BB6_144 Depth=2
	s_or_b32 exec_lo, exec_lo, s26
	s_delay_alu instid0(SALU_CYCLE_1)
	s_and_b32 s11, s11, exec_lo
	s_or_saveexec_b32 s25, s25
	v_mov_b32_e32 v164, s24
	s_xor_b32 exec_lo, exec_lo, s25
	s_cbranch_execz .LBB6_386
.LBB6_1289:                             ;   in Loop: Header=BB6_144 Depth=2
	v_cmp_ne_u16_e64 vcc_lo, 0, v165
	v_mov_b32_e32 v164, 0
	s_and_not1_b32 s11, s11, exec_lo
	s_delay_alu instid0(VALU_DEP_2) | instskip(NEXT) | instid1(SALU_CYCLE_1)
	s_and_b32 s24, vcc_lo, exec_lo
	s_or_b32 s11, s11, s24
	s_or_b32 exec_lo, exec_lo, s25
	s_and_saveexec_b32 s24, s11
	s_cbranch_execnz .LBB6_387
	s_branch .LBB6_388
.LBB6_1290:                             ;   in Loop: Header=BB6_144 Depth=2
	s_mov_b32 s11, -1
	s_mov_b32 s26, exec_lo
                                        ; implicit-def: $sgpr24
	v_cmpx_eq_u16_e32 0x80, v51
; %bb.1291:                             ;   in Loop: Header=BB6_144 Depth=2
	s_mov_b32 s24, 0x7f800001
	s_xor_b32 s11, exec_lo, -1
; %bb.1292:                             ;   in Loop: Header=BB6_144 Depth=2
	s_or_b32 exec_lo, exec_lo, s26
	s_delay_alu instid0(SALU_CYCLE_1)
	s_and_b32 s11, s11, exec_lo
	s_or_saveexec_b32 s25, s25
	v_mov_b32_e32 v165, s24
	s_xor_b32 exec_lo, exec_lo, s25
	s_cbranch_execz .LBB6_390
.LBB6_1293:                             ;   in Loop: Header=BB6_144 Depth=2
	v_cmp_ne_u16_e32 vcc_lo, 0, v51
	v_mov_b32_e32 v165, 0
	s_and_not1_b32 s11, s11, exec_lo
	s_and_b32 s24, vcc_lo, exec_lo
	s_delay_alu instid0(SALU_CYCLE_1)
	s_or_b32 s11, s11, s24
	s_or_b32 exec_lo, exec_lo, s25
	s_and_saveexec_b32 s24, s11
	s_cbranch_execnz .LBB6_391
	s_branch .LBB6_392
.LBB6_1294:                             ;   in Loop: Header=BB6_144 Depth=2
	s_mov_b32 s11, -1
	s_mov_b32 s26, exec_lo
                                        ; implicit-def: $sgpr24
	v_cmpx_eq_u16_e64 0x80, v164
; %bb.1295:                             ;   in Loop: Header=BB6_144 Depth=2
	s_mov_b32 s24, 0x7f800001
	s_xor_b32 s11, exec_lo, -1
; %bb.1296:                             ;   in Loop: Header=BB6_144 Depth=2
	s_or_b32 exec_lo, exec_lo, s26
	s_delay_alu instid0(SALU_CYCLE_1)
	s_and_b32 s11, s11, exec_lo
                                        ; implicit-def: $vgpr164
	s_or_saveexec_b32 s25, s25
	v_mov_b32_e32 v51, s24
	s_xor_b32 exec_lo, exec_lo, s25
	s_cbranch_execz .LBB6_402
.LBB6_1297:                             ;   in Loop: Header=BB6_144 Depth=2
	v_cmp_ne_u16_e64 vcc_lo, 0, v164
	v_mov_b32_e32 v51, 0
	s_and_not1_b32 s11, s11, exec_lo
	s_delay_alu instid0(VALU_DEP_2) | instskip(NEXT) | instid1(SALU_CYCLE_1)
	s_and_b32 s24, vcc_lo, exec_lo
	s_or_b32 s11, s11, s24
	s_or_b32 exec_lo, exec_lo, s25
	s_and_saveexec_b32 s24, s11
	s_cbranch_execnz .LBB6_403
	s_branch .LBB6_404
.LBB6_1298:                             ;   in Loop: Header=BB6_144 Depth=2
	s_mov_b32 s11, -1
	s_mov_b32 s26, exec_lo
                                        ; implicit-def: $sgpr24
	v_cmpx_eq_u16_e64 0x80, v165
; %bb.1299:                             ;   in Loop: Header=BB6_144 Depth=2
	s_mov_b32 s24, 0x7f800001
	s_xor_b32 s11, exec_lo, -1
; %bb.1300:                             ;   in Loop: Header=BB6_144 Depth=2
	s_or_b32 exec_lo, exec_lo, s26
	s_delay_alu instid0(SALU_CYCLE_1)
	s_and_b32 s11, s11, exec_lo
                                        ; implicit-def: $vgpr165
	s_or_saveexec_b32 s25, s25
	v_mov_b32_e32 v164, s24
	s_xor_b32 exec_lo, exec_lo, s25
	s_cbranch_execz .LBB6_406
.LBB6_1301:                             ;   in Loop: Header=BB6_144 Depth=2
	v_cmp_ne_u16_e64 vcc_lo, 0, v165
	v_mov_b32_e32 v164, 0
	s_and_not1_b32 s11, s11, exec_lo
	s_delay_alu instid0(VALU_DEP_2) | instskip(NEXT) | instid1(SALU_CYCLE_1)
	s_and_b32 s24, vcc_lo, exec_lo
	s_or_b32 s11, s11, s24
	s_or_b32 exec_lo, exec_lo, s25
	s_and_saveexec_b32 s24, s11
	s_cbranch_execnz .LBB6_407
	s_branch .LBB6_408
.LBB6_1302:                             ;   in Loop: Header=BB6_144 Depth=2
	s_mov_b32 s11, -1
	s_mov_b32 s26, exec_lo
                                        ; implicit-def: $sgpr24
	v_cmpx_eq_u16_e64 0x80, v165
; %bb.1303:                             ;   in Loop: Header=BB6_144 Depth=2
	s_mov_b32 s24, 0x7f800001
	s_xor_b32 s11, exec_lo, -1
; %bb.1304:                             ;   in Loop: Header=BB6_144 Depth=2
	s_or_b32 exec_lo, exec_lo, s26
	s_delay_alu instid0(SALU_CYCLE_1)
	s_and_b32 s11, s11, exec_lo
	s_or_saveexec_b32 s25, s25
	v_mov_b32_e32 v164, s24
	s_xor_b32 exec_lo, exec_lo, s25
	s_cbranch_execz .LBB6_418
.LBB6_1305:                             ;   in Loop: Header=BB6_144 Depth=2
	v_cmp_ne_u16_e64 vcc_lo, 0, v165
	v_mov_b32_e32 v164, 0
	s_and_not1_b32 s11, s11, exec_lo
	s_delay_alu instid0(VALU_DEP_2) | instskip(NEXT) | instid1(SALU_CYCLE_1)
	s_and_b32 s24, vcc_lo, exec_lo
	s_or_b32 s11, s11, s24
	s_or_b32 exec_lo, exec_lo, s25
	s_and_saveexec_b32 s24, s11
	s_cbranch_execnz .LBB6_419
	s_branch .LBB6_420
.LBB6_1306:                             ;   in Loop: Header=BB6_144 Depth=2
	s_mov_b32 s11, -1
	s_mov_b32 s26, exec_lo
                                        ; implicit-def: $sgpr24
	v_cmpx_eq_u16_e64 0x80, v165
; %bb.1307:                             ;   in Loop: Header=BB6_144 Depth=2
	s_mov_b32 s24, 0x7f800001
	s_xor_b32 s11, exec_lo, -1
; %bb.1308:                             ;   in Loop: Header=BB6_144 Depth=2
	s_or_b32 exec_lo, exec_lo, s26
	s_delay_alu instid0(SALU_CYCLE_1)
	s_and_b32 s11, s11, exec_lo
	s_or_saveexec_b32 s25, s25
	v_mov_b32_e32 v166, s24
	s_xor_b32 exec_lo, exec_lo, s25
	s_cbranch_execz .LBB6_422
.LBB6_1309:                             ;   in Loop: Header=BB6_144 Depth=2
	v_cmp_ne_u16_e64 vcc_lo, 0, v165
	v_mov_b32_e32 v166, 0
	s_and_not1_b32 s11, s11, exec_lo
	s_delay_alu instid0(VALU_DEP_2) | instskip(NEXT) | instid1(SALU_CYCLE_1)
	s_and_b32 s24, vcc_lo, exec_lo
	s_or_b32 s11, s11, s24
	s_or_b32 exec_lo, exec_lo, s25
	s_and_saveexec_b32 s24, s11
	s_cbranch_execnz .LBB6_423
	s_branch .LBB6_424
.LBB6_1310:                             ;   in Loop: Header=BB6_144 Depth=2
	s_mov_b32 s11, -1
	s_mov_b32 s26, exec_lo
                                        ; implicit-def: $sgpr24
	v_cmpx_eq_u16_e64 0x80, v167
; %bb.1311:                             ;   in Loop: Header=BB6_144 Depth=2
	s_mov_b32 s24, 0x7f800001
	s_xor_b32 s11, exec_lo, -1
; %bb.1312:                             ;   in Loop: Header=BB6_144 Depth=2
	s_or_b32 exec_lo, exec_lo, s26
	s_delay_alu instid0(SALU_CYCLE_1)
	s_and_b32 s11, s11, exec_lo
                                        ; implicit-def: $vgpr167
	s_or_saveexec_b32 s25, s25
	v_mov_b32_e32 v165, s24
	s_xor_b32 exec_lo, exec_lo, s25
	s_cbranch_execz .LBB6_434
.LBB6_1313:                             ;   in Loop: Header=BB6_144 Depth=2
	v_cmp_ne_u16_e64 vcc_lo, 0, v167
	v_mov_b32_e32 v165, 0
	s_and_not1_b32 s11, s11, exec_lo
	s_delay_alu instid0(VALU_DEP_2) | instskip(NEXT) | instid1(SALU_CYCLE_1)
	s_and_b32 s24, vcc_lo, exec_lo
	s_or_b32 s11, s11, s24
	s_or_b32 exec_lo, exec_lo, s25
	s_and_saveexec_b32 s24, s11
	s_cbranch_execnz .LBB6_435
	s_branch .LBB6_436
.LBB6_1314:                             ;   in Loop: Header=BB6_144 Depth=2
	s_mov_b32 s11, -1
	s_mov_b32 s26, exec_lo
                                        ; implicit-def: $sgpr24
	v_cmpx_eq_u16_e64 0x80, v176
; %bb.1315:                             ;   in Loop: Header=BB6_144 Depth=2
	s_mov_b32 s24, 0x7f800001
	s_xor_b32 s11, exec_lo, -1
; %bb.1316:                             ;   in Loop: Header=BB6_144 Depth=2
	s_or_b32 exec_lo, exec_lo, s26
	s_delay_alu instid0(SALU_CYCLE_1)
	s_and_b32 s11, s11, exec_lo
                                        ; implicit-def: $vgpr176
	s_or_saveexec_b32 s25, s25
	v_mov_b32_e32 v167, s24
	s_xor_b32 exec_lo, exec_lo, s25
	s_cbranch_execz .LBB6_438
.LBB6_1317:                             ;   in Loop: Header=BB6_144 Depth=2
	v_cmp_ne_u16_e64 vcc_lo, 0, v176
	v_mov_b32_e32 v167, 0
	s_and_not1_b32 s11, s11, exec_lo
	s_delay_alu instid0(VALU_DEP_2) | instskip(NEXT) | instid1(SALU_CYCLE_1)
	s_and_b32 s24, vcc_lo, exec_lo
	s_or_b32 s11, s11, s24
	s_or_b32 exec_lo, exec_lo, s25
	s_and_saveexec_b32 s24, s11
	s_cbranch_execnz .LBB6_439
	s_branch .LBB6_440
.LBB6_1318:                             ;   in Loop: Header=BB6_144 Depth=2
	s_mov_b32 s11, -1
	s_mov_b32 s26, exec_lo
                                        ; implicit-def: $sgpr24
	v_cmpx_eq_u16_e64 0x80, v167
; %bb.1319:                             ;   in Loop: Header=BB6_144 Depth=2
	s_mov_b32 s24, 0x7f800001
	s_xor_b32 s11, exec_lo, -1
; %bb.1320:                             ;   in Loop: Header=BB6_144 Depth=2
	s_or_b32 exec_lo, exec_lo, s26
	s_delay_alu instid0(SALU_CYCLE_1)
	s_and_b32 s11, s11, exec_lo
	s_or_saveexec_b32 s25, s25
	v_mov_b32_e32 v166, s24
	s_xor_b32 exec_lo, exec_lo, s25
	s_cbranch_execz .LBB6_450
.LBB6_1321:                             ;   in Loop: Header=BB6_144 Depth=2
	v_cmp_ne_u16_e64 vcc_lo, 0, v167
	v_mov_b32_e32 v166, 0
	s_and_not1_b32 s11, s11, exec_lo
	s_delay_alu instid0(VALU_DEP_2) | instskip(NEXT) | instid1(SALU_CYCLE_1)
	s_and_b32 s24, vcc_lo, exec_lo
	s_or_b32 s11, s11, s24
	s_or_b32 exec_lo, exec_lo, s25
	s_and_saveexec_b32 s24, s11
	s_cbranch_execnz .LBB6_451
	s_branch .LBB6_452
.LBB6_1322:                             ;   in Loop: Header=BB6_144 Depth=2
	s_mov_b32 s11, -1
	s_mov_b32 s26, exec_lo
                                        ; implicit-def: $sgpr24
	v_cmpx_eq_u16_e32 0x80, v32
; %bb.1323:                             ;   in Loop: Header=BB6_144 Depth=2
	s_mov_b32 s24, 0x7f800001
	s_xor_b32 s11, exec_lo, -1
; %bb.1324:                             ;   in Loop: Header=BB6_144 Depth=2
	s_or_b32 exec_lo, exec_lo, s26
	s_delay_alu instid0(SALU_CYCLE_1)
	s_and_b32 s11, s11, exec_lo
	s_or_saveexec_b32 s25, s25
	v_mov_b32_e32 v167, s24
	s_xor_b32 exec_lo, exec_lo, s25
	s_cbranch_execz .LBB6_454
.LBB6_1325:                             ;   in Loop: Header=BB6_144 Depth=2
	v_cmp_ne_u16_e32 vcc_lo, 0, v32
	v_mov_b32_e32 v167, 0
	s_and_not1_b32 s11, s11, exec_lo
	s_and_b32 s24, vcc_lo, exec_lo
	s_delay_alu instid0(SALU_CYCLE_1)
	s_or_b32 s11, s11, s24
	s_or_b32 exec_lo, exec_lo, s25
	s_and_saveexec_b32 s24, s11
	s_cbranch_execnz .LBB6_455
	s_branch .LBB6_456
.LBB6_1326:                             ;   in Loop: Header=BB6_144 Depth=2
	s_mov_b32 s11, -1
	s_mov_b32 s26, exec_lo
                                        ; implicit-def: $sgpr24
	v_cmpx_eq_u16_e64 0x80, v166
; %bb.1327:                             ;   in Loop: Header=BB6_144 Depth=2
	s_mov_b32 s24, 0x7f800001
	s_xor_b32 s11, exec_lo, -1
; %bb.1328:                             ;   in Loop: Header=BB6_144 Depth=2
	s_or_b32 exec_lo, exec_lo, s26
	s_delay_alu instid0(SALU_CYCLE_1)
	s_and_b32 s11, s11, exec_lo
                                        ; implicit-def: $vgpr166
	s_or_saveexec_b32 s25, s25
	v_mov_b32_e32 v32, s24
	s_xor_b32 exec_lo, exec_lo, s25
	s_cbranch_execz .LBB6_466
.LBB6_1329:                             ;   in Loop: Header=BB6_144 Depth=2
	v_cmp_ne_u16_e64 vcc_lo, 0, v166
	v_mov_b32_e32 v32, 0
	s_and_not1_b32 s11, s11, exec_lo
	s_delay_alu instid0(VALU_DEP_2) | instskip(NEXT) | instid1(SALU_CYCLE_1)
	s_and_b32 s24, vcc_lo, exec_lo
	s_or_b32 s11, s11, s24
	s_or_b32 exec_lo, exec_lo, s25
	s_and_saveexec_b32 s24, s11
	s_cbranch_execnz .LBB6_467
	s_branch .LBB6_468
.LBB6_1330:                             ;   in Loop: Header=BB6_144 Depth=2
	s_mov_b32 s11, -1
	s_mov_b32 s26, exec_lo
                                        ; implicit-def: $sgpr24
	v_cmpx_eq_u16_e64 0x80, v167
; %bb.1331:                             ;   in Loop: Header=BB6_144 Depth=2
	s_mov_b32 s24, 0x7f800001
	s_xor_b32 s11, exec_lo, -1
; %bb.1332:                             ;   in Loop: Header=BB6_144 Depth=2
	s_or_b32 exec_lo, exec_lo, s26
	s_delay_alu instid0(SALU_CYCLE_1)
	s_and_b32 s11, s11, exec_lo
                                        ; implicit-def: $vgpr167
	s_or_saveexec_b32 s25, s25
	v_mov_b32_e32 v166, s24
	s_xor_b32 exec_lo, exec_lo, s25
	s_cbranch_execz .LBB6_470
.LBB6_1333:                             ;   in Loop: Header=BB6_144 Depth=2
	v_cmp_ne_u16_e64 vcc_lo, 0, v167
	v_mov_b32_e32 v166, 0
	s_and_not1_b32 s11, s11, exec_lo
	s_delay_alu instid0(VALU_DEP_2) | instskip(NEXT) | instid1(SALU_CYCLE_1)
	s_and_b32 s24, vcc_lo, exec_lo
	s_or_b32 s11, s11, s24
	s_or_b32 exec_lo, exec_lo, s25
	s_and_saveexec_b32 s24, s11
	s_cbranch_execnz .LBB6_471
	s_branch .LBB6_472
.LBB6_1334:                             ;   in Loop: Header=BB6_144 Depth=2
	s_mov_b32 s11, -1
	s_mov_b32 s26, exec_lo
                                        ; implicit-def: $sgpr24
	v_cmpx_eq_u16_e64 0x80, v167
; %bb.1335:                             ;   in Loop: Header=BB6_144 Depth=2
	s_mov_b32 s24, 0x7f800001
	s_xor_b32 s11, exec_lo, -1
; %bb.1336:                             ;   in Loop: Header=BB6_144 Depth=2
	s_or_b32 exec_lo, exec_lo, s26
	s_delay_alu instid0(SALU_CYCLE_1)
	s_and_b32 s11, s11, exec_lo
	s_or_saveexec_b32 s25, s25
	v_mov_b32_e32 v166, s24
	s_xor_b32 exec_lo, exec_lo, s25
	s_cbranch_execz .LBB6_482
.LBB6_1337:                             ;   in Loop: Header=BB6_144 Depth=2
	v_cmp_ne_u16_e64 vcc_lo, 0, v167
	v_mov_b32_e32 v166, 0
	s_and_not1_b32 s11, s11, exec_lo
	s_delay_alu instid0(VALU_DEP_2) | instskip(NEXT) | instid1(SALU_CYCLE_1)
	s_and_b32 s24, vcc_lo, exec_lo
	s_or_b32 s11, s11, s24
	s_or_b32 exec_lo, exec_lo, s25
	s_and_saveexec_b32 s24, s11
	s_cbranch_execnz .LBB6_483
	s_branch .LBB6_484
.LBB6_1338:                             ;   in Loop: Header=BB6_144 Depth=2
	s_mov_b32 s11, -1
	s_mov_b32 s26, exec_lo
                                        ; implicit-def: $sgpr24
	v_cmpx_eq_u16_e64 0x80, v167
; %bb.1339:                             ;   in Loop: Header=BB6_144 Depth=2
	s_mov_b32 s24, 0x7f800001
	s_xor_b32 s11, exec_lo, -1
; %bb.1340:                             ;   in Loop: Header=BB6_144 Depth=2
	s_or_b32 exec_lo, exec_lo, s26
	s_delay_alu instid0(SALU_CYCLE_1)
	s_and_b32 s11, s11, exec_lo
	s_or_saveexec_b32 s25, s25
	v_mov_b32_e32 v176, s24
	s_xor_b32 exec_lo, exec_lo, s25
	s_cbranch_execz .LBB6_486
.LBB6_1341:                             ;   in Loop: Header=BB6_144 Depth=2
	v_cmp_ne_u16_e64 vcc_lo, 0, v167
	v_mov_b32_e32 v176, 0
	s_and_not1_b32 s11, s11, exec_lo
	s_delay_alu instid0(VALU_DEP_2) | instskip(NEXT) | instid1(SALU_CYCLE_1)
	s_and_b32 s24, vcc_lo, exec_lo
	s_or_b32 s11, s11, s24
	s_or_b32 exec_lo, exec_lo, s25
	s_and_saveexec_b32 s24, s11
	s_cbranch_execnz .LBB6_487
	s_branch .LBB6_488
.LBB6_1342:                             ;   in Loop: Header=BB6_144 Depth=2
	s_mov_b32 s11, -1
	s_mov_b32 s26, exec_lo
                                        ; implicit-def: $sgpr24
	v_cmpx_eq_u16_e64 0x80, v177
; %bb.1343:                             ;   in Loop: Header=BB6_144 Depth=2
	s_mov_b32 s24, 0x7f800001
	s_xor_b32 s11, exec_lo, -1
; %bb.1344:                             ;   in Loop: Header=BB6_144 Depth=2
	s_or_b32 exec_lo, exec_lo, s26
	s_delay_alu instid0(SALU_CYCLE_1)
	s_and_b32 s11, s11, exec_lo
                                        ; implicit-def: $vgpr177
	s_or_saveexec_b32 s25, s25
	v_mov_b32_e32 v167, s24
	s_xor_b32 exec_lo, exec_lo, s25
	s_cbranch_execz .LBB6_498
.LBB6_1345:                             ;   in Loop: Header=BB6_144 Depth=2
	v_cmp_ne_u16_e64 vcc_lo, 0, v177
	v_mov_b32_e32 v167, 0
	s_and_not1_b32 s11, s11, exec_lo
	s_delay_alu instid0(VALU_DEP_2) | instskip(NEXT) | instid1(SALU_CYCLE_1)
	s_and_b32 s24, vcc_lo, exec_lo
	s_or_b32 s11, s11, s24
	s_or_b32 exec_lo, exec_lo, s25
	s_and_saveexec_b32 s24, s11
	s_cbranch_execnz .LBB6_499
	s_branch .LBB6_500
.LBB6_1346:                             ;   in Loop: Header=BB6_144 Depth=2
	s_mov_b32 s11, -1
	s_mov_b32 s26, exec_lo
                                        ; implicit-def: $sgpr24
	v_cmpx_eq_u16_e64 0x80, v178
; %bb.1347:                             ;   in Loop: Header=BB6_144 Depth=2
	s_mov_b32 s24, 0x7f800001
	s_xor_b32 s11, exec_lo, -1
; %bb.1348:                             ;   in Loop: Header=BB6_144 Depth=2
	s_or_b32 exec_lo, exec_lo, s26
	s_delay_alu instid0(SALU_CYCLE_1)
	s_and_b32 s11, s11, exec_lo
                                        ; implicit-def: $vgpr178
	s_or_saveexec_b32 s25, s25
	v_mov_b32_e32 v177, s24
	s_xor_b32 exec_lo, exec_lo, s25
	s_cbranch_execz .LBB6_502
.LBB6_1349:                             ;   in Loop: Header=BB6_144 Depth=2
	v_cmp_ne_u16_e64 vcc_lo, 0, v178
	v_mov_b32_e32 v177, 0
	s_and_not1_b32 s11, s11, exec_lo
	s_delay_alu instid0(VALU_DEP_2) | instskip(NEXT) | instid1(SALU_CYCLE_1)
	s_and_b32 s24, vcc_lo, exec_lo
	s_or_b32 s11, s11, s24
	s_or_b32 exec_lo, exec_lo, s25
	s_and_saveexec_b32 s24, s11
	s_cbranch_execnz .LBB6_503
	s_branch .LBB6_504
.LBB6_1350:                             ;   in Loop: Header=BB6_144 Depth=2
	s_mov_b32 s11, -1
	s_mov_b32 s26, exec_lo
                                        ; implicit-def: $sgpr24
	v_cmpx_eq_u16_e64 0x80, v177
; %bb.1351:                             ;   in Loop: Header=BB6_144 Depth=2
	s_mov_b32 s24, 0x7f800001
	s_xor_b32 s11, exec_lo, -1
; %bb.1352:                             ;   in Loop: Header=BB6_144 Depth=2
	s_or_b32 exec_lo, exec_lo, s26
	s_delay_alu instid0(SALU_CYCLE_1)
	s_and_b32 s11, s11, exec_lo
	s_or_saveexec_b32 s25, s25
	v_mov_b32_e32 v176, s24
	s_xor_b32 exec_lo, exec_lo, s25
	s_cbranch_execz .LBB6_514
.LBB6_1353:                             ;   in Loop: Header=BB6_144 Depth=2
	v_cmp_ne_u16_e64 vcc_lo, 0, v177
	v_mov_b32_e32 v176, 0
	s_and_not1_b32 s11, s11, exec_lo
	s_delay_alu instid0(VALU_DEP_2) | instskip(NEXT) | instid1(SALU_CYCLE_1)
	s_and_b32 s24, vcc_lo, exec_lo
	s_or_b32 s11, s11, s24
	s_or_b32 exec_lo, exec_lo, s25
	s_and_saveexec_b32 s24, s11
	s_cbranch_execnz .LBB6_515
	s_branch .LBB6_516
.LBB6_1354:                             ;   in Loop: Header=BB6_144 Depth=2
	s_mov_b32 s11, -1
	s_mov_b32 s26, exec_lo
                                        ; implicit-def: $sgpr24
	v_cmpx_eq_u16_e32 0x80, v33
; %bb.1355:                             ;   in Loop: Header=BB6_144 Depth=2
	s_mov_b32 s24, 0x7f800001
	s_xor_b32 s11, exec_lo, -1
; %bb.1356:                             ;   in Loop: Header=BB6_144 Depth=2
	s_or_b32 exec_lo, exec_lo, s26
	s_delay_alu instid0(SALU_CYCLE_1)
	s_and_b32 s11, s11, exec_lo
	s_or_saveexec_b32 s25, s25
	v_mov_b32_e32 v177, s24
	s_xor_b32 exec_lo, exec_lo, s25
	s_cbranch_execz .LBB6_518
.LBB6_1357:                             ;   in Loop: Header=BB6_144 Depth=2
	v_cmp_ne_u16_e32 vcc_lo, 0, v33
	v_mov_b32_e32 v177, 0
	s_and_not1_b32 s11, s11, exec_lo
	s_and_b32 s24, vcc_lo, exec_lo
	s_delay_alu instid0(SALU_CYCLE_1)
	s_or_b32 s11, s11, s24
	s_or_b32 exec_lo, exec_lo, s25
	s_and_saveexec_b32 s24, s11
	s_cbranch_execnz .LBB6_519
	s_branch .LBB6_520
.LBB6_1358:                             ;   in Loop: Header=BB6_144 Depth=2
	s_mov_b32 s11, -1
	s_mov_b32 s26, exec_lo
                                        ; implicit-def: $sgpr24
	v_cmpx_eq_u16_e64 0x80, v176
; %bb.1359:                             ;   in Loop: Header=BB6_144 Depth=2
	s_mov_b32 s24, 0x7f800001
	s_xor_b32 s11, exec_lo, -1
; %bb.1360:                             ;   in Loop: Header=BB6_144 Depth=2
	s_or_b32 exec_lo, exec_lo, s26
	s_delay_alu instid0(SALU_CYCLE_1)
	s_and_b32 s11, s11, exec_lo
                                        ; implicit-def: $vgpr176
	s_or_saveexec_b32 s25, s25
	v_mov_b32_e32 v33, s24
	s_xor_b32 exec_lo, exec_lo, s25
	s_cbranch_execz .LBB6_530
.LBB6_1361:                             ;   in Loop: Header=BB6_144 Depth=2
	v_cmp_ne_u16_e64 vcc_lo, 0, v176
	v_mov_b32_e32 v33, 0
	s_and_not1_b32 s11, s11, exec_lo
	s_delay_alu instid0(VALU_DEP_2) | instskip(NEXT) | instid1(SALU_CYCLE_1)
	s_and_b32 s24, vcc_lo, exec_lo
	s_or_b32 s11, s11, s24
	s_or_b32 exec_lo, exec_lo, s25
	s_and_saveexec_b32 s24, s11
	s_cbranch_execnz .LBB6_531
	s_branch .LBB6_532
.LBB6_1362:                             ;   in Loop: Header=BB6_144 Depth=2
	s_mov_b32 s11, -1
	s_mov_b32 s26, exec_lo
                                        ; implicit-def: $sgpr24
	v_cmpx_eq_u16_e64 0x80, v177
; %bb.1363:                             ;   in Loop: Header=BB6_144 Depth=2
	s_mov_b32 s24, 0x7f800001
	s_xor_b32 s11, exec_lo, -1
; %bb.1364:                             ;   in Loop: Header=BB6_144 Depth=2
	s_or_b32 exec_lo, exec_lo, s26
	s_delay_alu instid0(SALU_CYCLE_1)
	s_and_b32 s11, s11, exec_lo
                                        ; implicit-def: $vgpr177
	s_or_saveexec_b32 s25, s25
	v_mov_b32_e32 v176, s24
	s_xor_b32 exec_lo, exec_lo, s25
	s_cbranch_execz .LBB6_534
.LBB6_1365:                             ;   in Loop: Header=BB6_144 Depth=2
	v_cmp_ne_u16_e64 vcc_lo, 0, v177
	v_mov_b32_e32 v176, 0
	s_and_not1_b32 s11, s11, exec_lo
	s_delay_alu instid0(VALU_DEP_2) | instskip(NEXT) | instid1(SALU_CYCLE_1)
	s_and_b32 s24, vcc_lo, exec_lo
	s_or_b32 s11, s11, s24
	s_or_b32 exec_lo, exec_lo, s25
	s_and_saveexec_b32 s24, s11
	s_cbranch_execnz .LBB6_535
	s_branch .LBB6_536
.LBB6_1366:                             ;   in Loop: Header=BB6_144 Depth=2
	s_mov_b32 s11, -1
	s_mov_b32 s26, exec_lo
                                        ; implicit-def: $sgpr24
	v_cmpx_eq_u16_e64 0x80, v177
; %bb.1367:                             ;   in Loop: Header=BB6_144 Depth=2
	s_mov_b32 s24, 0x7f800001
	s_xor_b32 s11, exec_lo, -1
; %bb.1368:                             ;   in Loop: Header=BB6_144 Depth=2
	s_or_b32 exec_lo, exec_lo, s26
	s_delay_alu instid0(SALU_CYCLE_1)
	s_and_b32 s11, s11, exec_lo
	s_or_saveexec_b32 s25, s25
	v_mov_b32_e32 v176, s24
	s_xor_b32 exec_lo, exec_lo, s25
	s_cbranch_execz .LBB6_546
.LBB6_1369:                             ;   in Loop: Header=BB6_144 Depth=2
	v_cmp_ne_u16_e64 vcc_lo, 0, v177
	v_mov_b32_e32 v176, 0
	s_and_not1_b32 s11, s11, exec_lo
	s_delay_alu instid0(VALU_DEP_2) | instskip(NEXT) | instid1(SALU_CYCLE_1)
	s_and_b32 s24, vcc_lo, exec_lo
	s_or_b32 s11, s11, s24
	s_or_b32 exec_lo, exec_lo, s25
	s_and_saveexec_b32 s24, s11
	s_cbranch_execnz .LBB6_547
	s_branch .LBB6_548
.LBB6_1370:                             ;   in Loop: Header=BB6_144 Depth=2
	s_mov_b32 s11, -1
	s_mov_b32 s26, exec_lo
                                        ; implicit-def: $sgpr24
	v_cmpx_eq_u16_e64 0x80, v177
; %bb.1371:                             ;   in Loop: Header=BB6_144 Depth=2
	s_mov_b32 s24, 0x7f800001
	s_xor_b32 s11, exec_lo, -1
; %bb.1372:                             ;   in Loop: Header=BB6_144 Depth=2
	s_or_b32 exec_lo, exec_lo, s26
	s_delay_alu instid0(SALU_CYCLE_1)
	s_and_b32 s11, s11, exec_lo
	s_or_saveexec_b32 s25, s25
	v_mov_b32_e32 v178, s24
	s_xor_b32 exec_lo, exec_lo, s25
	s_cbranch_execz .LBB6_550
.LBB6_1373:                             ;   in Loop: Header=BB6_144 Depth=2
	v_cmp_ne_u16_e64 vcc_lo, 0, v177
	v_mov_b32_e32 v178, 0
	s_and_not1_b32 s11, s11, exec_lo
	s_delay_alu instid0(VALU_DEP_2) | instskip(NEXT) | instid1(SALU_CYCLE_1)
	s_and_b32 s24, vcc_lo, exec_lo
	s_or_b32 s11, s11, s24
	s_or_b32 exec_lo, exec_lo, s25
	s_and_saveexec_b32 s24, s11
	s_cbranch_execnz .LBB6_551
	s_branch .LBB6_552
.LBB6_1374:                             ;   in Loop: Header=BB6_144 Depth=2
	s_mov_b32 s11, -1
	s_mov_b32 s26, exec_lo
                                        ; implicit-def: $sgpr24
	v_cmpx_eq_u16_e64 0x80, v179
; %bb.1375:                             ;   in Loop: Header=BB6_144 Depth=2
	s_mov_b32 s24, 0x7f800001
	s_xor_b32 s11, exec_lo, -1
; %bb.1376:                             ;   in Loop: Header=BB6_144 Depth=2
	s_or_b32 exec_lo, exec_lo, s26
	s_delay_alu instid0(SALU_CYCLE_1)
	s_and_b32 s11, s11, exec_lo
                                        ; implicit-def: $vgpr179
	s_or_saveexec_b32 s25, s25
	v_mov_b32_e32 v177, s24
	s_xor_b32 exec_lo, exec_lo, s25
	s_cbranch_execz .LBB6_562
.LBB6_1377:                             ;   in Loop: Header=BB6_144 Depth=2
	v_cmp_ne_u16_e64 vcc_lo, 0, v179
	v_mov_b32_e32 v177, 0
	s_and_not1_b32 s11, s11, exec_lo
	s_delay_alu instid0(VALU_DEP_2) | instskip(NEXT) | instid1(SALU_CYCLE_1)
	s_and_b32 s24, vcc_lo, exec_lo
	s_or_b32 s11, s11, s24
	s_or_b32 exec_lo, exec_lo, s25
	s_and_saveexec_b32 s24, s11
	s_cbranch_execnz .LBB6_563
	s_branch .LBB6_564
.LBB6_1378:                             ;   in Loop: Header=BB6_144 Depth=2
	s_mov_b32 s11, -1
	s_mov_b32 s26, exec_lo
                                        ; implicit-def: $sgpr24
	v_cmpx_eq_u16_e64 0x80, v180
; %bb.1379:                             ;   in Loop: Header=BB6_144 Depth=2
	s_mov_b32 s24, 0x7f800001
	s_xor_b32 s11, exec_lo, -1
; %bb.1380:                             ;   in Loop: Header=BB6_144 Depth=2
	s_or_b32 exec_lo, exec_lo, s26
	s_delay_alu instid0(SALU_CYCLE_1)
	s_and_b32 s11, s11, exec_lo
                                        ; implicit-def: $vgpr180
	s_or_saveexec_b32 s25, s25
	v_mov_b32_e32 v179, s24
	s_xor_b32 exec_lo, exec_lo, s25
	s_cbranch_execz .LBB6_566
.LBB6_1381:                             ;   in Loop: Header=BB6_144 Depth=2
	v_cmp_ne_u16_e64 vcc_lo, 0, v180
	v_mov_b32_e32 v179, 0
	s_and_not1_b32 s11, s11, exec_lo
	s_delay_alu instid0(VALU_DEP_2) | instskip(NEXT) | instid1(SALU_CYCLE_1)
	s_and_b32 s24, vcc_lo, exec_lo
	s_or_b32 s11, s11, s24
	s_or_b32 exec_lo, exec_lo, s25
	s_and_saveexec_b32 s24, s11
	s_cbranch_execnz .LBB6_567
	s_branch .LBB6_568
.LBB6_1382:                             ;   in Loop: Header=BB6_144 Depth=2
	s_mov_b32 s11, -1
	s_mov_b32 s26, exec_lo
                                        ; implicit-def: $sgpr24
	v_cmpx_eq_u16_e64 0x80, v179
; %bb.1383:                             ;   in Loop: Header=BB6_144 Depth=2
	s_mov_b32 s24, 0x7f800001
	s_xor_b32 s11, exec_lo, -1
; %bb.1384:                             ;   in Loop: Header=BB6_144 Depth=2
	s_or_b32 exec_lo, exec_lo, s26
	s_delay_alu instid0(SALU_CYCLE_1)
	s_and_b32 s11, s11, exec_lo
	s_or_saveexec_b32 s25, s25
	v_mov_b32_e32 v178, s24
	s_xor_b32 exec_lo, exec_lo, s25
	s_cbranch_execz .LBB6_578
.LBB6_1385:                             ;   in Loop: Header=BB6_144 Depth=2
	v_cmp_ne_u16_e64 vcc_lo, 0, v179
	v_mov_b32_e32 v178, 0
	s_and_not1_b32 s11, s11, exec_lo
	s_delay_alu instid0(VALU_DEP_2) | instskip(NEXT) | instid1(SALU_CYCLE_1)
	s_and_b32 s24, vcc_lo, exec_lo
	s_or_b32 s11, s11, s24
	s_or_b32 exec_lo, exec_lo, s25
	s_and_saveexec_b32 s24, s11
	s_cbranch_execnz .LBB6_579
	s_branch .LBB6_580
.LBB6_1386:                             ;   in Loop: Header=BB6_144 Depth=2
	s_mov_b32 s11, -1
	s_mov_b32 s26, exec_lo
                                        ; implicit-def: $sgpr24
	v_cmpx_eq_u16_e32 0x80, v34
; %bb.1387:                             ;   in Loop: Header=BB6_144 Depth=2
	s_mov_b32 s24, 0x7f800001
	s_xor_b32 s11, exec_lo, -1
; %bb.1388:                             ;   in Loop: Header=BB6_144 Depth=2
	s_or_b32 exec_lo, exec_lo, s26
	s_delay_alu instid0(SALU_CYCLE_1)
	s_and_b32 s11, s11, exec_lo
	s_or_saveexec_b32 s25, s25
	v_mov_b32_e32 v179, s24
	s_xor_b32 exec_lo, exec_lo, s25
	s_cbranch_execz .LBB6_582
.LBB6_1389:                             ;   in Loop: Header=BB6_144 Depth=2
	v_cmp_ne_u16_e32 vcc_lo, 0, v34
	v_mov_b32_e32 v179, 0
	s_and_not1_b32 s11, s11, exec_lo
	s_and_b32 s24, vcc_lo, exec_lo
	s_delay_alu instid0(SALU_CYCLE_1)
	s_or_b32 s11, s11, s24
	s_or_b32 exec_lo, exec_lo, s25
	s_and_saveexec_b32 s24, s11
	s_cbranch_execnz .LBB6_583
	s_branch .LBB6_584
.LBB6_1390:                             ;   in Loop: Header=BB6_144 Depth=2
	s_mov_b32 s11, -1
	s_mov_b32 s26, exec_lo
                                        ; implicit-def: $sgpr24
	v_cmpx_eq_u16_e64 0x80, v178
; %bb.1391:                             ;   in Loop: Header=BB6_144 Depth=2
	s_mov_b32 s24, 0x7f800001
	s_xor_b32 s11, exec_lo, -1
; %bb.1392:                             ;   in Loop: Header=BB6_144 Depth=2
	s_or_b32 exec_lo, exec_lo, s26
	s_delay_alu instid0(SALU_CYCLE_1)
	s_and_b32 s11, s11, exec_lo
                                        ; implicit-def: $vgpr178
	s_or_saveexec_b32 s25, s25
	v_mov_b32_e32 v34, s24
	s_xor_b32 exec_lo, exec_lo, s25
	s_cbranch_execz .LBB6_594
.LBB6_1393:                             ;   in Loop: Header=BB6_144 Depth=2
	v_cmp_ne_u16_e64 vcc_lo, 0, v178
	v_mov_b32_e32 v34, 0
	s_and_not1_b32 s11, s11, exec_lo
	s_delay_alu instid0(VALU_DEP_2) | instskip(NEXT) | instid1(SALU_CYCLE_1)
	s_and_b32 s24, vcc_lo, exec_lo
	s_or_b32 s11, s11, s24
	s_or_b32 exec_lo, exec_lo, s25
	s_and_saveexec_b32 s24, s11
	s_cbranch_execnz .LBB6_595
	s_branch .LBB6_596
.LBB6_1394:                             ;   in Loop: Header=BB6_144 Depth=2
	s_mov_b32 s11, -1
	s_mov_b32 s26, exec_lo
                                        ; implicit-def: $sgpr24
	v_cmpx_eq_u16_e64 0x80, v179
; %bb.1395:                             ;   in Loop: Header=BB6_144 Depth=2
	s_mov_b32 s24, 0x7f800001
	s_xor_b32 s11, exec_lo, -1
; %bb.1396:                             ;   in Loop: Header=BB6_144 Depth=2
	s_or_b32 exec_lo, exec_lo, s26
	s_delay_alu instid0(SALU_CYCLE_1)
	s_and_b32 s11, s11, exec_lo
                                        ; implicit-def: $vgpr179
	s_or_saveexec_b32 s25, s25
	v_mov_b32_e32 v178, s24
	s_xor_b32 exec_lo, exec_lo, s25
	s_cbranch_execz .LBB6_598
.LBB6_1397:                             ;   in Loop: Header=BB6_144 Depth=2
	v_cmp_ne_u16_e64 vcc_lo, 0, v179
	v_mov_b32_e32 v178, 0
	s_and_not1_b32 s11, s11, exec_lo
	s_delay_alu instid0(VALU_DEP_2) | instskip(NEXT) | instid1(SALU_CYCLE_1)
	s_and_b32 s24, vcc_lo, exec_lo
	s_or_b32 s11, s11, s24
	s_or_b32 exec_lo, exec_lo, s25
	s_and_saveexec_b32 s24, s11
	s_cbranch_execnz .LBB6_599
	s_branch .LBB6_600
.LBB6_1398:                             ;   in Loop: Header=BB6_144 Depth=2
	s_mov_b32 s11, -1
	s_mov_b32 s26, exec_lo
                                        ; implicit-def: $sgpr24
	v_cmpx_eq_u16_e64 0x80, v179
; %bb.1399:                             ;   in Loop: Header=BB6_144 Depth=2
	s_mov_b32 s24, 0x7f800001
	s_xor_b32 s11, exec_lo, -1
; %bb.1400:                             ;   in Loop: Header=BB6_144 Depth=2
	s_or_b32 exec_lo, exec_lo, s26
	s_delay_alu instid0(SALU_CYCLE_1)
	s_and_b32 s11, s11, exec_lo
	s_or_saveexec_b32 s25, s25
	v_mov_b32_e32 v178, s24
	s_xor_b32 exec_lo, exec_lo, s25
	s_cbranch_execz .LBB6_610
.LBB6_1401:                             ;   in Loop: Header=BB6_144 Depth=2
	v_cmp_ne_u16_e64 vcc_lo, 0, v179
	v_mov_b32_e32 v178, 0
	s_and_not1_b32 s11, s11, exec_lo
	s_delay_alu instid0(VALU_DEP_2) | instskip(NEXT) | instid1(SALU_CYCLE_1)
	s_and_b32 s24, vcc_lo, exec_lo
	s_or_b32 s11, s11, s24
	s_or_b32 exec_lo, exec_lo, s25
	s_and_saveexec_b32 s24, s11
	s_cbranch_execnz .LBB6_611
	s_branch .LBB6_612
.LBB6_1402:                             ;   in Loop: Header=BB6_144 Depth=2
	s_mov_b32 s11, -1
	s_mov_b32 s26, exec_lo
                                        ; implicit-def: $sgpr24
	v_cmpx_eq_u16_e64 0x80, v179
; %bb.1403:                             ;   in Loop: Header=BB6_144 Depth=2
	s_mov_b32 s24, 0x7f800001
	s_xor_b32 s11, exec_lo, -1
; %bb.1404:                             ;   in Loop: Header=BB6_144 Depth=2
	s_or_b32 exec_lo, exec_lo, s26
	s_delay_alu instid0(SALU_CYCLE_1)
	s_and_b32 s11, s11, exec_lo
	s_or_saveexec_b32 s25, s25
	v_mov_b32_e32 v180, s24
	s_xor_b32 exec_lo, exec_lo, s25
	s_cbranch_execz .LBB6_614
.LBB6_1405:                             ;   in Loop: Header=BB6_144 Depth=2
	v_cmp_ne_u16_e64 vcc_lo, 0, v179
	v_mov_b32_e32 v180, 0
	s_and_not1_b32 s11, s11, exec_lo
	s_delay_alu instid0(VALU_DEP_2) | instskip(NEXT) | instid1(SALU_CYCLE_1)
	s_and_b32 s24, vcc_lo, exec_lo
	s_or_b32 s11, s11, s24
	s_or_b32 exec_lo, exec_lo, s25
	s_and_saveexec_b32 s24, s11
	s_cbranch_execnz .LBB6_615
	s_branch .LBB6_616
.LBB6_1406:                             ;   in Loop: Header=BB6_144 Depth=2
	s_mov_b32 s11, -1
	s_mov_b32 s26, exec_lo
                                        ; implicit-def: $sgpr24
	v_cmpx_eq_u16_e64 0x80, v181
; %bb.1407:                             ;   in Loop: Header=BB6_144 Depth=2
	s_mov_b32 s24, 0x7f800001
	s_xor_b32 s11, exec_lo, -1
; %bb.1408:                             ;   in Loop: Header=BB6_144 Depth=2
	s_or_b32 exec_lo, exec_lo, s26
	s_delay_alu instid0(SALU_CYCLE_1)
	s_and_b32 s11, s11, exec_lo
                                        ; implicit-def: $vgpr181
	s_or_saveexec_b32 s25, s25
	v_mov_b32_e32 v179, s24
	s_xor_b32 exec_lo, exec_lo, s25
	s_cbranch_execz .LBB6_626
.LBB6_1409:                             ;   in Loop: Header=BB6_144 Depth=2
	v_cmp_ne_u16_e64 vcc_lo, 0, v181
	v_mov_b32_e32 v179, 0
	s_and_not1_b32 s11, s11, exec_lo
	s_delay_alu instid0(VALU_DEP_2) | instskip(NEXT) | instid1(SALU_CYCLE_1)
	s_and_b32 s24, vcc_lo, exec_lo
	s_or_b32 s11, s11, s24
	s_or_b32 exec_lo, exec_lo, s25
	s_and_saveexec_b32 s24, s11
	s_cbranch_execnz .LBB6_627
	s_branch .LBB6_628
.LBB6_1410:                             ;   in Loop: Header=BB6_144 Depth=2
	s_mov_b32 s11, -1
	s_mov_b32 s26, exec_lo
                                        ; implicit-def: $sgpr24
	v_cmpx_eq_u16_e64 0x80, v182
; %bb.1411:                             ;   in Loop: Header=BB6_144 Depth=2
	s_mov_b32 s24, 0x7f800001
	s_xor_b32 s11, exec_lo, -1
; %bb.1412:                             ;   in Loop: Header=BB6_144 Depth=2
	s_or_b32 exec_lo, exec_lo, s26
	s_delay_alu instid0(SALU_CYCLE_1)
	s_and_b32 s11, s11, exec_lo
                                        ; implicit-def: $vgpr182
	s_or_saveexec_b32 s25, s25
	v_mov_b32_e32 v181, s24
	s_xor_b32 exec_lo, exec_lo, s25
	s_cbranch_execz .LBB6_630
.LBB6_1413:                             ;   in Loop: Header=BB6_144 Depth=2
	v_cmp_ne_u16_e64 vcc_lo, 0, v182
	v_mov_b32_e32 v181, 0
	s_and_not1_b32 s11, s11, exec_lo
	s_delay_alu instid0(VALU_DEP_2) | instskip(NEXT) | instid1(SALU_CYCLE_1)
	s_and_b32 s24, vcc_lo, exec_lo
	s_or_b32 s11, s11, s24
	s_or_b32 exec_lo, exec_lo, s25
	s_and_saveexec_b32 s24, s11
	s_cbranch_execnz .LBB6_631
	s_branch .LBB6_632
.LBB6_1414:                             ;   in Loop: Header=BB6_144 Depth=2
	s_mov_b32 s11, -1
	s_mov_b32 s26, exec_lo
                                        ; implicit-def: $sgpr24
	v_cmpx_eq_u16_e64 0x80, v181
; %bb.1415:                             ;   in Loop: Header=BB6_144 Depth=2
	s_mov_b32 s24, 0x7f800001
	s_xor_b32 s11, exec_lo, -1
; %bb.1416:                             ;   in Loop: Header=BB6_144 Depth=2
	s_or_b32 exec_lo, exec_lo, s26
	s_delay_alu instid0(SALU_CYCLE_1)
	s_and_b32 s11, s11, exec_lo
	s_or_saveexec_b32 s25, s25
	v_mov_b32_e32 v180, s24
	s_xor_b32 exec_lo, exec_lo, s25
	s_cbranch_execz .LBB6_642
.LBB6_1417:                             ;   in Loop: Header=BB6_144 Depth=2
	v_cmp_ne_u16_e64 vcc_lo, 0, v181
	v_mov_b32_e32 v180, 0
	s_and_not1_b32 s11, s11, exec_lo
	s_delay_alu instid0(VALU_DEP_2) | instskip(NEXT) | instid1(SALU_CYCLE_1)
	s_and_b32 s24, vcc_lo, exec_lo
	s_or_b32 s11, s11, s24
	s_or_b32 exec_lo, exec_lo, s25
	s_and_saveexec_b32 s24, s11
	s_cbranch_execnz .LBB6_643
	s_branch .LBB6_644
.LBB6_1418:                             ;   in Loop: Header=BB6_144 Depth=2
	s_mov_b32 s11, -1
	s_mov_b32 s26, exec_lo
                                        ; implicit-def: $sgpr24
	v_cmpx_eq_u16_e32 0x80, v35
; %bb.1419:                             ;   in Loop: Header=BB6_144 Depth=2
	s_mov_b32 s24, 0x7f800001
	s_xor_b32 s11, exec_lo, -1
; %bb.1420:                             ;   in Loop: Header=BB6_144 Depth=2
	s_or_b32 exec_lo, exec_lo, s26
	s_delay_alu instid0(SALU_CYCLE_1)
	s_and_b32 s11, s11, exec_lo
	s_or_saveexec_b32 s25, s25
	v_mov_b32_e32 v181, s24
	s_xor_b32 exec_lo, exec_lo, s25
	s_cbranch_execz .LBB6_646
.LBB6_1421:                             ;   in Loop: Header=BB6_144 Depth=2
	v_cmp_ne_u16_e32 vcc_lo, 0, v35
	v_mov_b32_e32 v181, 0
	s_and_not1_b32 s11, s11, exec_lo
	s_and_b32 s24, vcc_lo, exec_lo
	s_delay_alu instid0(SALU_CYCLE_1)
	s_or_b32 s11, s11, s24
	s_or_b32 exec_lo, exec_lo, s25
	s_and_saveexec_b32 s24, s11
	s_cbranch_execnz .LBB6_647
	s_branch .LBB6_648
.LBB6_1422:                             ;   in Loop: Header=BB6_144 Depth=2
	s_mov_b32 s11, -1
	s_mov_b32 s26, exec_lo
                                        ; implicit-def: $sgpr24
	v_cmpx_eq_u16_e64 0x80, v180
; %bb.1423:                             ;   in Loop: Header=BB6_144 Depth=2
	s_mov_b32 s24, 0x7f800001
	s_xor_b32 s11, exec_lo, -1
; %bb.1424:                             ;   in Loop: Header=BB6_144 Depth=2
	s_or_b32 exec_lo, exec_lo, s26
	s_delay_alu instid0(SALU_CYCLE_1)
	s_and_b32 s11, s11, exec_lo
                                        ; implicit-def: $vgpr180
	s_or_saveexec_b32 s25, s25
	v_mov_b32_e32 v35, s24
	s_xor_b32 exec_lo, exec_lo, s25
	s_cbranch_execz .LBB6_658
.LBB6_1425:                             ;   in Loop: Header=BB6_144 Depth=2
	v_cmp_ne_u16_e64 vcc_lo, 0, v180
	v_mov_b32_e32 v35, 0
	s_and_not1_b32 s11, s11, exec_lo
	s_delay_alu instid0(VALU_DEP_2) | instskip(NEXT) | instid1(SALU_CYCLE_1)
	s_and_b32 s24, vcc_lo, exec_lo
	s_or_b32 s11, s11, s24
	s_or_b32 exec_lo, exec_lo, s25
	s_and_saveexec_b32 s24, s11
	s_cbranch_execnz .LBB6_659
	s_branch .LBB6_660
.LBB6_1426:                             ;   in Loop: Header=BB6_144 Depth=2
	s_mov_b32 s11, -1
	s_mov_b32 s26, exec_lo
                                        ; implicit-def: $sgpr24
	v_cmpx_eq_u16_e64 0x80, v181
; %bb.1427:                             ;   in Loop: Header=BB6_144 Depth=2
	s_mov_b32 s24, 0x7f800001
	s_xor_b32 s11, exec_lo, -1
; %bb.1428:                             ;   in Loop: Header=BB6_144 Depth=2
	s_or_b32 exec_lo, exec_lo, s26
	s_delay_alu instid0(SALU_CYCLE_1)
	s_and_b32 s11, s11, exec_lo
                                        ; implicit-def: $vgpr181
	s_or_saveexec_b32 s25, s25
	v_mov_b32_e32 v180, s24
	s_xor_b32 exec_lo, exec_lo, s25
	s_cbranch_execz .LBB6_662
.LBB6_1429:                             ;   in Loop: Header=BB6_144 Depth=2
	v_cmp_ne_u16_e64 vcc_lo, 0, v181
	v_mov_b32_e32 v180, 0
	s_and_not1_b32 s11, s11, exec_lo
	s_delay_alu instid0(VALU_DEP_2) | instskip(NEXT) | instid1(SALU_CYCLE_1)
	s_and_b32 s24, vcc_lo, exec_lo
	s_or_b32 s11, s11, s24
	s_or_b32 exec_lo, exec_lo, s25
	s_and_saveexec_b32 s24, s11
	s_cbranch_execnz .LBB6_663
	s_branch .LBB6_664
.LBB6_1430:                             ;   in Loop: Header=BB6_144 Depth=2
	s_mov_b32 s11, -1
	s_mov_b32 s26, exec_lo
                                        ; implicit-def: $sgpr24
	v_cmpx_eq_u16_e64 0x80, v181
; %bb.1431:                             ;   in Loop: Header=BB6_144 Depth=2
	s_mov_b32 s24, 0x7f800001
	s_xor_b32 s11, exec_lo, -1
; %bb.1432:                             ;   in Loop: Header=BB6_144 Depth=2
	s_or_b32 exec_lo, exec_lo, s26
	s_delay_alu instid0(SALU_CYCLE_1)
	s_and_b32 s11, s11, exec_lo
	s_or_saveexec_b32 s25, s25
	v_mov_b32_e32 v180, s24
	s_xor_b32 exec_lo, exec_lo, s25
	s_cbranch_execz .LBB6_674
.LBB6_1433:                             ;   in Loop: Header=BB6_144 Depth=2
	v_cmp_ne_u16_e64 vcc_lo, 0, v181
	v_mov_b32_e32 v180, 0
	s_and_not1_b32 s11, s11, exec_lo
	s_delay_alu instid0(VALU_DEP_2) | instskip(NEXT) | instid1(SALU_CYCLE_1)
	s_and_b32 s24, vcc_lo, exec_lo
	s_or_b32 s11, s11, s24
	s_or_b32 exec_lo, exec_lo, s25
	s_and_saveexec_b32 s24, s11
	s_cbranch_execnz .LBB6_675
	s_branch .LBB6_676
.LBB6_1434:                             ;   in Loop: Header=BB6_144 Depth=2
	s_mov_b32 s11, -1
	s_mov_b32 s26, exec_lo
                                        ; implicit-def: $sgpr24
	v_cmpx_eq_u16_e64 0x80, v181
; %bb.1435:                             ;   in Loop: Header=BB6_144 Depth=2
	s_mov_b32 s24, 0x7f800001
	s_xor_b32 s11, exec_lo, -1
; %bb.1436:                             ;   in Loop: Header=BB6_144 Depth=2
	s_or_b32 exec_lo, exec_lo, s26
	s_delay_alu instid0(SALU_CYCLE_1)
	s_and_b32 s11, s11, exec_lo
	s_or_saveexec_b32 s25, s25
	v_mov_b32_e32 v182, s24
	s_xor_b32 exec_lo, exec_lo, s25
	s_cbranch_execz .LBB6_678
.LBB6_1437:                             ;   in Loop: Header=BB6_144 Depth=2
	v_cmp_ne_u16_e64 vcc_lo, 0, v181
	v_mov_b32_e32 v182, 0
	s_and_not1_b32 s11, s11, exec_lo
	s_delay_alu instid0(VALU_DEP_2) | instskip(NEXT) | instid1(SALU_CYCLE_1)
	s_and_b32 s24, vcc_lo, exec_lo
	s_or_b32 s11, s11, s24
	s_or_b32 exec_lo, exec_lo, s25
	s_and_saveexec_b32 s24, s11
	s_cbranch_execnz .LBB6_679
	s_branch .LBB6_680
.LBB6_1438:                             ;   in Loop: Header=BB6_144 Depth=2
	s_mov_b32 s11, -1
	s_mov_b32 s26, exec_lo
                                        ; implicit-def: $sgpr24
	v_cmpx_eq_u16_e64 0x80, v183
; %bb.1439:                             ;   in Loop: Header=BB6_144 Depth=2
	s_mov_b32 s24, 0x7f800001
	s_xor_b32 s11, exec_lo, -1
; %bb.1440:                             ;   in Loop: Header=BB6_144 Depth=2
	s_or_b32 exec_lo, exec_lo, s26
	s_delay_alu instid0(SALU_CYCLE_1)
	s_and_b32 s11, s11, exec_lo
                                        ; implicit-def: $vgpr183
	s_or_saveexec_b32 s25, s25
	v_mov_b32_e32 v181, s24
	s_xor_b32 exec_lo, exec_lo, s25
	s_cbranch_execz .LBB6_690
.LBB6_1441:                             ;   in Loop: Header=BB6_144 Depth=2
	v_cmp_ne_u16_e64 vcc_lo, 0, v183
	v_mov_b32_e32 v181, 0
	s_and_not1_b32 s11, s11, exec_lo
	s_delay_alu instid0(VALU_DEP_2) | instskip(NEXT) | instid1(SALU_CYCLE_1)
	s_and_b32 s24, vcc_lo, exec_lo
	s_or_b32 s11, s11, s24
	s_or_b32 exec_lo, exec_lo, s25
	s_and_saveexec_b32 s24, s11
	s_cbranch_execnz .LBB6_691
	s_branch .LBB6_692
.LBB6_1442:                             ;   in Loop: Header=BB6_144 Depth=2
	s_mov_b32 s11, -1
	s_mov_b32 s26, exec_lo
                                        ; implicit-def: $sgpr24
	v_cmpx_eq_u16_e32 0x80, v40
; %bb.1443:                             ;   in Loop: Header=BB6_144 Depth=2
	s_mov_b32 s24, 0x7f800001
	s_xor_b32 s11, exec_lo, -1
; %bb.1444:                             ;   in Loop: Header=BB6_144 Depth=2
	s_or_b32 exec_lo, exec_lo, s26
	s_delay_alu instid0(SALU_CYCLE_1)
	s_and_b32 s11, s11, exec_lo
                                        ; implicit-def: $vgpr40
	s_or_saveexec_b32 s25, s25
	v_mov_b32_e32 v183, s24
	s_xor_b32 exec_lo, exec_lo, s25
	s_cbranch_execz .LBB6_694
.LBB6_1445:                             ;   in Loop: Header=BB6_144 Depth=2
	v_cmp_ne_u16_e32 vcc_lo, 0, v40
	v_mov_b32_e32 v183, 0
	s_and_not1_b32 s11, s11, exec_lo
	s_and_b32 s24, vcc_lo, exec_lo
	s_delay_alu instid0(SALU_CYCLE_1)
	s_or_b32 s11, s11, s24
	s_or_b32 exec_lo, exec_lo, s25
	s_and_saveexec_b32 s24, s11
	s_cbranch_execnz .LBB6_695
	s_branch .LBB6_696
.LBB6_1446:                             ;   in Loop: Header=BB6_144 Depth=2
	s_mov_b32 s11, -1
	s_mov_b32 s26, exec_lo
                                        ; implicit-def: $sgpr24
	v_cmpx_eq_u16_e64 0x80, v183
; %bb.1447:                             ;   in Loop: Header=BB6_144 Depth=2
	s_mov_b32 s24, 0x7f800001
	s_xor_b32 s11, exec_lo, -1
; %bb.1448:                             ;   in Loop: Header=BB6_144 Depth=2
	s_or_b32 exec_lo, exec_lo, s26
	s_delay_alu instid0(SALU_CYCLE_1)
	s_and_b32 s11, s11, exec_lo
	s_or_saveexec_b32 s25, s25
	v_mov_b32_e32 v182, s24
	s_xor_b32 exec_lo, exec_lo, s25
	s_cbranch_execz .LBB6_706
.LBB6_1449:                             ;   in Loop: Header=BB6_144 Depth=2
	v_cmp_ne_u16_e64 vcc_lo, 0, v183
	v_mov_b32_e32 v182, 0
	s_and_not1_b32 s11, s11, exec_lo
	s_delay_alu instid0(VALU_DEP_2) | instskip(NEXT) | instid1(SALU_CYCLE_1)
	s_and_b32 s24, vcc_lo, exec_lo
	s_or_b32 s11, s11, s24
	s_or_b32 exec_lo, exec_lo, s25
	s_and_saveexec_b32 s24, s11
	s_cbranch_execnz .LBB6_707
	s_branch .LBB6_708
.LBB6_1450:                             ;   in Loop: Header=BB6_144 Depth=2
	s_mov_b32 s11, -1
	s_mov_b32 s26, exec_lo
                                        ; implicit-def: $sgpr24
	v_cmpx_eq_u16_e32 0x80, v22
; %bb.1451:                             ;   in Loop: Header=BB6_144 Depth=2
	s_mov_b32 s24, 0x7f800001
	s_xor_b32 s11, exec_lo, -1
; %bb.1452:                             ;   in Loop: Header=BB6_144 Depth=2
	s_or_b32 exec_lo, exec_lo, s26
	s_delay_alu instid0(SALU_CYCLE_1)
	s_and_b32 s11, s11, exec_lo
	s_or_saveexec_b32 s25, s25
	v_mov_b32_e32 v183, s24
	s_xor_b32 exec_lo, exec_lo, s25
	s_cbranch_execz .LBB6_710
.LBB6_1453:                             ;   in Loop: Header=BB6_144 Depth=2
	v_cmp_ne_u16_e32 vcc_lo, 0, v22
	v_mov_b32_e32 v183, 0
	s_and_not1_b32 s11, s11, exec_lo
	s_and_b32 s24, vcc_lo, exec_lo
	s_delay_alu instid0(SALU_CYCLE_1)
	s_or_b32 s11, s11, s24
	s_or_b32 exec_lo, exec_lo, s25
	s_and_saveexec_b32 s24, s11
	s_cbranch_execnz .LBB6_711
	s_branch .LBB6_712
.LBB6_1454:                             ;   in Loop: Header=BB6_144 Depth=2
	s_mov_b32 s11, -1
	s_mov_b32 s26, exec_lo
                                        ; implicit-def: $sgpr24
	v_cmpx_eq_u16_e64 0x80, v182
; %bb.1455:                             ;   in Loop: Header=BB6_144 Depth=2
	s_mov_b32 s24, 0x7f800001
	s_xor_b32 s11, exec_lo, -1
; %bb.1456:                             ;   in Loop: Header=BB6_144 Depth=2
	s_or_b32 exec_lo, exec_lo, s26
	s_delay_alu instid0(SALU_CYCLE_1)
	s_and_b32 s11, s11, exec_lo
                                        ; implicit-def: $vgpr182
	s_or_saveexec_b32 s25, s25
	v_mov_b32_e32 v22, s24
	s_xor_b32 exec_lo, exec_lo, s25
	s_cbranch_execz .LBB6_722
.LBB6_1457:                             ;   in Loop: Header=BB6_144 Depth=2
	v_cmp_ne_u16_e64 vcc_lo, 0, v182
	v_mov_b32_e32 v22, 0
	s_and_not1_b32 s11, s11, exec_lo
	s_delay_alu instid0(VALU_DEP_2) | instskip(NEXT) | instid1(SALU_CYCLE_1)
	s_and_b32 s24, vcc_lo, exec_lo
	s_or_b32 s11, s11, s24
	s_or_b32 exec_lo, exec_lo, s25
	s_and_saveexec_b32 s24, s11
	s_cbranch_execnz .LBB6_723
	s_branch .LBB6_724
.LBB6_1458:                             ;   in Loop: Header=BB6_144 Depth=2
	s_mov_b32 s11, -1
	s_mov_b32 s26, exec_lo
                                        ; implicit-def: $sgpr24
	v_cmpx_eq_u16_e64 0x80, v183
; %bb.1459:                             ;   in Loop: Header=BB6_144 Depth=2
	s_mov_b32 s24, 0x7f800001
	s_xor_b32 s11, exec_lo, -1
; %bb.1460:                             ;   in Loop: Header=BB6_144 Depth=2
	s_or_b32 exec_lo, exec_lo, s26
	s_delay_alu instid0(SALU_CYCLE_1)
	s_and_b32 s11, s11, exec_lo
                                        ; implicit-def: $vgpr183
	s_or_saveexec_b32 s25, s25
	v_mov_b32_e32 v182, s24
	s_xor_b32 exec_lo, exec_lo, s25
	s_cbranch_execz .LBB6_726
.LBB6_1461:                             ;   in Loop: Header=BB6_144 Depth=2
	v_cmp_ne_u16_e64 vcc_lo, 0, v183
	v_mov_b32_e32 v182, 0
	s_and_not1_b32 s11, s11, exec_lo
	s_delay_alu instid0(VALU_DEP_2) | instskip(NEXT) | instid1(SALU_CYCLE_1)
	s_and_b32 s24, vcc_lo, exec_lo
	s_or_b32 s11, s11, s24
	s_or_b32 exec_lo, exec_lo, s25
	s_and_saveexec_b32 s24, s11
	s_cbranch_execnz .LBB6_727
	s_branch .LBB6_728
.LBB6_1462:                             ;   in Loop: Header=BB6_144 Depth=2
	s_mov_b32 s11, -1
	s_mov_b32 s26, exec_lo
                                        ; implicit-def: $sgpr24
	v_cmpx_eq_u16_e64 0x80, v183
; %bb.1463:                             ;   in Loop: Header=BB6_144 Depth=2
	s_mov_b32 s24, 0x7f800001
	s_xor_b32 s11, exec_lo, -1
; %bb.1464:                             ;   in Loop: Header=BB6_144 Depth=2
	s_or_b32 exec_lo, exec_lo, s26
	s_delay_alu instid0(SALU_CYCLE_1)
	s_and_b32 s11, s11, exec_lo
	s_or_saveexec_b32 s25, s25
	v_mov_b32_e32 v182, s24
	s_xor_b32 exec_lo, exec_lo, s25
	s_cbranch_execz .LBB6_738
.LBB6_1465:                             ;   in Loop: Header=BB6_144 Depth=2
	v_cmp_ne_u16_e64 vcc_lo, 0, v183
	v_mov_b32_e32 v182, 0
	s_and_not1_b32 s11, s11, exec_lo
	s_delay_alu instid0(VALU_DEP_2) | instskip(NEXT) | instid1(SALU_CYCLE_1)
	s_and_b32 s24, vcc_lo, exec_lo
	s_or_b32 s11, s11, s24
	s_or_b32 exec_lo, exec_lo, s25
	s_and_saveexec_b32 s24, s11
	s_cbranch_execnz .LBB6_739
	s_branch .LBB6_740
.LBB6_1466:                             ;   in Loop: Header=BB6_144 Depth=2
	s_mov_b32 s11, -1
	s_mov_b32 s26, exec_lo
                                        ; implicit-def: $sgpr24
	v_cmpx_eq_u16_e64 0x80, v183
; %bb.1467:                             ;   in Loop: Header=BB6_144 Depth=2
	s_mov_b32 s24, 0x7f800001
	s_xor_b32 s11, exec_lo, -1
; %bb.1468:                             ;   in Loop: Header=BB6_144 Depth=2
	s_or_b32 exec_lo, exec_lo, s26
	s_delay_alu instid0(SALU_CYCLE_1)
	s_and_b32 s11, s11, exec_lo
	s_or_saveexec_b32 s25, s25
	v_mov_b32_e32 v40, s24
	s_xor_b32 exec_lo, exec_lo, s25
	s_cbranch_execz .LBB6_742
.LBB6_1469:                             ;   in Loop: Header=BB6_144 Depth=2
	v_cmp_ne_u16_e64 vcc_lo, 0, v183
	v_mov_b32_e32 v40, 0
	s_and_not1_b32 s11, s11, exec_lo
	s_delay_alu instid0(VALU_DEP_2) | instskip(NEXT) | instid1(SALU_CYCLE_1)
	s_and_b32 s24, vcc_lo, exec_lo
	s_or_b32 s11, s11, s24
	s_or_b32 exec_lo, exec_lo, s25
	s_and_saveexec_b32 s24, s11
	s_cbranch_execnz .LBB6_743
	s_branch .LBB6_744
.LBB6_1470:                             ;   in Loop: Header=BB6_144 Depth=2
	s_mov_b32 s11, -1
	s_mov_b32 s26, exec_lo
                                        ; implicit-def: $sgpr24
	v_cmpx_eq_u16_e32 0x80, v41
; %bb.1471:                             ;   in Loop: Header=BB6_144 Depth=2
	s_mov_b32 s24, 0x7f800001
	s_xor_b32 s11, exec_lo, -1
; %bb.1472:                             ;   in Loop: Header=BB6_144 Depth=2
	s_or_b32 exec_lo, exec_lo, s26
	s_delay_alu instid0(SALU_CYCLE_1)
	s_and_b32 s11, s11, exec_lo
                                        ; implicit-def: $vgpr41
	s_or_saveexec_b32 s25, s25
	v_mov_b32_e32 v183, s24
	s_xor_b32 exec_lo, exec_lo, s25
	s_cbranch_execz .LBB6_754
.LBB6_1473:                             ;   in Loop: Header=BB6_144 Depth=2
	v_cmp_ne_u16_e32 vcc_lo, 0, v41
	v_mov_b32_e32 v183, 0
	s_and_not1_b32 s11, s11, exec_lo
	s_and_b32 s24, vcc_lo, exec_lo
	s_delay_alu instid0(SALU_CYCLE_1)
	s_or_b32 s11, s11, s24
	s_or_b32 exec_lo, exec_lo, s25
	s_and_saveexec_b32 s24, s11
	s_cbranch_execnz .LBB6_755
	s_branch .LBB6_756
.LBB6_1474:                             ;   in Loop: Header=BB6_144 Depth=2
	s_mov_b32 s11, -1
	s_mov_b32 s26, exec_lo
                                        ; implicit-def: $sgpr24
	v_cmpx_eq_u16_e32 0x80, v42
; %bb.1475:                             ;   in Loop: Header=BB6_144 Depth=2
	s_mov_b32 s24, 0x7f800001
	s_xor_b32 s11, exec_lo, -1
; %bb.1476:                             ;   in Loop: Header=BB6_144 Depth=2
	s_or_b32 exec_lo, exec_lo, s26
	s_delay_alu instid0(SALU_CYCLE_1)
	s_and_b32 s11, s11, exec_lo
                                        ; implicit-def: $vgpr42
	s_or_saveexec_b32 s25, s25
	v_mov_b32_e32 v41, s24
	s_xor_b32 exec_lo, exec_lo, s25
	s_cbranch_execz .LBB6_758
.LBB6_1477:                             ;   in Loop: Header=BB6_144 Depth=2
	v_cmp_ne_u16_e32 vcc_lo, 0, v42
	v_mov_b32_e32 v41, 0
	s_and_not1_b32 s11, s11, exec_lo
	s_and_b32 s24, vcc_lo, exec_lo
	s_delay_alu instid0(SALU_CYCLE_1)
	s_or_b32 s11, s11, s24
	s_or_b32 exec_lo, exec_lo, s25
	s_and_saveexec_b32 s24, s11
	s_cbranch_execnz .LBB6_759
	s_branch .LBB6_760
.LBB6_1478:                             ;   in Loop: Header=BB6_144 Depth=2
	s_mov_b32 s11, -1
	s_mov_b32 s26, exec_lo
                                        ; implicit-def: $sgpr24
	v_cmpx_eq_u16_e32 0x80, v41
; %bb.1479:                             ;   in Loop: Header=BB6_144 Depth=2
	s_mov_b32 s24, 0x7f800001
	s_xor_b32 s11, exec_lo, -1
; %bb.1480:                             ;   in Loop: Header=BB6_144 Depth=2
	s_or_b32 exec_lo, exec_lo, s26
	s_delay_alu instid0(SALU_CYCLE_1)
	s_and_b32 s11, s11, exec_lo
	s_or_saveexec_b32 s25, s25
	v_mov_b32_e32 v40, s24
	s_xor_b32 exec_lo, exec_lo, s25
	s_cbranch_execz .LBB6_770
.LBB6_1481:                             ;   in Loop: Header=BB6_144 Depth=2
	v_cmp_ne_u16_e32 vcc_lo, 0, v41
	v_mov_b32_e32 v40, 0
	s_and_not1_b32 s11, s11, exec_lo
	s_and_b32 s24, vcc_lo, exec_lo
	s_delay_alu instid0(SALU_CYCLE_1)
	s_or_b32 s11, s11, s24
	s_or_b32 exec_lo, exec_lo, s25
	s_and_saveexec_b32 s24, s11
	s_cbranch_execnz .LBB6_771
	s_branch .LBB6_772
.LBB6_1482:                             ;   in Loop: Header=BB6_144 Depth=2
	s_mov_b32 s11, -1
	s_mov_b32 s26, exec_lo
                                        ; implicit-def: $sgpr24
	v_cmpx_eq_u16_e32 0x80, v23
; %bb.1483:                             ;   in Loop: Header=BB6_144 Depth=2
	s_mov_b32 s24, 0x7f800001
	s_xor_b32 s11, exec_lo, -1
; %bb.1484:                             ;   in Loop: Header=BB6_144 Depth=2
	s_or_b32 exec_lo, exec_lo, s26
	s_delay_alu instid0(SALU_CYCLE_1)
	s_and_b32 s11, s11, exec_lo
	s_or_saveexec_b32 s25, s25
	v_mov_b32_e32 v41, s24
	s_xor_b32 exec_lo, exec_lo, s25
	s_cbranch_execz .LBB6_774
.LBB6_1485:                             ;   in Loop: Header=BB6_144 Depth=2
	v_cmp_ne_u16_e32 vcc_lo, 0, v23
	v_mov_b32_e32 v41, 0
	s_and_not1_b32 s11, s11, exec_lo
	s_and_b32 s24, vcc_lo, exec_lo
	s_delay_alu instid0(SALU_CYCLE_1)
	s_or_b32 s11, s11, s24
	s_or_b32 exec_lo, exec_lo, s25
	s_and_saveexec_b32 s24, s11
	s_cbranch_execnz .LBB6_775
	s_branch .LBB6_776
.LBB6_1486:                             ;   in Loop: Header=BB6_144 Depth=2
	s_mov_b32 s11, -1
	s_mov_b32 s26, exec_lo
                                        ; implicit-def: $sgpr24
	v_cmpx_eq_u16_e32 0x80, v40
; %bb.1487:                             ;   in Loop: Header=BB6_144 Depth=2
	s_mov_b32 s24, 0x7f800001
	s_xor_b32 s11, exec_lo, -1
; %bb.1488:                             ;   in Loop: Header=BB6_144 Depth=2
	s_or_b32 exec_lo, exec_lo, s26
	s_delay_alu instid0(SALU_CYCLE_1)
	s_and_b32 s11, s11, exec_lo
                                        ; implicit-def: $vgpr40
	s_or_saveexec_b32 s25, s25
	v_mov_b32_e32 v23, s24
	s_xor_b32 exec_lo, exec_lo, s25
	s_cbranch_execz .LBB6_786
.LBB6_1489:                             ;   in Loop: Header=BB6_144 Depth=2
	v_cmp_ne_u16_e32 vcc_lo, 0, v40
	v_mov_b32_e32 v23, 0
	s_and_not1_b32 s11, s11, exec_lo
	s_and_b32 s24, vcc_lo, exec_lo
	s_delay_alu instid0(SALU_CYCLE_1)
	s_or_b32 s11, s11, s24
	s_or_b32 exec_lo, exec_lo, s25
	s_and_saveexec_b32 s24, s11
	s_cbranch_execnz .LBB6_787
	s_branch .LBB6_788
.LBB6_1490:                             ;   in Loop: Header=BB6_144 Depth=2
	s_mov_b32 s11, -1
	s_mov_b32 s26, exec_lo
                                        ; implicit-def: $sgpr24
	v_cmpx_eq_u16_e32 0x80, v41
; %bb.1491:                             ;   in Loop: Header=BB6_144 Depth=2
	s_mov_b32 s24, 0x7f800001
	s_xor_b32 s11, exec_lo, -1
; %bb.1492:                             ;   in Loop: Header=BB6_144 Depth=2
	s_or_b32 exec_lo, exec_lo, s26
	s_delay_alu instid0(SALU_CYCLE_1)
	s_and_b32 s11, s11, exec_lo
                                        ; implicit-def: $vgpr41
	s_or_saveexec_b32 s25, s25
	v_mov_b32_e32 v40, s24
	s_xor_b32 exec_lo, exec_lo, s25
	s_cbranch_execz .LBB6_790
.LBB6_1493:                             ;   in Loop: Header=BB6_144 Depth=2
	v_cmp_ne_u16_e32 vcc_lo, 0, v41
	v_mov_b32_e32 v40, 0
	s_and_not1_b32 s11, s11, exec_lo
	s_and_b32 s24, vcc_lo, exec_lo
	s_delay_alu instid0(SALU_CYCLE_1)
	s_or_b32 s11, s11, s24
	s_or_b32 exec_lo, exec_lo, s25
	s_and_saveexec_b32 s24, s11
	s_cbranch_execnz .LBB6_791
	s_branch .LBB6_792
.LBB6_1494:                             ;   in Loop: Header=BB6_144 Depth=2
	s_mov_b32 s11, -1
	s_mov_b32 s26, exec_lo
                                        ; implicit-def: $sgpr24
	v_cmpx_eq_u16_e32 0x80, v41
; %bb.1495:                             ;   in Loop: Header=BB6_144 Depth=2
	s_mov_b32 s24, 0x7f800001
	s_xor_b32 s11, exec_lo, -1
; %bb.1496:                             ;   in Loop: Header=BB6_144 Depth=2
	s_or_b32 exec_lo, exec_lo, s26
	s_delay_alu instid0(SALU_CYCLE_1)
	s_and_b32 s11, s11, exec_lo
	s_or_saveexec_b32 s25, s25
	v_mov_b32_e32 v40, s24
	s_xor_b32 exec_lo, exec_lo, s25
	s_cbranch_execz .LBB6_802
.LBB6_1497:                             ;   in Loop: Header=BB6_144 Depth=2
	v_cmp_ne_u16_e32 vcc_lo, 0, v41
	v_mov_b32_e32 v40, 0
	s_and_not1_b32 s11, s11, exec_lo
	s_and_b32 s24, vcc_lo, exec_lo
	s_delay_alu instid0(SALU_CYCLE_1)
	s_or_b32 s11, s11, s24
	s_or_b32 exec_lo, exec_lo, s25
	s_and_saveexec_b32 s24, s11
	s_cbranch_execnz .LBB6_803
	s_branch .LBB6_804
.LBB6_1498:                             ;   in Loop: Header=BB6_144 Depth=2
	s_mov_b32 s11, -1
	s_mov_b32 s26, exec_lo
                                        ; implicit-def: $sgpr24
	v_cmpx_eq_u16_e32 0x80, v41
; %bb.1499:                             ;   in Loop: Header=BB6_144 Depth=2
	s_mov_b32 s24, 0x7f800001
	s_xor_b32 s11, exec_lo, -1
; %bb.1500:                             ;   in Loop: Header=BB6_144 Depth=2
	s_or_b32 exec_lo, exec_lo, s26
	s_delay_alu instid0(SALU_CYCLE_1)
	s_and_b32 s11, s11, exec_lo
	s_or_saveexec_b32 s25, s25
	v_mov_b32_e32 v42, s24
	s_xor_b32 exec_lo, exec_lo, s25
	s_cbranch_execz .LBB6_806
.LBB6_1501:                             ;   in Loop: Header=BB6_144 Depth=2
	v_cmp_ne_u16_e32 vcc_lo, 0, v41
	v_mov_b32_e32 v42, 0
	s_and_not1_b32 s11, s11, exec_lo
	s_and_b32 s24, vcc_lo, exec_lo
	s_delay_alu instid0(SALU_CYCLE_1)
	s_or_b32 s11, s11, s24
	s_or_b32 exec_lo, exec_lo, s25
	s_and_saveexec_b32 s24, s11
	s_cbranch_execnz .LBB6_807
	s_branch .LBB6_808
.LBB6_1502:                             ;   in Loop: Header=BB6_144 Depth=2
	s_mov_b32 s11, -1
	s_mov_b32 s26, exec_lo
                                        ; implicit-def: $sgpr24
	v_cmpx_eq_u16_e32 0x80, v43
; %bb.1503:                             ;   in Loop: Header=BB6_144 Depth=2
	s_mov_b32 s24, 0x7f800001
	s_xor_b32 s11, exec_lo, -1
; %bb.1504:                             ;   in Loop: Header=BB6_144 Depth=2
	s_or_b32 exec_lo, exec_lo, s26
	s_delay_alu instid0(SALU_CYCLE_1)
	s_and_b32 s11, s11, exec_lo
                                        ; implicit-def: $vgpr43
	s_or_saveexec_b32 s25, s25
	v_mov_b32_e32 v41, s24
	s_xor_b32 exec_lo, exec_lo, s25
	s_cbranch_execz .LBB6_818
.LBB6_1505:                             ;   in Loop: Header=BB6_144 Depth=2
	v_cmp_ne_u16_e32 vcc_lo, 0, v43
	v_mov_b32_e32 v41, 0
	s_and_not1_b32 s11, s11, exec_lo
	s_and_b32 s24, vcc_lo, exec_lo
	s_delay_alu instid0(SALU_CYCLE_1)
	s_or_b32 s11, s11, s24
	s_or_b32 exec_lo, exec_lo, s25
	s_and_saveexec_b32 s24, s11
	s_cbranch_execnz .LBB6_819
	s_branch .LBB6_820
.LBB6_1506:                             ;   in Loop: Header=BB6_144 Depth=2
	s_mov_b32 s11, -1
	s_mov_b32 s26, exec_lo
                                        ; implicit-def: $sgpr24
	v_cmpx_eq_u16_e32 0x80, v44
; %bb.1507:                             ;   in Loop: Header=BB6_144 Depth=2
	s_mov_b32 s24, 0x7f800001
	s_xor_b32 s11, exec_lo, -1
; %bb.1508:                             ;   in Loop: Header=BB6_144 Depth=2
	s_or_b32 exec_lo, exec_lo, s26
	s_delay_alu instid0(SALU_CYCLE_1)
	s_and_b32 s11, s11, exec_lo
                                        ; implicit-def: $vgpr44
	s_or_saveexec_b32 s25, s25
	v_mov_b32_e32 v43, s24
	s_xor_b32 exec_lo, exec_lo, s25
	s_cbranch_execz .LBB6_822
.LBB6_1509:                             ;   in Loop: Header=BB6_144 Depth=2
	v_cmp_ne_u16_e32 vcc_lo, 0, v44
	v_mov_b32_e32 v43, 0
	s_and_not1_b32 s11, s11, exec_lo
	s_and_b32 s24, vcc_lo, exec_lo
	s_delay_alu instid0(SALU_CYCLE_1)
	s_or_b32 s11, s11, s24
	s_or_b32 exec_lo, exec_lo, s25
	s_and_saveexec_b32 s24, s11
	s_cbranch_execnz .LBB6_823
	s_branch .LBB6_824
.LBB6_1510:                             ;   in Loop: Header=BB6_144 Depth=2
	s_mov_b32 s11, -1
	s_mov_b32 s26, exec_lo
                                        ; implicit-def: $sgpr24
	v_cmpx_eq_u16_e32 0x80, v43
; %bb.1511:                             ;   in Loop: Header=BB6_144 Depth=2
	s_mov_b32 s24, 0x7f800001
	s_xor_b32 s11, exec_lo, -1
; %bb.1512:                             ;   in Loop: Header=BB6_144 Depth=2
	s_or_b32 exec_lo, exec_lo, s26
	s_delay_alu instid0(SALU_CYCLE_1)
	s_and_b32 s11, s11, exec_lo
	s_or_saveexec_b32 s25, s25
	v_mov_b32_e32 v42, s24
	s_xor_b32 exec_lo, exec_lo, s25
	s_cbranch_execz .LBB6_834
.LBB6_1513:                             ;   in Loop: Header=BB6_144 Depth=2
	v_cmp_ne_u16_e32 vcc_lo, 0, v43
	v_mov_b32_e32 v42, 0
	s_and_not1_b32 s11, s11, exec_lo
	s_and_b32 s24, vcc_lo, exec_lo
	s_delay_alu instid0(SALU_CYCLE_1)
	s_or_b32 s11, s11, s24
	s_or_b32 exec_lo, exec_lo, s25
	s_and_saveexec_b32 s24, s11
	s_cbranch_execnz .LBB6_835
	s_branch .LBB6_836
.LBB6_1514:                             ;   in Loop: Header=BB6_144 Depth=2
	s_mov_b32 s11, -1
	s_mov_b32 s26, exec_lo
                                        ; implicit-def: $sgpr24
	v_cmpx_eq_u16_e32 0x80, v24
; %bb.1515:                             ;   in Loop: Header=BB6_144 Depth=2
	s_mov_b32 s24, 0x7f800001
	s_xor_b32 s11, exec_lo, -1
; %bb.1516:                             ;   in Loop: Header=BB6_144 Depth=2
	s_or_b32 exec_lo, exec_lo, s26
	s_delay_alu instid0(SALU_CYCLE_1)
	s_and_b32 s11, s11, exec_lo
	s_or_saveexec_b32 s25, s25
	v_mov_b32_e32 v43, s24
	s_xor_b32 exec_lo, exec_lo, s25
	s_cbranch_execz .LBB6_838
.LBB6_1517:                             ;   in Loop: Header=BB6_144 Depth=2
	v_cmp_ne_u16_e32 vcc_lo, 0, v24
	v_mov_b32_e32 v43, 0
	s_and_not1_b32 s11, s11, exec_lo
	s_and_b32 s24, vcc_lo, exec_lo
	s_delay_alu instid0(SALU_CYCLE_1)
	s_or_b32 s11, s11, s24
	s_or_b32 exec_lo, exec_lo, s25
	s_and_saveexec_b32 s24, s11
	s_cbranch_execnz .LBB6_839
	s_branch .LBB6_840
.LBB6_1518:                             ;   in Loop: Header=BB6_144 Depth=2
	s_mov_b32 s11, -1
	s_mov_b32 s26, exec_lo
                                        ; implicit-def: $sgpr24
	v_cmpx_eq_u16_e32 0x80, v42
; %bb.1519:                             ;   in Loop: Header=BB6_144 Depth=2
	s_mov_b32 s24, 0x7f800001
	s_xor_b32 s11, exec_lo, -1
; %bb.1520:                             ;   in Loop: Header=BB6_144 Depth=2
	s_or_b32 exec_lo, exec_lo, s26
	s_delay_alu instid0(SALU_CYCLE_1)
	s_and_b32 s11, s11, exec_lo
                                        ; implicit-def: $vgpr42
	s_or_saveexec_b32 s25, s25
	v_mov_b32_e32 v24, s24
	s_xor_b32 exec_lo, exec_lo, s25
	s_cbranch_execz .LBB6_850
.LBB6_1521:                             ;   in Loop: Header=BB6_144 Depth=2
	v_cmp_ne_u16_e32 vcc_lo, 0, v42
	v_mov_b32_e32 v24, 0
	s_and_not1_b32 s11, s11, exec_lo
	s_and_b32 s24, vcc_lo, exec_lo
	s_delay_alu instid0(SALU_CYCLE_1)
	s_or_b32 s11, s11, s24
	s_or_b32 exec_lo, exec_lo, s25
	s_and_saveexec_b32 s24, s11
	s_cbranch_execnz .LBB6_851
	s_branch .LBB6_852
.LBB6_1522:                             ;   in Loop: Header=BB6_144 Depth=2
	s_mov_b32 s11, -1
	s_mov_b32 s26, exec_lo
                                        ; implicit-def: $sgpr24
	v_cmpx_eq_u16_e32 0x80, v43
; %bb.1523:                             ;   in Loop: Header=BB6_144 Depth=2
	s_mov_b32 s24, 0x7f800001
	s_xor_b32 s11, exec_lo, -1
; %bb.1524:                             ;   in Loop: Header=BB6_144 Depth=2
	s_or_b32 exec_lo, exec_lo, s26
	s_delay_alu instid0(SALU_CYCLE_1)
	s_and_b32 s11, s11, exec_lo
                                        ; implicit-def: $vgpr43
	s_or_saveexec_b32 s25, s25
	v_mov_b32_e32 v42, s24
	s_xor_b32 exec_lo, exec_lo, s25
	s_cbranch_execz .LBB6_854
.LBB6_1525:                             ;   in Loop: Header=BB6_144 Depth=2
	v_cmp_ne_u16_e32 vcc_lo, 0, v43
	v_mov_b32_e32 v42, 0
	s_and_not1_b32 s11, s11, exec_lo
	s_and_b32 s24, vcc_lo, exec_lo
	s_delay_alu instid0(SALU_CYCLE_1)
	s_or_b32 s11, s11, s24
	s_or_b32 exec_lo, exec_lo, s25
	s_and_saveexec_b32 s24, s11
	s_cbranch_execnz .LBB6_855
	s_branch .LBB6_856
.LBB6_1526:                             ;   in Loop: Header=BB6_144 Depth=2
	s_mov_b32 s11, -1
	s_mov_b32 s26, exec_lo
                                        ; implicit-def: $sgpr24
	v_cmpx_eq_u16_e32 0x80, v43
; %bb.1527:                             ;   in Loop: Header=BB6_144 Depth=2
	s_mov_b32 s24, 0x7f800001
	s_xor_b32 s11, exec_lo, -1
; %bb.1528:                             ;   in Loop: Header=BB6_144 Depth=2
	s_or_b32 exec_lo, exec_lo, s26
	s_delay_alu instid0(SALU_CYCLE_1)
	s_and_b32 s11, s11, exec_lo
	s_or_saveexec_b32 s25, s25
	v_mov_b32_e32 v42, s24
	s_xor_b32 exec_lo, exec_lo, s25
	s_cbranch_execz .LBB6_866
.LBB6_1529:                             ;   in Loop: Header=BB6_144 Depth=2
	v_cmp_ne_u16_e32 vcc_lo, 0, v43
	v_mov_b32_e32 v42, 0
	s_and_not1_b32 s11, s11, exec_lo
	s_and_b32 s24, vcc_lo, exec_lo
	s_delay_alu instid0(SALU_CYCLE_1)
	s_or_b32 s11, s11, s24
	s_or_b32 exec_lo, exec_lo, s25
	s_and_saveexec_b32 s24, s11
	s_cbranch_execnz .LBB6_867
	s_branch .LBB6_868
.LBB6_1530:                             ;   in Loop: Header=BB6_144 Depth=2
	s_mov_b32 s11, -1
	s_mov_b32 s26, exec_lo
                                        ; implicit-def: $sgpr24
	v_cmpx_eq_u16_e32 0x80, v43
; %bb.1531:                             ;   in Loop: Header=BB6_144 Depth=2
	s_mov_b32 s24, 0x7f800001
	s_xor_b32 s11, exec_lo, -1
; %bb.1532:                             ;   in Loop: Header=BB6_144 Depth=2
	s_or_b32 exec_lo, exec_lo, s26
	s_delay_alu instid0(SALU_CYCLE_1)
	s_and_b32 s11, s11, exec_lo
	s_or_saveexec_b32 s25, s25
	v_mov_b32_e32 v44, s24
	s_xor_b32 exec_lo, exec_lo, s25
	s_cbranch_execz .LBB6_870
.LBB6_1533:                             ;   in Loop: Header=BB6_144 Depth=2
	v_cmp_ne_u16_e32 vcc_lo, 0, v43
	v_mov_b32_e32 v44, 0
	s_and_not1_b32 s11, s11, exec_lo
	s_and_b32 s24, vcc_lo, exec_lo
	s_delay_alu instid0(SALU_CYCLE_1)
	s_or_b32 s11, s11, s24
	s_or_b32 exec_lo, exec_lo, s25
	s_and_saveexec_b32 s24, s11
	s_cbranch_execnz .LBB6_871
	s_branch .LBB6_872
.LBB6_1534:                             ;   in Loop: Header=BB6_144 Depth=2
	s_mov_b32 s11, -1
	s_mov_b32 s26, exec_lo
                                        ; implicit-def: $sgpr24
	v_cmpx_eq_u16_e32 0x80, v45
; %bb.1535:                             ;   in Loop: Header=BB6_144 Depth=2
	s_mov_b32 s24, 0x7f800001
	s_xor_b32 s11, exec_lo, -1
; %bb.1536:                             ;   in Loop: Header=BB6_144 Depth=2
	s_or_b32 exec_lo, exec_lo, s26
	s_delay_alu instid0(SALU_CYCLE_1)
	s_and_b32 s11, s11, exec_lo
                                        ; implicit-def: $vgpr45
	s_or_saveexec_b32 s25, s25
	v_mov_b32_e32 v43, s24
	s_xor_b32 exec_lo, exec_lo, s25
	s_cbranch_execz .LBB6_882
.LBB6_1537:                             ;   in Loop: Header=BB6_144 Depth=2
	v_cmp_ne_u16_e32 vcc_lo, 0, v45
	v_mov_b32_e32 v43, 0
	s_and_not1_b32 s11, s11, exec_lo
	s_and_b32 s24, vcc_lo, exec_lo
	s_delay_alu instid0(SALU_CYCLE_1)
	s_or_b32 s11, s11, s24
	s_or_b32 exec_lo, exec_lo, s25
	s_and_saveexec_b32 s24, s11
	s_cbranch_execnz .LBB6_883
	s_branch .LBB6_884
.LBB6_1538:                             ;   in Loop: Header=BB6_144 Depth=2
	s_mov_b32 s11, -1
	s_mov_b32 s26, exec_lo
                                        ; implicit-def: $sgpr24
	v_cmpx_eq_u16_e32 0x80, v46
; %bb.1539:                             ;   in Loop: Header=BB6_144 Depth=2
	s_mov_b32 s24, 0x7f800001
	s_xor_b32 s11, exec_lo, -1
; %bb.1540:                             ;   in Loop: Header=BB6_144 Depth=2
	s_or_b32 exec_lo, exec_lo, s26
	s_delay_alu instid0(SALU_CYCLE_1)
	s_and_b32 s11, s11, exec_lo
                                        ; implicit-def: $vgpr46
	s_or_saveexec_b32 s25, s25
	v_mov_b32_e32 v45, s24
	s_xor_b32 exec_lo, exec_lo, s25
	s_cbranch_execz .LBB6_886
.LBB6_1541:                             ;   in Loop: Header=BB6_144 Depth=2
	v_cmp_ne_u16_e32 vcc_lo, 0, v46
	v_mov_b32_e32 v45, 0
	s_and_not1_b32 s11, s11, exec_lo
	s_and_b32 s24, vcc_lo, exec_lo
	s_delay_alu instid0(SALU_CYCLE_1)
	s_or_b32 s11, s11, s24
	s_or_b32 exec_lo, exec_lo, s25
	s_and_saveexec_b32 s24, s11
	s_cbranch_execnz .LBB6_887
	s_branch .LBB6_888
.LBB6_1542:                             ;   in Loop: Header=BB6_144 Depth=2
	s_mov_b32 s11, -1
	s_mov_b32 s26, exec_lo
                                        ; implicit-def: $sgpr24
	v_cmpx_eq_u16_e32 0x80, v45
; %bb.1543:                             ;   in Loop: Header=BB6_144 Depth=2
	s_mov_b32 s24, 0x7f800001
	s_xor_b32 s11, exec_lo, -1
; %bb.1544:                             ;   in Loop: Header=BB6_144 Depth=2
	s_or_b32 exec_lo, exec_lo, s26
	s_delay_alu instid0(SALU_CYCLE_1)
	s_and_b32 s11, s11, exec_lo
	s_or_saveexec_b32 s25, s25
	v_mov_b32_e32 v44, s24
	s_xor_b32 exec_lo, exec_lo, s25
	s_cbranch_execz .LBB6_898
.LBB6_1545:                             ;   in Loop: Header=BB6_144 Depth=2
	v_cmp_ne_u16_e32 vcc_lo, 0, v45
	v_mov_b32_e32 v44, 0
	s_and_not1_b32 s11, s11, exec_lo
	s_and_b32 s24, vcc_lo, exec_lo
	s_delay_alu instid0(SALU_CYCLE_1)
	s_or_b32 s11, s11, s24
	s_or_b32 exec_lo, exec_lo, s25
	s_and_saveexec_b32 s24, s11
	s_cbranch_execnz .LBB6_899
	s_branch .LBB6_900
.LBB6_1546:                             ;   in Loop: Header=BB6_144 Depth=2
	s_mov_b32 s11, -1
	s_mov_b32 s26, exec_lo
                                        ; implicit-def: $sgpr24
	v_cmpx_eq_u16_e32 0x80, v25
; %bb.1547:                             ;   in Loop: Header=BB6_144 Depth=2
	s_mov_b32 s24, 0x7f800001
	s_xor_b32 s11, exec_lo, -1
; %bb.1548:                             ;   in Loop: Header=BB6_144 Depth=2
	s_or_b32 exec_lo, exec_lo, s26
	s_delay_alu instid0(SALU_CYCLE_1)
	s_and_b32 s11, s11, exec_lo
	s_or_saveexec_b32 s25, s25
	v_mov_b32_e32 v45, s24
	s_xor_b32 exec_lo, exec_lo, s25
	s_cbranch_execz .LBB6_902
.LBB6_1549:                             ;   in Loop: Header=BB6_144 Depth=2
	v_cmp_ne_u16_e32 vcc_lo, 0, v25
	v_mov_b32_e32 v45, 0
	s_and_not1_b32 s11, s11, exec_lo
	s_and_b32 s24, vcc_lo, exec_lo
	s_delay_alu instid0(SALU_CYCLE_1)
	s_or_b32 s11, s11, s24
	s_or_b32 exec_lo, exec_lo, s25
	s_and_saveexec_b32 s24, s11
	s_cbranch_execnz .LBB6_903
	s_branch .LBB6_904
.LBB6_1550:                             ;   in Loop: Header=BB6_144 Depth=2
	s_mov_b32 s11, -1
	s_mov_b32 s26, exec_lo
                                        ; implicit-def: $sgpr24
	v_cmpx_eq_u16_e32 0x80, v44
; %bb.1551:                             ;   in Loop: Header=BB6_144 Depth=2
	s_mov_b32 s24, 0x7f800001
	s_xor_b32 s11, exec_lo, -1
; %bb.1552:                             ;   in Loop: Header=BB6_144 Depth=2
	s_or_b32 exec_lo, exec_lo, s26
	s_delay_alu instid0(SALU_CYCLE_1)
	s_and_b32 s11, s11, exec_lo
                                        ; implicit-def: $vgpr44
	s_or_saveexec_b32 s25, s25
	v_mov_b32_e32 v25, s24
	s_xor_b32 exec_lo, exec_lo, s25
	s_cbranch_execz .LBB6_914
.LBB6_1553:                             ;   in Loop: Header=BB6_144 Depth=2
	v_cmp_ne_u16_e32 vcc_lo, 0, v44
	v_mov_b32_e32 v25, 0
	s_and_not1_b32 s11, s11, exec_lo
	s_and_b32 s24, vcc_lo, exec_lo
	s_delay_alu instid0(SALU_CYCLE_1)
	s_or_b32 s11, s11, s24
	s_or_b32 exec_lo, exec_lo, s25
	s_and_saveexec_b32 s24, s11
	s_cbranch_execnz .LBB6_915
	s_branch .LBB6_916
.LBB6_1554:                             ;   in Loop: Header=BB6_144 Depth=2
	s_mov_b32 s11, -1
	s_mov_b32 s26, exec_lo
                                        ; implicit-def: $sgpr24
	v_cmpx_eq_u16_e32 0x80, v45
; %bb.1555:                             ;   in Loop: Header=BB6_144 Depth=2
	s_mov_b32 s24, 0x7f800001
	s_xor_b32 s11, exec_lo, -1
; %bb.1556:                             ;   in Loop: Header=BB6_144 Depth=2
	s_or_b32 exec_lo, exec_lo, s26
	s_delay_alu instid0(SALU_CYCLE_1)
	s_and_b32 s11, s11, exec_lo
                                        ; implicit-def: $vgpr45
	s_or_saveexec_b32 s25, s25
	v_mov_b32_e32 v44, s24
	s_xor_b32 exec_lo, exec_lo, s25
	s_cbranch_execz .LBB6_918
.LBB6_1557:                             ;   in Loop: Header=BB6_144 Depth=2
	v_cmp_ne_u16_e32 vcc_lo, 0, v45
	v_mov_b32_e32 v44, 0
	s_and_not1_b32 s11, s11, exec_lo
	s_and_b32 s24, vcc_lo, exec_lo
	s_delay_alu instid0(SALU_CYCLE_1)
	s_or_b32 s11, s11, s24
	s_or_b32 exec_lo, exec_lo, s25
	s_and_saveexec_b32 s24, s11
	s_cbranch_execnz .LBB6_919
	s_branch .LBB6_920
.LBB6_1558:                             ;   in Loop: Header=BB6_144 Depth=2
	s_mov_b32 s11, -1
	s_mov_b32 s26, exec_lo
                                        ; implicit-def: $sgpr24
	v_cmpx_eq_u16_e32 0x80, v45
; %bb.1559:                             ;   in Loop: Header=BB6_144 Depth=2
	s_mov_b32 s24, 0x7f800001
	s_xor_b32 s11, exec_lo, -1
; %bb.1560:                             ;   in Loop: Header=BB6_144 Depth=2
	s_or_b32 exec_lo, exec_lo, s26
	s_delay_alu instid0(SALU_CYCLE_1)
	s_and_b32 s11, s11, exec_lo
	s_or_saveexec_b32 s25, s25
	v_mov_b32_e32 v44, s24
	s_xor_b32 exec_lo, exec_lo, s25
	s_cbranch_execz .LBB6_930
.LBB6_1561:                             ;   in Loop: Header=BB6_144 Depth=2
	v_cmp_ne_u16_e32 vcc_lo, 0, v45
	v_mov_b32_e32 v44, 0
	s_and_not1_b32 s11, s11, exec_lo
	s_and_b32 s24, vcc_lo, exec_lo
	s_delay_alu instid0(SALU_CYCLE_1)
	s_or_b32 s11, s11, s24
	s_or_b32 exec_lo, exec_lo, s25
	s_and_saveexec_b32 s24, s11
	s_cbranch_execnz .LBB6_931
	s_branch .LBB6_932
.LBB6_1562:                             ;   in Loop: Header=BB6_144 Depth=2
	s_mov_b32 s11, -1
	s_mov_b32 s26, exec_lo
                                        ; implicit-def: $sgpr24
	v_cmpx_eq_u16_e32 0x80, v45
; %bb.1563:                             ;   in Loop: Header=BB6_144 Depth=2
	s_mov_b32 s24, 0x7f800001
	s_xor_b32 s11, exec_lo, -1
; %bb.1564:                             ;   in Loop: Header=BB6_144 Depth=2
	s_or_b32 exec_lo, exec_lo, s26
	s_delay_alu instid0(SALU_CYCLE_1)
	s_and_b32 s11, s11, exec_lo
	s_or_saveexec_b32 s25, s25
	v_mov_b32_e32 v46, s24
	s_xor_b32 exec_lo, exec_lo, s25
	s_cbranch_execz .LBB6_934
.LBB6_1565:                             ;   in Loop: Header=BB6_144 Depth=2
	v_cmp_ne_u16_e32 vcc_lo, 0, v45
	v_mov_b32_e32 v46, 0
	s_and_not1_b32 s11, s11, exec_lo
	s_and_b32 s24, vcc_lo, exec_lo
	s_delay_alu instid0(SALU_CYCLE_1)
	s_or_b32 s11, s11, s24
	s_or_b32 exec_lo, exec_lo, s25
	s_and_saveexec_b32 s24, s11
	s_cbranch_execnz .LBB6_935
	s_branch .LBB6_936
.LBB6_1566:                             ;   in Loop: Header=BB6_144 Depth=2
	s_mov_b32 s11, -1
	s_mov_b32 s26, exec_lo
                                        ; implicit-def: $sgpr24
	v_cmpx_eq_u16_e32 0x80, v47
; %bb.1567:                             ;   in Loop: Header=BB6_144 Depth=2
	s_mov_b32 s24, 0x7f800001
	s_xor_b32 s11, exec_lo, -1
; %bb.1568:                             ;   in Loop: Header=BB6_144 Depth=2
	s_or_b32 exec_lo, exec_lo, s26
	s_delay_alu instid0(SALU_CYCLE_1)
	s_and_b32 s11, s11, exec_lo
                                        ; implicit-def: $vgpr47
	s_or_saveexec_b32 s25, s25
	v_mov_b32_e32 v45, s24
	s_xor_b32 exec_lo, exec_lo, s25
	s_cbranch_execz .LBB6_946
.LBB6_1569:                             ;   in Loop: Header=BB6_144 Depth=2
	v_cmp_ne_u16_e32 vcc_lo, 0, v47
	v_mov_b32_e32 v45, 0
	s_and_not1_b32 s11, s11, exec_lo
	s_and_b32 s24, vcc_lo, exec_lo
	s_delay_alu instid0(SALU_CYCLE_1)
	s_or_b32 s11, s11, s24
	s_or_b32 exec_lo, exec_lo, s25
	s_and_saveexec_b32 s24, s11
	s_cbranch_execnz .LBB6_947
	s_branch .LBB6_948
.LBB6_1570:                             ;   in Loop: Header=BB6_144 Depth=2
	s_mov_b32 s11, -1
	s_mov_b32 s26, exec_lo
                                        ; implicit-def: $sgpr24
	v_cmpx_eq_u16_e32 0x80, v56
; %bb.1571:                             ;   in Loop: Header=BB6_144 Depth=2
	s_mov_b32 s24, 0x7f800001
	s_xor_b32 s11, exec_lo, -1
; %bb.1572:                             ;   in Loop: Header=BB6_144 Depth=2
	s_or_b32 exec_lo, exec_lo, s26
	s_delay_alu instid0(SALU_CYCLE_1)
	s_and_b32 s11, s11, exec_lo
                                        ; implicit-def: $vgpr56
	s_or_saveexec_b32 s25, s25
	v_mov_b32_e32 v47, s24
	s_xor_b32 exec_lo, exec_lo, s25
	s_cbranch_execz .LBB6_950
.LBB6_1573:                             ;   in Loop: Header=BB6_144 Depth=2
	v_cmp_ne_u16_e32 vcc_lo, 0, v56
	v_mov_b32_e32 v47, 0
	s_and_not1_b32 s11, s11, exec_lo
	s_and_b32 s24, vcc_lo, exec_lo
	s_delay_alu instid0(SALU_CYCLE_1)
	s_or_b32 s11, s11, s24
	s_or_b32 exec_lo, exec_lo, s25
	s_and_saveexec_b32 s24, s11
	s_cbranch_execnz .LBB6_951
	s_branch .LBB6_952
.LBB6_1574:                             ;   in Loop: Header=BB6_144 Depth=2
	s_mov_b32 s11, -1
	s_mov_b32 s26, exec_lo
                                        ; implicit-def: $sgpr24
	v_cmpx_eq_u16_e32 0x80, v47
; %bb.1575:                             ;   in Loop: Header=BB6_144 Depth=2
	s_mov_b32 s24, 0x7f800001
	s_xor_b32 s11, exec_lo, -1
; %bb.1576:                             ;   in Loop: Header=BB6_144 Depth=2
	s_or_b32 exec_lo, exec_lo, s26
	s_delay_alu instid0(SALU_CYCLE_1)
	s_and_b32 s11, s11, exec_lo
	s_or_saveexec_b32 s25, s25
	v_mov_b32_e32 v46, s24
	s_xor_b32 exec_lo, exec_lo, s25
	s_cbranch_execz .LBB6_962
.LBB6_1577:                             ;   in Loop: Header=BB6_144 Depth=2
	v_cmp_ne_u16_e32 vcc_lo, 0, v47
	v_mov_b32_e32 v46, 0
	s_and_not1_b32 s11, s11, exec_lo
	s_and_b32 s24, vcc_lo, exec_lo
	s_delay_alu instid0(SALU_CYCLE_1)
	s_or_b32 s11, s11, s24
	s_or_b32 exec_lo, exec_lo, s25
	s_and_saveexec_b32 s24, s11
	s_cbranch_execnz .LBB6_963
	s_branch .LBB6_964
.LBB6_1578:                             ;   in Loop: Header=BB6_144 Depth=2
	s_mov_b32 s11, -1
	s_mov_b32 s26, exec_lo
                                        ; implicit-def: $sgpr24
	v_cmpx_eq_u16_e32 0x80, v14
; %bb.1579:                             ;   in Loop: Header=BB6_144 Depth=2
	s_mov_b32 s24, 0x7f800001
	s_xor_b32 s11, exec_lo, -1
; %bb.1580:                             ;   in Loop: Header=BB6_144 Depth=2
	s_or_b32 exec_lo, exec_lo, s26
	s_delay_alu instid0(SALU_CYCLE_1)
	s_and_b32 s11, s11, exec_lo
	s_or_saveexec_b32 s25, s25
	v_mov_b32_e32 v47, s24
	s_xor_b32 exec_lo, exec_lo, s25
	s_cbranch_execz .LBB6_966
.LBB6_1581:                             ;   in Loop: Header=BB6_144 Depth=2
	v_cmp_ne_u16_e32 vcc_lo, 0, v14
	v_mov_b32_e32 v47, 0
	s_and_not1_b32 s11, s11, exec_lo
	s_and_b32 s24, vcc_lo, exec_lo
	s_delay_alu instid0(SALU_CYCLE_1)
	s_or_b32 s11, s11, s24
	s_or_b32 exec_lo, exec_lo, s25
	s_and_saveexec_b32 s24, s11
	s_cbranch_execnz .LBB6_967
	s_branch .LBB6_968
.LBB6_1582:                             ;   in Loop: Header=BB6_144 Depth=2
	s_mov_b32 s11, -1
	s_mov_b32 s26, exec_lo
                                        ; implicit-def: $sgpr24
	v_cmpx_eq_u16_e32 0x80, v46
; %bb.1583:                             ;   in Loop: Header=BB6_144 Depth=2
	s_mov_b32 s24, 0x7f800001
	s_xor_b32 s11, exec_lo, -1
; %bb.1584:                             ;   in Loop: Header=BB6_144 Depth=2
	s_or_b32 exec_lo, exec_lo, s26
	s_delay_alu instid0(SALU_CYCLE_1)
	s_and_b32 s11, s11, exec_lo
                                        ; implicit-def: $vgpr46
	s_or_saveexec_b32 s25, s25
	v_mov_b32_e32 v14, s24
	s_xor_b32 exec_lo, exec_lo, s25
	s_cbranch_execz .LBB6_978
.LBB6_1585:                             ;   in Loop: Header=BB6_144 Depth=2
	v_cmp_ne_u16_e32 vcc_lo, 0, v46
	v_mov_b32_e32 v14, 0
	s_and_not1_b32 s11, s11, exec_lo
	s_and_b32 s24, vcc_lo, exec_lo
	s_delay_alu instid0(SALU_CYCLE_1)
	s_or_b32 s11, s11, s24
	s_or_b32 exec_lo, exec_lo, s25
	s_and_saveexec_b32 s24, s11
	s_cbranch_execnz .LBB6_979
	s_branch .LBB6_980
.LBB6_1586:                             ;   in Loop: Header=BB6_144 Depth=2
	s_mov_b32 s11, -1
	s_mov_b32 s26, exec_lo
                                        ; implicit-def: $sgpr24
	v_cmpx_eq_u16_e32 0x80, v47
; %bb.1587:                             ;   in Loop: Header=BB6_144 Depth=2
	s_mov_b32 s24, 0x7f800001
	s_xor_b32 s11, exec_lo, -1
; %bb.1588:                             ;   in Loop: Header=BB6_144 Depth=2
	s_or_b32 exec_lo, exec_lo, s26
	s_delay_alu instid0(SALU_CYCLE_1)
	s_and_b32 s11, s11, exec_lo
                                        ; implicit-def: $vgpr47
	s_or_saveexec_b32 s25, s25
	v_mov_b32_e32 v46, s24
	s_xor_b32 exec_lo, exec_lo, s25
	s_cbranch_execz .LBB6_982
.LBB6_1589:                             ;   in Loop: Header=BB6_144 Depth=2
	v_cmp_ne_u16_e32 vcc_lo, 0, v47
	v_mov_b32_e32 v46, 0
	s_and_not1_b32 s11, s11, exec_lo
	s_and_b32 s24, vcc_lo, exec_lo
	s_delay_alu instid0(SALU_CYCLE_1)
	s_or_b32 s11, s11, s24
	s_or_b32 exec_lo, exec_lo, s25
	s_and_saveexec_b32 s24, s11
	s_cbranch_execnz .LBB6_983
	s_branch .LBB6_984
.LBB6_1590:                             ;   in Loop: Header=BB6_144 Depth=2
	s_mov_b32 s11, -1
	s_mov_b32 s26, exec_lo
                                        ; implicit-def: $sgpr24
	v_cmpx_eq_u16_e32 0x80, v47
; %bb.1591:                             ;   in Loop: Header=BB6_144 Depth=2
	s_mov_b32 s24, 0x7f800001
	s_xor_b32 s11, exec_lo, -1
; %bb.1592:                             ;   in Loop: Header=BB6_144 Depth=2
	s_or_b32 exec_lo, exec_lo, s26
	s_delay_alu instid0(SALU_CYCLE_1)
	s_and_b32 s11, s11, exec_lo
	s_or_saveexec_b32 s25, s25
	v_mov_b32_e32 v46, s24
	s_xor_b32 exec_lo, exec_lo, s25
	s_cbranch_execz .LBB6_994
.LBB6_1593:                             ;   in Loop: Header=BB6_144 Depth=2
	v_cmp_ne_u16_e32 vcc_lo, 0, v47
	v_mov_b32_e32 v46, 0
	s_and_not1_b32 s11, s11, exec_lo
	s_and_b32 s24, vcc_lo, exec_lo
	s_delay_alu instid0(SALU_CYCLE_1)
	s_or_b32 s11, s11, s24
	s_or_b32 exec_lo, exec_lo, s25
	s_and_saveexec_b32 s24, s11
	s_cbranch_execnz .LBB6_995
	s_branch .LBB6_996
.LBB6_1594:                             ;   in Loop: Header=BB6_144 Depth=2
	s_mov_b32 s11, -1
	s_mov_b32 s26, exec_lo
                                        ; implicit-def: $sgpr24
	v_cmpx_eq_u16_e32 0x80, v47
; %bb.1595:                             ;   in Loop: Header=BB6_144 Depth=2
	s_mov_b32 s24, 0x7f800001
	s_xor_b32 s11, exec_lo, -1
; %bb.1596:                             ;   in Loop: Header=BB6_144 Depth=2
	s_or_b32 exec_lo, exec_lo, s26
	s_delay_alu instid0(SALU_CYCLE_1)
	s_and_b32 s11, s11, exec_lo
	s_or_saveexec_b32 s25, s25
	v_mov_b32_e32 v56, s24
	s_xor_b32 exec_lo, exec_lo, s25
	s_cbranch_execz .LBB6_998
.LBB6_1597:                             ;   in Loop: Header=BB6_144 Depth=2
	v_cmp_ne_u16_e32 vcc_lo, 0, v47
	v_mov_b32_e32 v56, 0
	s_and_not1_b32 s11, s11, exec_lo
	s_and_b32 s24, vcc_lo, exec_lo
	s_delay_alu instid0(SALU_CYCLE_1)
	s_or_b32 s11, s11, s24
	s_or_b32 exec_lo, exec_lo, s25
	s_and_saveexec_b32 s24, s11
	s_cbranch_execnz .LBB6_999
	s_branch .LBB6_1000
.LBB6_1598:                             ;   in Loop: Header=BB6_144 Depth=2
	s_mov_b32 s11, -1
	s_mov_b32 s26, exec_lo
                                        ; implicit-def: $sgpr24
	v_cmpx_eq_u16_e32 0x80, v57
; %bb.1599:                             ;   in Loop: Header=BB6_144 Depth=2
	s_mov_b32 s24, 0x7f800001
	s_xor_b32 s11, exec_lo, -1
; %bb.1600:                             ;   in Loop: Header=BB6_144 Depth=2
	s_or_b32 exec_lo, exec_lo, s26
	s_delay_alu instid0(SALU_CYCLE_1)
	s_and_b32 s11, s11, exec_lo
                                        ; implicit-def: $vgpr57
	s_or_saveexec_b32 s25, s25
	v_mov_b32_e32 v47, s24
	s_xor_b32 exec_lo, exec_lo, s25
	s_cbranch_execz .LBB6_1010
.LBB6_1601:                             ;   in Loop: Header=BB6_144 Depth=2
	v_cmp_ne_u16_e32 vcc_lo, 0, v57
	v_mov_b32_e32 v47, 0
	s_and_not1_b32 s11, s11, exec_lo
	s_and_b32 s24, vcc_lo, exec_lo
	s_delay_alu instid0(SALU_CYCLE_1)
	s_or_b32 s11, s11, s24
	s_or_b32 exec_lo, exec_lo, s25
	s_and_saveexec_b32 s24, s11
	s_cbranch_execnz .LBB6_1011
	s_branch .LBB6_1012
.LBB6_1602:                             ;   in Loop: Header=BB6_144 Depth=2
	s_mov_b32 s11, -1
	s_mov_b32 s26, exec_lo
                                        ; implicit-def: $sgpr24
	v_cmpx_eq_u16_e32 0x80, v58
; %bb.1603:                             ;   in Loop: Header=BB6_144 Depth=2
	s_mov_b32 s24, 0x7f800001
	s_xor_b32 s11, exec_lo, -1
; %bb.1604:                             ;   in Loop: Header=BB6_144 Depth=2
	s_or_b32 exec_lo, exec_lo, s26
	s_delay_alu instid0(SALU_CYCLE_1)
	s_and_b32 s11, s11, exec_lo
                                        ; implicit-def: $vgpr58
	s_or_saveexec_b32 s25, s25
	v_mov_b32_e32 v57, s24
	s_xor_b32 exec_lo, exec_lo, s25
	s_cbranch_execz .LBB6_1014
.LBB6_1605:                             ;   in Loop: Header=BB6_144 Depth=2
	v_cmp_ne_u16_e32 vcc_lo, 0, v58
	v_mov_b32_e32 v57, 0
	s_and_not1_b32 s11, s11, exec_lo
	s_and_b32 s24, vcc_lo, exec_lo
	s_delay_alu instid0(SALU_CYCLE_1)
	s_or_b32 s11, s11, s24
	s_or_b32 exec_lo, exec_lo, s25
	s_and_saveexec_b32 s24, s11
	s_cbranch_execnz .LBB6_1015
	s_branch .LBB6_1016
.LBB6_1606:                             ;   in Loop: Header=BB6_144 Depth=2
	s_mov_b32 s11, -1
	s_mov_b32 s26, exec_lo
                                        ; implicit-def: $sgpr24
	v_cmpx_eq_u16_e32 0x80, v57
; %bb.1607:                             ;   in Loop: Header=BB6_144 Depth=2
	s_mov_b32 s24, 0x7f800001
	s_xor_b32 s11, exec_lo, -1
; %bb.1608:                             ;   in Loop: Header=BB6_144 Depth=2
	s_or_b32 exec_lo, exec_lo, s26
	s_delay_alu instid0(SALU_CYCLE_1)
	s_and_b32 s11, s11, exec_lo
	s_or_saveexec_b32 s25, s25
	v_mov_b32_e32 v56, s24
	s_xor_b32 exec_lo, exec_lo, s25
	s_cbranch_execz .LBB6_1026
.LBB6_1609:                             ;   in Loop: Header=BB6_144 Depth=2
	v_cmp_ne_u16_e32 vcc_lo, 0, v57
	v_mov_b32_e32 v56, 0
	s_and_not1_b32 s11, s11, exec_lo
	s_and_b32 s24, vcc_lo, exec_lo
	s_delay_alu instid0(SALU_CYCLE_1)
	s_or_b32 s11, s11, s24
	s_or_b32 exec_lo, exec_lo, s25
	s_and_saveexec_b32 s24, s11
	s_cbranch_execnz .LBB6_1027
	s_branch .LBB6_1028
.LBB6_1610:                             ;   in Loop: Header=BB6_144 Depth=2
	s_mov_b32 s11, -1
	s_mov_b32 s26, exec_lo
                                        ; implicit-def: $sgpr24
	v_cmpx_eq_u16_e32 0x80, v15
; %bb.1611:                             ;   in Loop: Header=BB6_144 Depth=2
	s_mov_b32 s24, 0x7f800001
	s_xor_b32 s11, exec_lo, -1
; %bb.1612:                             ;   in Loop: Header=BB6_144 Depth=2
	s_or_b32 exec_lo, exec_lo, s26
	s_delay_alu instid0(SALU_CYCLE_1)
	s_and_b32 s11, s11, exec_lo
	s_or_saveexec_b32 s25, s25
	v_mov_b32_e32 v57, s24
	s_xor_b32 exec_lo, exec_lo, s25
	s_cbranch_execz .LBB6_1030
.LBB6_1613:                             ;   in Loop: Header=BB6_144 Depth=2
	v_cmp_ne_u16_e32 vcc_lo, 0, v15
	v_mov_b32_e32 v57, 0
	s_and_not1_b32 s11, s11, exec_lo
	s_and_b32 s24, vcc_lo, exec_lo
	s_delay_alu instid0(SALU_CYCLE_1)
	s_or_b32 s11, s11, s24
	s_or_b32 exec_lo, exec_lo, s25
	s_and_saveexec_b32 s24, s11
	s_cbranch_execnz .LBB6_1031
	s_branch .LBB6_1032
.LBB6_1614:                             ;   in Loop: Header=BB6_144 Depth=2
	s_mov_b32 s11, -1
	s_mov_b32 s26, exec_lo
                                        ; implicit-def: $sgpr24
	v_cmpx_eq_u16_e32 0x80, v56
; %bb.1615:                             ;   in Loop: Header=BB6_144 Depth=2
	s_mov_b32 s24, 0x7f800001
	s_xor_b32 s11, exec_lo, -1
; %bb.1616:                             ;   in Loop: Header=BB6_144 Depth=2
	s_or_b32 exec_lo, exec_lo, s26
	s_delay_alu instid0(SALU_CYCLE_1)
	s_and_b32 s11, s11, exec_lo
                                        ; implicit-def: $vgpr56
	s_or_saveexec_b32 s25, s25
	v_mov_b32_e32 v15, s24
	s_xor_b32 exec_lo, exec_lo, s25
	s_cbranch_execz .LBB6_1042
.LBB6_1617:                             ;   in Loop: Header=BB6_144 Depth=2
	v_cmp_ne_u16_e32 vcc_lo, 0, v56
	v_mov_b32_e32 v15, 0
	s_and_not1_b32 s11, s11, exec_lo
	s_and_b32 s24, vcc_lo, exec_lo
	s_delay_alu instid0(SALU_CYCLE_1)
	s_or_b32 s11, s11, s24
	s_or_b32 exec_lo, exec_lo, s25
	s_and_saveexec_b32 s24, s11
	s_cbranch_execnz .LBB6_1043
	s_branch .LBB6_1044
.LBB6_1618:                             ;   in Loop: Header=BB6_144 Depth=2
	s_mov_b32 s11, -1
	s_mov_b32 s26, exec_lo
                                        ; implicit-def: $sgpr24
	v_cmpx_eq_u16_e32 0x80, v57
; %bb.1619:                             ;   in Loop: Header=BB6_144 Depth=2
	s_mov_b32 s24, 0x7f800001
	s_xor_b32 s11, exec_lo, -1
; %bb.1620:                             ;   in Loop: Header=BB6_144 Depth=2
	s_or_b32 exec_lo, exec_lo, s26
	s_delay_alu instid0(SALU_CYCLE_1)
	s_and_b32 s11, s11, exec_lo
                                        ; implicit-def: $vgpr57
	s_or_saveexec_b32 s25, s25
	v_mov_b32_e32 v56, s24
	s_xor_b32 exec_lo, exec_lo, s25
	s_cbranch_execz .LBB6_1046
.LBB6_1621:                             ;   in Loop: Header=BB6_144 Depth=2
	v_cmp_ne_u16_e32 vcc_lo, 0, v57
	v_mov_b32_e32 v56, 0
	s_and_not1_b32 s11, s11, exec_lo
	s_and_b32 s24, vcc_lo, exec_lo
	s_delay_alu instid0(SALU_CYCLE_1)
	s_or_b32 s11, s11, s24
	s_or_b32 exec_lo, exec_lo, s25
	s_and_saveexec_b32 s24, s11
	s_cbranch_execnz .LBB6_1047
	s_branch .LBB6_1048
.LBB6_1622:                             ;   in Loop: Header=BB6_144 Depth=2
	s_mov_b32 s11, -1
	s_mov_b32 s26, exec_lo
                                        ; implicit-def: $sgpr24
	v_cmpx_eq_u16_e32 0x80, v57
; %bb.1623:                             ;   in Loop: Header=BB6_144 Depth=2
	s_mov_b32 s24, 0x7f800001
	s_xor_b32 s11, exec_lo, -1
; %bb.1624:                             ;   in Loop: Header=BB6_144 Depth=2
	s_or_b32 exec_lo, exec_lo, s26
	s_delay_alu instid0(SALU_CYCLE_1)
	s_and_b32 s11, s11, exec_lo
	s_or_saveexec_b32 s25, s25
	v_mov_b32_e32 v56, s24
	s_xor_b32 exec_lo, exec_lo, s25
	s_cbranch_execz .LBB6_1058
.LBB6_1625:                             ;   in Loop: Header=BB6_144 Depth=2
	v_cmp_ne_u16_e32 vcc_lo, 0, v57
	v_mov_b32_e32 v56, 0
	s_and_not1_b32 s11, s11, exec_lo
	s_and_b32 s24, vcc_lo, exec_lo
	s_delay_alu instid0(SALU_CYCLE_1)
	s_or_b32 s11, s11, s24
	s_or_b32 exec_lo, exec_lo, s25
	s_and_saveexec_b32 s24, s11
	s_cbranch_execnz .LBB6_1059
	s_branch .LBB6_1060
.LBB6_1626:                             ;   in Loop: Header=BB6_144 Depth=2
	s_mov_b32 s11, -1
	s_mov_b32 s26, exec_lo
                                        ; implicit-def: $sgpr24
	v_cmpx_eq_u16_e32 0x80, v57
; %bb.1627:                             ;   in Loop: Header=BB6_144 Depth=2
	s_mov_b32 s24, 0x7f800001
	s_xor_b32 s11, exec_lo, -1
; %bb.1628:                             ;   in Loop: Header=BB6_144 Depth=2
	s_or_b32 exec_lo, exec_lo, s26
	s_delay_alu instid0(SALU_CYCLE_1)
	s_and_b32 s11, s11, exec_lo
	s_or_saveexec_b32 s25, s25
	v_mov_b32_e32 v58, s24
	s_xor_b32 exec_lo, exec_lo, s25
	s_cbranch_execz .LBB6_1062
.LBB6_1629:                             ;   in Loop: Header=BB6_144 Depth=2
	v_cmp_ne_u16_e32 vcc_lo, 0, v57
	v_mov_b32_e32 v58, 0
	s_and_not1_b32 s11, s11, exec_lo
	s_and_b32 s24, vcc_lo, exec_lo
	s_delay_alu instid0(SALU_CYCLE_1)
	s_or_b32 s11, s11, s24
	s_or_b32 exec_lo, exec_lo, s25
	s_and_saveexec_b32 s24, s11
	s_cbranch_execnz .LBB6_1063
	s_branch .LBB6_1064
.LBB6_1630:                             ;   in Loop: Header=BB6_144 Depth=2
	s_mov_b32 s11, -1
	s_mov_b32 s26, exec_lo
                                        ; implicit-def: $sgpr24
	v_cmpx_eq_u16_e32 0x80, v59
; %bb.1631:                             ;   in Loop: Header=BB6_144 Depth=2
	s_mov_b32 s24, 0x7f800001
	s_xor_b32 s11, exec_lo, -1
; %bb.1632:                             ;   in Loop: Header=BB6_144 Depth=2
	s_or_b32 exec_lo, exec_lo, s26
	s_delay_alu instid0(SALU_CYCLE_1)
	s_and_b32 s11, s11, exec_lo
                                        ; implicit-def: $vgpr59
	s_or_saveexec_b32 s25, s25
	v_mov_b32_e32 v57, s24
	s_xor_b32 exec_lo, exec_lo, s25
	s_cbranch_execz .LBB6_1074
.LBB6_1633:                             ;   in Loop: Header=BB6_144 Depth=2
	v_cmp_ne_u16_e32 vcc_lo, 0, v59
	v_mov_b32_e32 v57, 0
	s_and_not1_b32 s11, s11, exec_lo
	s_and_b32 s24, vcc_lo, exec_lo
	s_delay_alu instid0(SALU_CYCLE_1)
	s_or_b32 s11, s11, s24
	s_or_b32 exec_lo, exec_lo, s25
	s_and_saveexec_b32 s24, s11
	s_cbranch_execnz .LBB6_1075
	s_branch .LBB6_1076
.LBB6_1634:                             ;   in Loop: Header=BB6_144 Depth=2
	s_mov_b32 s11, -1
	s_mov_b32 s26, exec_lo
                                        ; implicit-def: $sgpr24
	v_cmpx_eq_u16_e32 0x80, v60
; %bb.1635:                             ;   in Loop: Header=BB6_144 Depth=2
	s_mov_b32 s24, 0x7f800001
	s_xor_b32 s11, exec_lo, -1
; %bb.1636:                             ;   in Loop: Header=BB6_144 Depth=2
	s_or_b32 exec_lo, exec_lo, s26
	s_delay_alu instid0(SALU_CYCLE_1)
	s_and_b32 s11, s11, exec_lo
                                        ; implicit-def: $vgpr60
	s_or_saveexec_b32 s25, s25
	v_mov_b32_e32 v59, s24
	s_xor_b32 exec_lo, exec_lo, s25
	s_cbranch_execz .LBB6_1078
.LBB6_1637:                             ;   in Loop: Header=BB6_144 Depth=2
	v_cmp_ne_u16_e32 vcc_lo, 0, v60
	v_mov_b32_e32 v59, 0
	s_and_not1_b32 s11, s11, exec_lo
	s_and_b32 s24, vcc_lo, exec_lo
	s_delay_alu instid0(SALU_CYCLE_1)
	s_or_b32 s11, s11, s24
	s_or_b32 exec_lo, exec_lo, s25
	s_and_saveexec_b32 s24, s11
	s_cbranch_execnz .LBB6_1079
	s_branch .LBB6_1080
.LBB6_1638:                             ;   in Loop: Header=BB6_144 Depth=2
	s_mov_b32 s11, -1
	s_mov_b32 s26, exec_lo
                                        ; implicit-def: $sgpr24
	v_cmpx_eq_u16_e32 0x80, v59
; %bb.1639:                             ;   in Loop: Header=BB6_144 Depth=2
	s_mov_b32 s24, 0x7f800001
	s_xor_b32 s11, exec_lo, -1
; %bb.1640:                             ;   in Loop: Header=BB6_144 Depth=2
	s_or_b32 exec_lo, exec_lo, s26
	s_delay_alu instid0(SALU_CYCLE_1)
	s_and_b32 s11, s11, exec_lo
	s_or_saveexec_b32 s25, s25
	v_mov_b32_e32 v58, s24
	s_xor_b32 exec_lo, exec_lo, s25
	s_cbranch_execz .LBB6_1090
.LBB6_1641:                             ;   in Loop: Header=BB6_144 Depth=2
	v_cmp_ne_u16_e32 vcc_lo, 0, v59
	v_mov_b32_e32 v58, 0
	s_and_not1_b32 s11, s11, exec_lo
	s_and_b32 s24, vcc_lo, exec_lo
	s_delay_alu instid0(SALU_CYCLE_1)
	s_or_b32 s11, s11, s24
	s_or_b32 exec_lo, exec_lo, s25
	s_and_saveexec_b32 s24, s11
	s_cbranch_execnz .LBB6_1091
	s_branch .LBB6_1092
.LBB6_1642:                             ;   in Loop: Header=BB6_144 Depth=2
	s_mov_b32 s11, -1
	s_mov_b32 s26, exec_lo
                                        ; implicit-def: $sgpr24
	v_cmpx_eq_u16_e32 0x80, v16
; %bb.1643:                             ;   in Loop: Header=BB6_144 Depth=2
	s_mov_b32 s24, 0x7f800001
	s_xor_b32 s11, exec_lo, -1
; %bb.1644:                             ;   in Loop: Header=BB6_144 Depth=2
	s_or_b32 exec_lo, exec_lo, s26
	s_delay_alu instid0(SALU_CYCLE_1)
	s_and_b32 s11, s11, exec_lo
	s_or_saveexec_b32 s25, s25
	v_mov_b32_e32 v59, s24
	s_xor_b32 exec_lo, exec_lo, s25
	s_cbranch_execz .LBB6_1094
.LBB6_1645:                             ;   in Loop: Header=BB6_144 Depth=2
	v_cmp_ne_u16_e32 vcc_lo, 0, v16
	v_mov_b32_e32 v59, 0
	s_and_not1_b32 s11, s11, exec_lo
	s_and_b32 s24, vcc_lo, exec_lo
	s_delay_alu instid0(SALU_CYCLE_1)
	s_or_b32 s11, s11, s24
	s_or_b32 exec_lo, exec_lo, s25
	s_and_saveexec_b32 s24, s11
	s_cbranch_execnz .LBB6_1095
	s_branch .LBB6_1096
.LBB6_1646:                             ;   in Loop: Header=BB6_144 Depth=2
	s_mov_b32 s11, -1
	s_mov_b32 s26, exec_lo
                                        ; implicit-def: $sgpr24
	v_cmpx_eq_u16_e32 0x80, v58
; %bb.1647:                             ;   in Loop: Header=BB6_144 Depth=2
	s_mov_b32 s24, 0x7f800001
	s_xor_b32 s11, exec_lo, -1
; %bb.1648:                             ;   in Loop: Header=BB6_144 Depth=2
	s_or_b32 exec_lo, exec_lo, s26
	s_delay_alu instid0(SALU_CYCLE_1)
	s_and_b32 s11, s11, exec_lo
                                        ; implicit-def: $vgpr58
	s_or_saveexec_b32 s25, s25
	v_mov_b32_e32 v16, s24
	s_xor_b32 exec_lo, exec_lo, s25
	s_cbranch_execz .LBB6_1106
.LBB6_1649:                             ;   in Loop: Header=BB6_144 Depth=2
	v_cmp_ne_u16_e32 vcc_lo, 0, v58
	v_mov_b32_e32 v16, 0
	s_and_not1_b32 s11, s11, exec_lo
	s_and_b32 s24, vcc_lo, exec_lo
	s_delay_alu instid0(SALU_CYCLE_1)
	s_or_b32 s11, s11, s24
	s_or_b32 exec_lo, exec_lo, s25
	s_and_saveexec_b32 s24, s11
	s_cbranch_execnz .LBB6_1107
	s_branch .LBB6_1108
.LBB6_1650:                             ;   in Loop: Header=BB6_144 Depth=2
	s_mov_b32 s11, -1
	s_mov_b32 s26, exec_lo
                                        ; implicit-def: $sgpr24
	v_cmpx_eq_u16_e32 0x80, v59
; %bb.1651:                             ;   in Loop: Header=BB6_144 Depth=2
	s_mov_b32 s24, 0x7f800001
	s_xor_b32 s11, exec_lo, -1
; %bb.1652:                             ;   in Loop: Header=BB6_144 Depth=2
	s_or_b32 exec_lo, exec_lo, s26
	s_delay_alu instid0(SALU_CYCLE_1)
	s_and_b32 s11, s11, exec_lo
                                        ; implicit-def: $vgpr59
	s_or_saveexec_b32 s25, s25
	v_mov_b32_e32 v58, s24
	s_xor_b32 exec_lo, exec_lo, s25
	s_cbranch_execz .LBB6_1110
.LBB6_1653:                             ;   in Loop: Header=BB6_144 Depth=2
	v_cmp_ne_u16_e32 vcc_lo, 0, v59
	v_mov_b32_e32 v58, 0
	s_and_not1_b32 s11, s11, exec_lo
	s_and_b32 s24, vcc_lo, exec_lo
	s_delay_alu instid0(SALU_CYCLE_1)
	s_or_b32 s11, s11, s24
	s_or_b32 exec_lo, exec_lo, s25
	s_and_saveexec_b32 s24, s11
	s_cbranch_execnz .LBB6_1111
	s_branch .LBB6_1112
.LBB6_1654:                             ;   in Loop: Header=BB6_144 Depth=2
	s_mov_b32 s11, -1
	s_mov_b32 s26, exec_lo
                                        ; implicit-def: $sgpr24
	v_cmpx_eq_u16_e32 0x80, v59
; %bb.1655:                             ;   in Loop: Header=BB6_144 Depth=2
	s_mov_b32 s24, 0x7f800001
	s_xor_b32 s11, exec_lo, -1
; %bb.1656:                             ;   in Loop: Header=BB6_144 Depth=2
	s_or_b32 exec_lo, exec_lo, s26
	s_delay_alu instid0(SALU_CYCLE_1)
	s_and_b32 s11, s11, exec_lo
	s_or_saveexec_b32 s25, s25
	v_mov_b32_e32 v58, s24
	s_xor_b32 exec_lo, exec_lo, s25
	s_cbranch_execz .LBB6_1122
.LBB6_1657:                             ;   in Loop: Header=BB6_144 Depth=2
	v_cmp_ne_u16_e32 vcc_lo, 0, v59
	v_mov_b32_e32 v58, 0
	s_and_not1_b32 s11, s11, exec_lo
	s_and_b32 s24, vcc_lo, exec_lo
	s_delay_alu instid0(SALU_CYCLE_1)
	s_or_b32 s11, s11, s24
	s_or_b32 exec_lo, exec_lo, s25
	s_and_saveexec_b32 s24, s11
	s_cbranch_execnz .LBB6_1123
	s_branch .LBB6_1124
.LBB6_1658:                             ;   in Loop: Header=BB6_144 Depth=2
	s_mov_b32 s11, -1
	s_mov_b32 s26, exec_lo
                                        ; implicit-def: $sgpr24
	v_cmpx_eq_u16_e32 0x80, v59
; %bb.1659:                             ;   in Loop: Header=BB6_144 Depth=2
	s_mov_b32 s24, 0x7f800001
	s_xor_b32 s11, exec_lo, -1
; %bb.1660:                             ;   in Loop: Header=BB6_144 Depth=2
	s_or_b32 exec_lo, exec_lo, s26
	s_delay_alu instid0(SALU_CYCLE_1)
	s_and_b32 s11, s11, exec_lo
	s_or_saveexec_b32 s25, s25
	v_mov_b32_e32 v60, s24
	s_xor_b32 exec_lo, exec_lo, s25
	s_cbranch_execz .LBB6_1126
.LBB6_1661:                             ;   in Loop: Header=BB6_144 Depth=2
	v_cmp_ne_u16_e32 vcc_lo, 0, v59
	v_mov_b32_e32 v60, 0
	s_and_not1_b32 s11, s11, exec_lo
	s_and_b32 s24, vcc_lo, exec_lo
	s_delay_alu instid0(SALU_CYCLE_1)
	s_or_b32 s11, s11, s24
	s_or_b32 exec_lo, exec_lo, s25
	s_and_saveexec_b32 s24, s11
	s_cbranch_execnz .LBB6_1127
	s_branch .LBB6_1128
.LBB6_1662:                             ;   in Loop: Header=BB6_144 Depth=2
	s_mov_b32 s11, -1
	s_mov_b32 s26, exec_lo
                                        ; implicit-def: $sgpr24
	v_cmpx_eq_u16_e32 0x80, v61
; %bb.1663:                             ;   in Loop: Header=BB6_144 Depth=2
	s_mov_b32 s24, 0x7f800001
	s_xor_b32 s11, exec_lo, -1
; %bb.1664:                             ;   in Loop: Header=BB6_144 Depth=2
	s_or_b32 exec_lo, exec_lo, s26
	s_delay_alu instid0(SALU_CYCLE_1)
	s_and_b32 s11, s11, exec_lo
                                        ; implicit-def: $vgpr61
	s_or_saveexec_b32 s25, s25
	v_mov_b32_e32 v59, s24
	s_xor_b32 exec_lo, exec_lo, s25
	s_cbranch_execz .LBB6_1138
.LBB6_1665:                             ;   in Loop: Header=BB6_144 Depth=2
	v_cmp_ne_u16_e32 vcc_lo, 0, v61
	v_mov_b32_e32 v59, 0
	s_and_not1_b32 s11, s11, exec_lo
	s_and_b32 s24, vcc_lo, exec_lo
	s_delay_alu instid0(SALU_CYCLE_1)
	s_or_b32 s11, s11, s24
	s_or_b32 exec_lo, exec_lo, s25
	s_and_saveexec_b32 s24, s11
	s_cbranch_execnz .LBB6_1139
	s_branch .LBB6_1140
.LBB6_1666:                             ;   in Loop: Header=BB6_144 Depth=2
	s_mov_b32 s11, -1
	s_mov_b32 s26, exec_lo
                                        ; implicit-def: $sgpr24
	v_cmpx_eq_u16_e32 0x80, v62
; %bb.1667:                             ;   in Loop: Header=BB6_144 Depth=2
	s_mov_b32 s24, 0x7f800001
	s_xor_b32 s11, exec_lo, -1
; %bb.1668:                             ;   in Loop: Header=BB6_144 Depth=2
	s_or_b32 exec_lo, exec_lo, s26
	s_delay_alu instid0(SALU_CYCLE_1)
	s_and_b32 s11, s11, exec_lo
                                        ; implicit-def: $vgpr62
	s_or_saveexec_b32 s25, s25
	v_mov_b32_e32 v61, s24
	s_xor_b32 exec_lo, exec_lo, s25
	s_cbranch_execz .LBB6_1142
.LBB6_1669:                             ;   in Loop: Header=BB6_144 Depth=2
	v_cmp_ne_u16_e32 vcc_lo, 0, v62
	v_mov_b32_e32 v61, 0
	s_and_not1_b32 s11, s11, exec_lo
	s_and_b32 s24, vcc_lo, exec_lo
	s_delay_alu instid0(SALU_CYCLE_1)
	s_or_b32 s11, s11, s24
	s_or_b32 exec_lo, exec_lo, s25
	s_and_saveexec_b32 s24, s11
	s_cbranch_execnz .LBB6_1143
	s_branch .LBB6_1144
.LBB6_1670:                             ;   in Loop: Header=BB6_144 Depth=2
	s_mov_b32 s11, -1
	s_mov_b32 s26, exec_lo
                                        ; implicit-def: $sgpr24
	v_cmpx_eq_u16_e32 0x80, v61
; %bb.1671:                             ;   in Loop: Header=BB6_144 Depth=2
	s_mov_b32 s24, 0x7f800001
	s_xor_b32 s11, exec_lo, -1
; %bb.1672:                             ;   in Loop: Header=BB6_144 Depth=2
	s_or_b32 exec_lo, exec_lo, s26
	s_delay_alu instid0(SALU_CYCLE_1)
	s_and_b32 s11, s11, exec_lo
	s_or_saveexec_b32 s25, s25
	v_mov_b32_e32 v60, s24
	s_xor_b32 exec_lo, exec_lo, s25
	s_cbranch_execz .LBB6_1154
.LBB6_1673:                             ;   in Loop: Header=BB6_144 Depth=2
	v_cmp_ne_u16_e32 vcc_lo, 0, v61
	v_mov_b32_e32 v60, 0
	s_and_not1_b32 s11, s11, exec_lo
	s_and_b32 s24, vcc_lo, exec_lo
	s_delay_alu instid0(SALU_CYCLE_1)
	s_or_b32 s11, s11, s24
	s_or_b32 exec_lo, exec_lo, s25
	s_and_saveexec_b32 s24, s11
	s_cbranch_execnz .LBB6_1155
	s_branch .LBB6_1156
.LBB6_1674:                             ;   in Loop: Header=BB6_144 Depth=2
	s_mov_b32 s11, -1
	s_mov_b32 s26, exec_lo
                                        ; implicit-def: $sgpr24
	v_cmpx_eq_u16_e32 0x80, v17
; %bb.1675:                             ;   in Loop: Header=BB6_144 Depth=2
	s_mov_b32 s24, 0x7f800001
	s_xor_b32 s11, exec_lo, -1
; %bb.1676:                             ;   in Loop: Header=BB6_144 Depth=2
	s_or_b32 exec_lo, exec_lo, s26
	s_delay_alu instid0(SALU_CYCLE_1)
	s_and_b32 s11, s11, exec_lo
	s_or_saveexec_b32 s25, s25
	v_mov_b32_e32 v61, s24
	s_xor_b32 exec_lo, exec_lo, s25
	s_cbranch_execz .LBB6_1158
.LBB6_1677:                             ;   in Loop: Header=BB6_144 Depth=2
	v_cmp_ne_u16_e32 vcc_lo, 0, v17
	v_mov_b32_e32 v61, 0
	s_and_not1_b32 s11, s11, exec_lo
	s_and_b32 s24, vcc_lo, exec_lo
	s_delay_alu instid0(SALU_CYCLE_1)
	s_or_b32 s11, s11, s24
	s_or_b32 exec_lo, exec_lo, s25
	s_and_saveexec_b32 s24, s11
	s_cbranch_execnz .LBB6_1159
	s_branch .LBB6_1160
.LBB6_1678:                             ;   in Loop: Header=BB6_53 Depth=1
	s_or_b32 exec_lo, exec_lo, s23
.LBB6_1679:                             ;   in Loop: Header=BB6_53 Depth=1
	s_delay_alu instid0(SALU_CYCLE_1) | instskip(SKIP_3) | instid1(VALU_DEP_1)
	s_or_b32 exec_lo, exec_lo, s12
	v_dual_mov_b32 v16, 0 :: v_dual_and_b32 v11, 0x3ffff800, v87
	s_mov_b32 s11, 0
	s_mov_b32 s23, exec_lo
                                        ; implicit-def: $vgpr17
                                        ; implicit-def: $vgpr18
                                        ; implicit-def: $vgpr10
	v_cmpx_ne_u32_e64 v11, v87
	s_cbranch_execz .LBB6_2072
; %bb.1680:                             ;   in Loop: Header=BB6_53 Depth=1
	v_lshlrev_b32_e32 v10, 5, v146
	v_bfe_u32 v15, v87, 9, 2
	s_mov_b32 s24, exec_lo
	s_delay_alu instid0(VALU_DEP_2) | instskip(NEXT) | instid1(VALU_DEP_1)
	v_sub_nc_u32_e32 v10, v118, v10
	v_ashrrev_i32_e32 v12, 31, v10
	s_delay_alu instid0(VALU_DEP_1) | instskip(NEXT) | instid1(VALU_DEP_1)
	v_lshrrev_b32_e32 v12, 27, v12
	v_add_nc_u32_e32 v12, v10, v12
	s_delay_alu instid0(VALU_DEP_1) | instskip(SKIP_1) | instid1(VALU_DEP_2)
	v_and_b32_e32 v13, 0xffffffe0, v12
	v_ashrrev_i32_e32 v12, 5, v12
	v_sub_nc_u32_e32 v24, v10, v13
	v_and_b32_e32 v13, 0x7ff, v87
	v_and_b32_e32 v10, 0x600, v87
	s_delay_alu instid0(VALU_DEP_3) | instskip(NEXT) | instid1(VALU_DEP_2)
	v_lshlrev_b32_e32 v14, 4, v24
	v_sub_nc_u32_e32 v25, v13, v10
	s_delay_alu instid0(VALU_DEP_2) | instskip(NEXT) | instid1(VALU_DEP_2)
	v_lshl_add_u32 v10, v12, 9, v14
	v_cmp_lt_i32_e32 vcc_lo, 15, v25
	s_delay_alu instid0(VALU_DEP_2) | instskip(SKIP_1) | instid1(VALU_DEP_1)
	v_sub_nc_u32_e32 v27, v13, v10
	v_add_co_ci_u32_e64 v14, s11, 0, v15, vcc_lo
	v_sub_nc_u32_e32 v26, v14, v12
	s_delay_alu instid0(VALU_DEP_3)
	v_cmpx_lt_i32_e32 15, v27
	s_cbranch_execz .LBB6_2069
; %bb.1681:                             ;   in Loop: Header=BB6_53 Depth=1
	s_cbranch_execz .LBB6_1682
; %bb.6433:
	s_getpc_b64 s[34:35]
.Lpost_getpc70:
	s_add_u32 s34, s34, (.LBB6_6329-.Lpost_getpc70)&4294967295
	s_addc_u32 s35, s35, (.LBB6_6329-.Lpost_getpc70)>>32
	s_setpc_b64 s[34:35]
.LBB6_1682:                             ;   in Loop: Header=BB6_53 Depth=1
	ds_load_b128 v[12:15], v0
	ds_load_b64 v[16:17], v0
	v_add_nc_u32_e32 v10, v10, v11
	s_mov_b32 s25, 0
	s_delay_alu instid0(VALU_DEP_1) | instskip(SKIP_2) | instid1(VALU_DEP_1)
	v_ashrrev_i32_e32 v11, 31, v10
	s_waitcnt lgkmcnt(1)
	v_add_co_u32 v18, s11, v12, v10
	v_add_co_ci_u32_e64 v19, s11, v13, v11, s11
	v_add_co_u32 v20, s11, v14, v10
	s_delay_alu instid0(VALU_DEP_1) | instskip(SKIP_2) | instid1(VALU_DEP_1)
	v_add_co_ci_u32_e64 v21, s11, v15, v11, s11
	s_waitcnt lgkmcnt(0)
	v_add_co_u32 v22, s11, v16, v10
	v_add_co_ci_u32_e64 v23, s11, v17, v11, s11
	s_branch .LBB6_1686
.LBB6_1683:                             ;   in Loop: Header=BB6_1686 Depth=2
	s_or_b32 exec_lo, exec_lo, s11
	s_delay_alu instid0(VALU_DEP_1) | instskip(NEXT) | instid1(VALU_DEP_2)
	v_lshrrev_b32_e32 v39, 21, v39
	v_min_i32_e32 v48, 31, v17
	v_cmp_gt_i32_e64 s11, 32, v17
	v_lshrrev_b32_e32 v13, 24, v13
	s_delay_alu instid0(VALU_DEP_3) | instskip(NEXT) | instid1(VALU_DEP_3)
	v_lshlrev_b32_e32 v48, 2, v48
	v_cndmask_b32_e64 v39, 3, v39, s11
	s_delay_alu instid0(VALU_DEP_3) | instskip(NEXT) | instid1(VALU_DEP_3)
	v_and_b32_e32 v13, 0x80, v13
	v_and_b32_e32 v48, 0xfc, v48
	s_delay_alu instid0(VALU_DEP_3) | instskip(SKIP_1) | instid1(VALU_DEP_2)
	v_and_b32_e32 v49, 3, v39
	v_or_b32_e32 v17, v17, v39
	v_or3_b32 v13, v13, v48, v49
	s_delay_alu instid0(VALU_DEP_2) | instskip(NEXT) | instid1(VALU_DEP_2)
	v_cmp_ne_u32_e64 s11, 0, v17
	v_lshlrev_b32_e32 v13, 8, v13
	s_delay_alu instid0(VALU_DEP_1)
	v_cndmask_b32_e64 v17, 0, v13, s11
.LBB6_1684:                             ;   in Loop: Header=BB6_1686 Depth=2
	s_or_b32 exec_lo, exec_lo, s27
.LBB6_1685:                             ;   in Loop: Header=BB6_1686 Depth=2
	s_delay_alu instid0(SALU_CYCLE_1)
	s_or_b32 exec_lo, exec_lo, s26
	v_or_b32_e32 v11, v11, v34
	v_and_b32_e32 v13, 0xff, v32
	v_lshlrev_b32_e32 v29, 8, v29
	v_and_b32_e32 v32, 0xff, v36
	v_lshlrev_b32_e32 v34, 8, v35
	v_or_b32_e32 v17, v17, v38
	v_and_b32_e32 v14, 0xff, v14
	v_lshlrev_b32_e32 v10, 24, v10
	v_lshlrev_b32_e32 v11, 16, v11
	;; [unrolled: 1-line block ×3, first 2 shown]
	v_perm_b32 v28, v29, v28, 0xc0c0500
	v_lshlrev_b32_e32 v12, 24, v12
	v_lshlrev_b32_e32 v29, 16, v32
	v_perm_b32 v15, v34, v15, 0xc0c0500
	v_and_b32_e32 v16, 0xff, v16
	v_lshlrev_b32_e32 v17, 16, v17
	v_add_co_u32 v18, s11, v18, v131
	v_or3_b32 v11, v33, v14, v11
	v_or3_b32 v10, v10, v13, v28
	;; [unrolled: 1-line block ×4, first 2 shown]
	v_sub_nc_u32_e32 v27, v27, v117
	v_add_co_ci_u32_e64 v19, s11, v19, v132, s11
	v_add_co_u32 v20, s11, v20, v131
	s_delay_alu instid0(VALU_DEP_1) | instskip(SKIP_3) | instid1(VALU_DEP_1)
	v_add_co_ci_u32_e64 v21, s11, v21, v132, s11
	global_store_b128 v[22:23], v[10:13], off glc slc dlc
	v_cmp_gt_i32_e64 s11, 16, v27
	v_add_co_u32 v22, s12, v22, v131
	v_add_co_ci_u32_e64 v23, s12, v23, v132, s12
	v_sub_nc_u32_e32 v26, v26, v115
	s_delay_alu instid0(VALU_DEP_4) | instskip(NEXT) | instid1(SALU_CYCLE_1)
	s_or_b32 s25, s11, s25
	s_and_not1_b32 exec_lo, exec_lo, s25
	s_cbranch_execz .LBB6_2068
.LBB6_1686:                             ;   Parent Loop BB6_53 Depth=1
                                        ; =>  This Inner Loop Header: Depth=2
	global_load_b128 v[14:17], v[18:19], off slc dlc
	global_load_b128 v[10:13], v[20:21], off slc dlc
	s_mov_b32 s12, 0
	s_mov_b32 s27, exec_lo
                                        ; implicit-def: $sgpr26
	s_waitcnt vmcnt(1)
	v_and_b32_e32 v29, 0xff, v14
	s_delay_alu instid0(VALU_DEP_1)
	v_cmpx_lt_i16_e32 0x7f, v29
	s_xor_b32 s27, exec_lo, s27
	s_cbranch_execnz .LBB6_1940
; %bb.1687:                             ;   in Loop: Header=BB6_1686 Depth=2
	s_or_saveexec_b32 s27, s27
	v_mov_b32_e32 v28, s26
	s_xor_b32 exec_lo, exec_lo, s27
	s_cbranch_execnz .LBB6_1943
.LBB6_1688:                             ;   in Loop: Header=BB6_1686 Depth=2
	s_or_b32 exec_lo, exec_lo, s27
	s_and_saveexec_b32 s26, s12
	s_cbranch_execz .LBB6_1690
.LBB6_1689:                             ;   in Loop: Header=BB6_1686 Depth=2
	v_and_b32_e32 v28, 3, v14
	v_bfe_u32 v33, v14, 2, 5
	v_lshlrev_b32_e32 v34, 24, v14
	s_delay_alu instid0(VALU_DEP_3) | instskip(NEXT) | instid1(VALU_DEP_3)
	v_clz_i32_u32_e32 v29, v28
	v_cmp_eq_u32_e64 s11, 0, v33
	s_delay_alu instid0(VALU_DEP_2) | instskip(NEXT) | instid1(VALU_DEP_1)
	v_min_u32_e32 v29, 32, v29
	v_subrev_nc_u32_e32 v32, 29, v29
	v_sub_nc_u32_e32 v29, 30, v29
	s_delay_alu instid0(VALU_DEP_2) | instskip(NEXT) | instid1(VALU_DEP_2)
	v_lshlrev_b32_e32 v32, v32, v14
	v_cndmask_b32_e64 v29, v33, v29, s11
	s_delay_alu instid0(VALU_DEP_2) | instskip(NEXT) | instid1(VALU_DEP_2)
	v_and_b32_e32 v32, 3, v32
	v_lshl_add_u32 v29, v29, 23, 0x37800000
	s_delay_alu instid0(VALU_DEP_2) | instskip(SKIP_1) | instid1(VALU_DEP_2)
	v_cndmask_b32_e64 v28, v28, v32, s11
	v_and_b32_e32 v32, 0x80000000, v34
	v_lshlrev_b32_e32 v28, 21, v28
	s_delay_alu instid0(VALU_DEP_1)
	v_or3_b32 v28, v32, v29, v28
.LBB6_1690:                             ;   in Loop: Header=BB6_1686 Depth=2
	s_or_b32 exec_lo, exec_lo, s26
	s_waitcnt vmcnt(0)
	v_and_b32_e32 v32, 0xff, v10
	s_mov_b32 s12, 0
	s_mov_b32 s27, exec_lo
                                        ; implicit-def: $sgpr26
	s_delay_alu instid0(VALU_DEP_1)
	v_cmpx_lt_i16_e32 0x7f, v32
	s_xor_b32 s27, exec_lo, s27
	s_cbranch_execnz .LBB6_1944
; %bb.1691:                             ;   in Loop: Header=BB6_1686 Depth=2
	s_or_saveexec_b32 s27, s27
	v_mov_b32_e32 v29, s26
	s_xor_b32 exec_lo, exec_lo, s27
	s_cbranch_execnz .LBB6_1947
.LBB6_1692:                             ;   in Loop: Header=BB6_1686 Depth=2
	s_or_b32 exec_lo, exec_lo, s27
	s_and_saveexec_b32 s26, s12
	s_cbranch_execz .LBB6_1694
.LBB6_1693:                             ;   in Loop: Header=BB6_1686 Depth=2
	v_and_b32_e32 v29, 3, v10
	v_bfe_u32 v34, v10, 2, 5
	v_lshlrev_b32_e32 v35, 24, v10
	s_delay_alu instid0(VALU_DEP_3) | instskip(NEXT) | instid1(VALU_DEP_3)
	v_clz_i32_u32_e32 v32, v29
	v_cmp_eq_u32_e64 s11, 0, v34
	s_delay_alu instid0(VALU_DEP_2) | instskip(NEXT) | instid1(VALU_DEP_1)
	v_min_u32_e32 v32, 32, v32
	v_subrev_nc_u32_e32 v33, 29, v32
	v_sub_nc_u32_e32 v32, 30, v32
	s_delay_alu instid0(VALU_DEP_2) | instskip(NEXT) | instid1(VALU_DEP_2)
	v_lshlrev_b32_e32 v33, v33, v10
	v_cndmask_b32_e64 v32, v34, v32, s11
	s_delay_alu instid0(VALU_DEP_2) | instskip(NEXT) | instid1(VALU_DEP_2)
	v_and_b32_e32 v33, 3, v33
	v_lshl_add_u32 v32, v32, 23, 0x37800000
	s_delay_alu instid0(VALU_DEP_2) | instskip(SKIP_1) | instid1(VALU_DEP_2)
	v_cndmask_b32_e64 v29, v29, v33, s11
	v_and_b32_e32 v33, 0x80000000, v35
	v_lshlrev_b32_e32 v29, 21, v29
	s_delay_alu instid0(VALU_DEP_1)
	v_or3_b32 v29, v33, v32, v29
.LBB6_1694:                             ;   in Loop: Header=BB6_1686 Depth=2
	s_or_b32 exec_lo, exec_lo, s26
	s_delay_alu instid0(VALU_DEP_1) | instskip(NEXT) | instid1(VALU_DEP_1)
	v_mul_f32_e32 v29, v28, v29
	v_and_b32_e32 v28, 0x7f800000, v29
	s_delay_alu instid0(VALU_DEP_1) | instskip(SKIP_1) | instid1(VALU_DEP_2)
	v_cmp_ne_u32_e64 s11, 0x7f800000, v28
	v_mov_b32_e32 v28, 0x80
	s_and_saveexec_b32 s26, s11
	s_cbranch_execz .LBB6_1702
; %bb.1695:                             ;   in Loop: Header=BB6_1686 Depth=2
	v_mov_b32_e32 v28, 0
	s_mov_b32 s27, exec_lo
	v_cmpx_ne_u32_e32 0, v29
	s_cbranch_execz .LBB6_1701
; %bb.1696:                             ;   in Loop: Header=BB6_1686 Depth=2
	v_bfe_u32 v28, v29, 23, 8
	v_and_b32_e32 v32, 0x7fffff, v29
	s_delay_alu instid0(VALU_DEP_2) | instskip(SKIP_1) | instid1(VALU_DEP_3)
	v_sub_nc_u32_e32 v33, 0x70, v28
	v_cmp_gt_u32_e64 s11, 0x71, v28
	v_or_b32_e32 v34, 0x800000, v32
	s_delay_alu instid0(VALU_DEP_2) | instskip(SKIP_2) | instid1(VALU_DEP_2)
	v_cndmask_b32_e64 v33, 0, v33, s11
	v_cmp_eq_u32_e64 s11, 0, v28
	v_add_nc_u32_e32 v28, 0xffffff91, v28
	v_cndmask_b32_e64 v33, v33, 0x6f, s11
	v_cndmask_b32_e64 v32, v34, v32, s11
	s_delay_alu instid0(VALU_DEP_3) | instskip(NEXT) | instid1(VALU_DEP_3)
	v_cndmask_b32_e64 v28, v28, 0xffffff92, s11
	v_lshl_add_u32 v34, 0x200000, v33, -1
	s_delay_alu instid0(VALU_DEP_3) | instskip(SKIP_1) | instid1(VALU_DEP_4)
	v_lshrrev_b32_e32 v35, v33, v32
	v_lshlrev_b32_e64 v37, v33, 0x100000
	v_add_nc_u32_e32 v33, v33, v28
	s_delay_alu instid0(VALU_DEP_4) | instskip(NEXT) | instid1(VALU_DEP_4)
	v_and_b32_e32 v32, v34, v32
	v_bfe_u32 v36, v35, 21, 1
	s_delay_alu instid0(VALU_DEP_2) | instskip(NEXT) | instid1(VALU_DEP_2)
	v_cmp_eq_u32_e64 s12, v32, v37
	v_add_nc_u32_e32 v34, -1, v36
	s_delay_alu instid0(VALU_DEP_1) | instskip(SKIP_2) | instid1(VALU_DEP_2)
	v_cndmask_b32_e64 v32, 0, v34, s12
	v_lshrrev_b32_e32 v34, 23, v35
	s_mov_b32 s12, exec_lo
	v_add_nc_u32_e32 v32, v32, v35
	s_delay_alu instid0(VALU_DEP_2) | instskip(NEXT) | instid1(VALU_DEP_2)
	v_xor_b32_e32 v34, 1, v34
	v_and_b32_e32 v28, 0x1fffff, v32
	s_delay_alu instid0(VALU_DEP_1) | instskip(NEXT) | instid1(VALU_DEP_3)
	v_add_nc_u32_e32 v32, v28, v35
                                        ; implicit-def: $vgpr28
	v_cmpx_ne_u32_e64 v33, v34
	s_xor_b32 s12, exec_lo, s12
; %bb.1697:                             ;   in Loop: Header=BB6_1686 Depth=2
	s_delay_alu instid0(VALU_DEP_2) | instskip(SKIP_1) | instid1(VALU_DEP_2)
	v_cmp_lt_u32_e64 s11, 0xffffff, v32
	v_sub_nc_u32_e32 v28, v33, v34
	v_cndmask_b32_e64 v33, 0, 1, s11
	s_delay_alu instid0(VALU_DEP_2) | instskip(NEXT) | instid1(VALU_DEP_2)
	v_add_co_ci_u32_e64 v28, s11, 0, v28, s11
	v_lshrrev_b32_e32 v32, v33, v32
; %bb.1698:                             ;   in Loop: Header=BB6_1686 Depth=2
	s_and_not1_saveexec_b32 s11, s12
; %bb.1699:                             ;   in Loop: Header=BB6_1686 Depth=2
	s_delay_alu instid0(VALU_DEP_1)
	v_bfe_u32 v28, v32, 23, 1
; %bb.1700:                             ;   in Loop: Header=BB6_1686 Depth=2
	s_or_b32 exec_lo, exec_lo, s11
	v_lshrrev_b32_e32 v32, 21, v32
	s_delay_alu instid0(VALU_DEP_2) | instskip(SKIP_2) | instid1(VALU_DEP_3)
	v_cmp_gt_i32_e64 s11, 32, v28
	v_lshrrev_b32_e32 v29, 24, v29
	v_min_i32_e32 v33, 31, v28
	v_cndmask_b32_e64 v32, 3, v32, s11
	s_delay_alu instid0(VALU_DEP_3) | instskip(NEXT) | instid1(VALU_DEP_3)
	v_and_b32_e32 v29, 0x80, v29
	v_lshlrev_b32_e32 v33, 2, v33
	s_delay_alu instid0(VALU_DEP_3) | instskip(SKIP_1) | instid1(VALU_DEP_2)
	v_and_b32_e32 v34, 3, v32
	v_or_b32_e32 v28, v28, v32
	v_or3_b32 v29, v33, v29, v34
	s_delay_alu instid0(VALU_DEP_2) | instskip(NEXT) | instid1(VALU_DEP_1)
	v_cmp_ne_u32_e64 s11, 0, v28
	v_cndmask_b32_e64 v28, 0, v29, s11
.LBB6_1701:                             ;   in Loop: Header=BB6_1686 Depth=2
	s_or_b32 exec_lo, exec_lo, s27
.LBB6_1702:                             ;   in Loop: Header=BB6_1686 Depth=2
	s_delay_alu instid0(SALU_CYCLE_1) | instskip(SKIP_3) | instid1(VALU_DEP_1)
	s_or_b32 exec_lo, exec_lo, s26
	v_lshrrev_b16 v32, 8, v14
	s_mov_b32 s12, 0
	s_mov_b32 s27, exec_lo
                                        ; implicit-def: $sgpr26
	v_cmpx_lt_i16_e32 0x7f, v32
	s_xor_b32 s27, exec_lo, s27
	s_cbranch_execnz .LBB6_1948
; %bb.1703:                             ;   in Loop: Header=BB6_1686 Depth=2
	s_or_saveexec_b32 s27, s27
	v_mov_b32_e32 v29, s26
	s_xor_b32 exec_lo, exec_lo, s27
	s_cbranch_execnz .LBB6_1951
.LBB6_1704:                             ;   in Loop: Header=BB6_1686 Depth=2
	s_or_b32 exec_lo, exec_lo, s27
	s_and_saveexec_b32 s26, s12
	s_cbranch_execz .LBB6_1706
.LBB6_1705:                             ;   in Loop: Header=BB6_1686 Depth=2
	v_and_b32_e32 v29, 0xffff, v32
	v_lshlrev_b32_e32 v32, 24, v32
	s_delay_alu instid0(VALU_DEP_2) | instskip(NEXT) | instid1(VALU_DEP_2)
	v_and_b32_e32 v33, 3, v29
	v_and_b32_e32 v32, 0x80000000, v32
	s_delay_alu instid0(VALU_DEP_2) | instskip(NEXT) | instid1(VALU_DEP_1)
	v_clz_i32_u32_e32 v34, v33
	v_min_u32_e32 v34, 32, v34
	s_delay_alu instid0(VALU_DEP_1) | instskip(SKIP_1) | instid1(VALU_DEP_2)
	v_subrev_nc_u32_e32 v35, 29, v34
	v_sub_nc_u32_e32 v34, 30, v34
	v_lshlrev_b32_e32 v35, v35, v29
	v_bfe_u32 v29, v29, 2, 5
	s_delay_alu instid0(VALU_DEP_2) | instskip(NEXT) | instid1(VALU_DEP_2)
	v_and_b32_e32 v35, 3, v35
	v_cmp_eq_u32_e64 s11, 0, v29
	s_delay_alu instid0(VALU_DEP_1) | instskip(NEXT) | instid1(VALU_DEP_3)
	v_cndmask_b32_e64 v29, v29, v34, s11
	v_cndmask_b32_e64 v33, v33, v35, s11
	s_delay_alu instid0(VALU_DEP_2) | instskip(NEXT) | instid1(VALU_DEP_2)
	v_lshl_add_u32 v29, v29, 23, 0x37800000
	v_lshlrev_b32_e32 v33, 21, v33
	s_delay_alu instid0(VALU_DEP_1)
	v_or3_b32 v29, v32, v29, v33
.LBB6_1706:                             ;   in Loop: Header=BB6_1686 Depth=2
	s_or_b32 exec_lo, exec_lo, s26
	v_lshrrev_b16 v32, 8, v10
	s_mov_b32 s12, 0
	s_mov_b32 s27, exec_lo
                                        ; implicit-def: $sgpr26
	s_delay_alu instid0(VALU_DEP_1)
	v_cmpx_lt_i16_e32 0x7f, v32
	s_xor_b32 s27, exec_lo, s27
	s_cbranch_execnz .LBB6_1952
; %bb.1707:                             ;   in Loop: Header=BB6_1686 Depth=2
	s_or_saveexec_b32 s27, s27
	v_mov_b32_e32 v33, s26
	s_xor_b32 exec_lo, exec_lo, s27
	s_cbranch_execnz .LBB6_1955
.LBB6_1708:                             ;   in Loop: Header=BB6_1686 Depth=2
	s_or_b32 exec_lo, exec_lo, s27
	s_and_saveexec_b32 s26, s12
	s_cbranch_execz .LBB6_1710
.LBB6_1709:                             ;   in Loop: Header=BB6_1686 Depth=2
	v_and_b32_e32 v33, 0xffff, v32
	v_lshlrev_b32_e32 v32, 24, v32
	s_delay_alu instid0(VALU_DEP_2) | instskip(NEXT) | instid1(VALU_DEP_2)
	v_and_b32_e32 v34, 3, v33
	v_and_b32_e32 v32, 0x80000000, v32
	s_delay_alu instid0(VALU_DEP_2) | instskip(NEXT) | instid1(VALU_DEP_1)
	v_clz_i32_u32_e32 v35, v34
	v_min_u32_e32 v35, 32, v35
	s_delay_alu instid0(VALU_DEP_1) | instskip(SKIP_1) | instid1(VALU_DEP_2)
	v_subrev_nc_u32_e32 v36, 29, v35
	v_sub_nc_u32_e32 v35, 30, v35
	v_lshlrev_b32_e32 v36, v36, v33
	v_bfe_u32 v33, v33, 2, 5
	s_delay_alu instid0(VALU_DEP_2) | instskip(NEXT) | instid1(VALU_DEP_2)
	v_and_b32_e32 v36, 3, v36
	v_cmp_eq_u32_e64 s11, 0, v33
	s_delay_alu instid0(VALU_DEP_1) | instskip(NEXT) | instid1(VALU_DEP_3)
	v_cndmask_b32_e64 v33, v33, v35, s11
	v_cndmask_b32_e64 v34, v34, v36, s11
	s_delay_alu instid0(VALU_DEP_2) | instskip(NEXT) | instid1(VALU_DEP_2)
	v_lshl_add_u32 v33, v33, 23, 0x37800000
	v_lshlrev_b32_e32 v34, 21, v34
	s_delay_alu instid0(VALU_DEP_1)
	v_or3_b32 v33, v32, v33, v34
.LBB6_1710:                             ;   in Loop: Header=BB6_1686 Depth=2
	s_or_b32 exec_lo, exec_lo, s26
	s_delay_alu instid0(VALU_DEP_1) | instskip(NEXT) | instid1(VALU_DEP_1)
	v_mul_f32_e32 v32, v29, v33
	v_and_b32_e32 v29, 0x7f800000, v32
	s_delay_alu instid0(VALU_DEP_1) | instskip(SKIP_1) | instid1(VALU_DEP_2)
	v_cmp_ne_u32_e64 s11, 0x7f800000, v29
	v_mov_b32_e32 v29, 0x80
	s_and_saveexec_b32 s26, s11
	s_cbranch_execz .LBB6_1718
; %bb.1711:                             ;   in Loop: Header=BB6_1686 Depth=2
	v_mov_b32_e32 v29, 0
	s_mov_b32 s27, exec_lo
	v_cmpx_ne_u32_e32 0, v32
	s_cbranch_execz .LBB6_1717
; %bb.1712:                             ;   in Loop: Header=BB6_1686 Depth=2
	v_bfe_u32 v29, v32, 23, 8
	v_and_b32_e32 v33, 0x7fffff, v32
	s_delay_alu instid0(VALU_DEP_2) | instskip(SKIP_1) | instid1(VALU_DEP_3)
	v_sub_nc_u32_e32 v34, 0x70, v29
	v_cmp_gt_u32_e64 s11, 0x71, v29
	v_or_b32_e32 v35, 0x800000, v33
	s_delay_alu instid0(VALU_DEP_2) | instskip(SKIP_2) | instid1(VALU_DEP_2)
	v_cndmask_b32_e64 v34, 0, v34, s11
	v_cmp_eq_u32_e64 s11, 0, v29
	v_add_nc_u32_e32 v29, 0xffffff91, v29
	v_cndmask_b32_e64 v34, v34, 0x6f, s11
	v_cndmask_b32_e64 v33, v35, v33, s11
	s_delay_alu instid0(VALU_DEP_3) | instskip(NEXT) | instid1(VALU_DEP_3)
	v_cndmask_b32_e64 v29, v29, 0xffffff92, s11
	v_lshl_add_u32 v35, 0x200000, v34, -1
	s_delay_alu instid0(VALU_DEP_3) | instskip(SKIP_1) | instid1(VALU_DEP_4)
	v_lshrrev_b32_e32 v36, v34, v33
	v_lshlrev_b32_e64 v38, v34, 0x100000
	v_add_nc_u32_e32 v34, v34, v29
	s_delay_alu instid0(VALU_DEP_4) | instskip(NEXT) | instid1(VALU_DEP_4)
	v_and_b32_e32 v33, v35, v33
	v_bfe_u32 v37, v36, 21, 1
	s_delay_alu instid0(VALU_DEP_2) | instskip(NEXT) | instid1(VALU_DEP_2)
	v_cmp_eq_u32_e64 s12, v33, v38
	v_add_nc_u32_e32 v35, -1, v37
	s_delay_alu instid0(VALU_DEP_1) | instskip(SKIP_2) | instid1(VALU_DEP_2)
	v_cndmask_b32_e64 v33, 0, v35, s12
	v_lshrrev_b32_e32 v35, 23, v36
	s_mov_b32 s12, exec_lo
	v_add_nc_u32_e32 v33, v33, v36
	s_delay_alu instid0(VALU_DEP_2) | instskip(NEXT) | instid1(VALU_DEP_2)
	v_xor_b32_e32 v35, 1, v35
	v_and_b32_e32 v29, 0x1fffff, v33
	s_delay_alu instid0(VALU_DEP_1) | instskip(NEXT) | instid1(VALU_DEP_3)
	v_add_nc_u32_e32 v33, v29, v36
                                        ; implicit-def: $vgpr29
	v_cmpx_ne_u32_e64 v34, v35
	s_xor_b32 s12, exec_lo, s12
; %bb.1713:                             ;   in Loop: Header=BB6_1686 Depth=2
	s_delay_alu instid0(VALU_DEP_2) | instskip(SKIP_1) | instid1(VALU_DEP_2)
	v_cmp_lt_u32_e64 s11, 0xffffff, v33
	v_sub_nc_u32_e32 v29, v34, v35
	v_cndmask_b32_e64 v34, 0, 1, s11
	s_delay_alu instid0(VALU_DEP_2) | instskip(NEXT) | instid1(VALU_DEP_2)
	v_add_co_ci_u32_e64 v29, s11, 0, v29, s11
	v_lshrrev_b32_e32 v33, v34, v33
; %bb.1714:                             ;   in Loop: Header=BB6_1686 Depth=2
	s_and_not1_saveexec_b32 s11, s12
; %bb.1715:                             ;   in Loop: Header=BB6_1686 Depth=2
	s_delay_alu instid0(VALU_DEP_1)
	v_bfe_u32 v29, v33, 23, 1
; %bb.1716:                             ;   in Loop: Header=BB6_1686 Depth=2
	s_or_b32 exec_lo, exec_lo, s11
	v_lshrrev_b32_e32 v33, 21, v33
	s_delay_alu instid0(VALU_DEP_2) | instskip(SKIP_2) | instid1(VALU_DEP_3)
	v_cmp_gt_i32_e64 s11, 32, v29
	v_lshrrev_b32_e32 v32, 24, v32
	v_min_i32_e32 v34, 31, v29
	v_cndmask_b32_e64 v33, 3, v33, s11
	s_delay_alu instid0(VALU_DEP_3) | instskip(NEXT) | instid1(VALU_DEP_3)
	v_and_b32_e32 v32, 0x80, v32
	v_lshlrev_b32_e32 v34, 2, v34
	s_delay_alu instid0(VALU_DEP_3) | instskip(SKIP_1) | instid1(VALU_DEP_2)
	v_and_b32_e32 v35, 3, v33
	v_or_b32_e32 v29, v29, v33
	v_or3_b32 v32, v34, v32, v35
	s_delay_alu instid0(VALU_DEP_2) | instskip(NEXT) | instid1(VALU_DEP_1)
	v_cmp_ne_u32_e64 s11, 0, v29
	v_cndmask_b32_e64 v29, 0, v32, s11
.LBB6_1717:                             ;   in Loop: Header=BB6_1686 Depth=2
	s_or_b32 exec_lo, exec_lo, s27
.LBB6_1718:                             ;   in Loop: Header=BB6_1686 Depth=2
	s_delay_alu instid0(SALU_CYCLE_1) | instskip(SKIP_3) | instid1(VALU_DEP_1)
	s_or_b32 exec_lo, exec_lo, s26
	v_lshrrev_b32_e32 v33, 16, v14
	s_mov_b32 s12, 0
	s_mov_b32 s27, exec_lo
                                        ; implicit-def: $sgpr26
	v_and_b32_e32 v34, 0xff, v33
	s_delay_alu instid0(VALU_DEP_1)
	v_cmpx_lt_i16_e32 0x7f, v34
	s_xor_b32 s27, exec_lo, s27
	s_cbranch_execnz .LBB6_1956
; %bb.1719:                             ;   in Loop: Header=BB6_1686 Depth=2
	s_or_saveexec_b32 s27, s27
	v_mov_b32_e32 v32, s26
	s_xor_b32 exec_lo, exec_lo, s27
	s_cbranch_execnz .LBB6_1959
.LBB6_1720:                             ;   in Loop: Header=BB6_1686 Depth=2
	s_or_b32 exec_lo, exec_lo, s27
	s_and_saveexec_b32 s26, s12
	s_cbranch_execz .LBB6_1722
.LBB6_1721:                             ;   in Loop: Header=BB6_1686 Depth=2
	v_bfe_u32 v32, v14, 16, 2
	v_lshlrev_b32_e32 v36, 8, v14
	s_delay_alu instid0(VALU_DEP_2) | instskip(NEXT) | instid1(VALU_DEP_1)
	v_clz_i32_u32_e32 v34, v32
	v_min_u32_e32 v34, 32, v34
	s_delay_alu instid0(VALU_DEP_1) | instskip(SKIP_1) | instid1(VALU_DEP_2)
	v_subrev_nc_u32_e32 v35, 29, v34
	v_sub_nc_u32_e32 v34, 30, v34
	v_lshlrev_b32_e32 v33, v35, v33
	v_bfe_u32 v35, v14, 18, 5
	s_delay_alu instid0(VALU_DEP_2) | instskip(NEXT) | instid1(VALU_DEP_2)
	v_and_b32_e32 v33, 3, v33
	v_cmp_eq_u32_e64 s11, 0, v35
	s_delay_alu instid0(VALU_DEP_1) | instskip(NEXT) | instid1(VALU_DEP_3)
	v_cndmask_b32_e64 v34, v35, v34, s11
	v_cndmask_b32_e64 v32, v32, v33, s11
	v_and_b32_e32 v33, 0x80000000, v36
	s_delay_alu instid0(VALU_DEP_3) | instskip(NEXT) | instid1(VALU_DEP_3)
	v_lshl_add_u32 v34, v34, 23, 0x37800000
	v_lshlrev_b32_e32 v32, 21, v32
	s_delay_alu instid0(VALU_DEP_1)
	v_or3_b32 v32, v33, v34, v32
.LBB6_1722:                             ;   in Loop: Header=BB6_1686 Depth=2
	s_or_b32 exec_lo, exec_lo, s26
	v_lshrrev_b32_e32 v33, 16, v10
	s_mov_b32 s12, 0
	s_mov_b32 s27, exec_lo
                                        ; implicit-def: $sgpr26
	s_delay_alu instid0(VALU_DEP_1) | instskip(NEXT) | instid1(VALU_DEP_1)
	v_and_b32_e32 v35, 0xff, v33
	v_cmpx_lt_i16_e32 0x7f, v35
	s_xor_b32 s27, exec_lo, s27
	s_cbranch_execnz .LBB6_1960
; %bb.1723:                             ;   in Loop: Header=BB6_1686 Depth=2
	s_or_saveexec_b32 s27, s27
	v_mov_b32_e32 v34, s26
	s_xor_b32 exec_lo, exec_lo, s27
	s_cbranch_execnz .LBB6_1963
.LBB6_1724:                             ;   in Loop: Header=BB6_1686 Depth=2
	s_or_b32 exec_lo, exec_lo, s27
	s_and_saveexec_b32 s26, s12
	s_cbranch_execz .LBB6_1726
.LBB6_1725:                             ;   in Loop: Header=BB6_1686 Depth=2
	v_bfe_u32 v34, v10, 16, 2
	v_lshlrev_b32_e32 v37, 8, v10
	s_delay_alu instid0(VALU_DEP_2) | instskip(NEXT) | instid1(VALU_DEP_1)
	v_clz_i32_u32_e32 v35, v34
	v_min_u32_e32 v35, 32, v35
	s_delay_alu instid0(VALU_DEP_1) | instskip(SKIP_1) | instid1(VALU_DEP_2)
	v_subrev_nc_u32_e32 v36, 29, v35
	v_sub_nc_u32_e32 v35, 30, v35
	v_lshlrev_b32_e32 v33, v36, v33
	v_bfe_u32 v36, v10, 18, 5
	s_delay_alu instid0(VALU_DEP_2) | instskip(NEXT) | instid1(VALU_DEP_2)
	v_and_b32_e32 v33, 3, v33
	v_cmp_eq_u32_e64 s11, 0, v36
	s_delay_alu instid0(VALU_DEP_1) | instskip(NEXT) | instid1(VALU_DEP_3)
	v_cndmask_b32_e64 v35, v36, v35, s11
	v_cndmask_b32_e64 v33, v34, v33, s11
	v_and_b32_e32 v34, 0x80000000, v37
	s_delay_alu instid0(VALU_DEP_3) | instskip(NEXT) | instid1(VALU_DEP_3)
	v_lshl_add_u32 v35, v35, 23, 0x37800000
	v_lshlrev_b32_e32 v33, 21, v33
	s_delay_alu instid0(VALU_DEP_1)
	v_or3_b32 v34, v34, v35, v33
.LBB6_1726:                             ;   in Loop: Header=BB6_1686 Depth=2
	s_or_b32 exec_lo, exec_lo, s26
	s_delay_alu instid0(VALU_DEP_1) | instskip(NEXT) | instid1(VALU_DEP_1)
	v_mul_f32_e32 v33, v32, v34
	v_and_b32_e32 v32, 0x7f800000, v33
	s_delay_alu instid0(VALU_DEP_1) | instskip(SKIP_1) | instid1(VALU_DEP_2)
	v_cmp_ne_u32_e64 s11, 0x7f800000, v32
	v_mov_b32_e32 v32, 0x80
	s_and_saveexec_b32 s26, s11
	s_cbranch_execz .LBB6_1734
; %bb.1727:                             ;   in Loop: Header=BB6_1686 Depth=2
	v_mov_b32_e32 v32, 0
	s_mov_b32 s27, exec_lo
	v_cmpx_ne_u32_e32 0, v33
	s_cbranch_execz .LBB6_1733
; %bb.1728:                             ;   in Loop: Header=BB6_1686 Depth=2
	v_bfe_u32 v32, v33, 23, 8
	v_and_b32_e32 v34, 0x7fffff, v33
	s_delay_alu instid0(VALU_DEP_2) | instskip(SKIP_1) | instid1(VALU_DEP_3)
	v_sub_nc_u32_e32 v35, 0x70, v32
	v_cmp_gt_u32_e64 s11, 0x71, v32
	v_or_b32_e32 v36, 0x800000, v34
	s_delay_alu instid0(VALU_DEP_2) | instskip(SKIP_2) | instid1(VALU_DEP_2)
	v_cndmask_b32_e64 v35, 0, v35, s11
	v_cmp_eq_u32_e64 s11, 0, v32
	v_add_nc_u32_e32 v32, 0xffffff91, v32
	v_cndmask_b32_e64 v35, v35, 0x6f, s11
	v_cndmask_b32_e64 v34, v36, v34, s11
	s_delay_alu instid0(VALU_DEP_3) | instskip(NEXT) | instid1(VALU_DEP_3)
	v_cndmask_b32_e64 v32, v32, 0xffffff92, s11
	v_lshl_add_u32 v36, 0x200000, v35, -1
	s_delay_alu instid0(VALU_DEP_3) | instskip(SKIP_1) | instid1(VALU_DEP_4)
	v_lshrrev_b32_e32 v37, v35, v34
	v_lshlrev_b32_e64 v39, v35, 0x100000
	v_add_nc_u32_e32 v35, v35, v32
	s_delay_alu instid0(VALU_DEP_4) | instskip(NEXT) | instid1(VALU_DEP_4)
	v_and_b32_e32 v34, v36, v34
	v_bfe_u32 v38, v37, 21, 1
	s_delay_alu instid0(VALU_DEP_2) | instskip(NEXT) | instid1(VALU_DEP_2)
	v_cmp_eq_u32_e64 s12, v34, v39
	v_add_nc_u32_e32 v36, -1, v38
	s_delay_alu instid0(VALU_DEP_1) | instskip(SKIP_2) | instid1(VALU_DEP_2)
	v_cndmask_b32_e64 v34, 0, v36, s12
	v_lshrrev_b32_e32 v36, 23, v37
	s_mov_b32 s12, exec_lo
	v_add_nc_u32_e32 v34, v34, v37
	s_delay_alu instid0(VALU_DEP_2) | instskip(NEXT) | instid1(VALU_DEP_2)
	v_xor_b32_e32 v36, 1, v36
	v_and_b32_e32 v32, 0x1fffff, v34
	s_delay_alu instid0(VALU_DEP_1) | instskip(NEXT) | instid1(VALU_DEP_3)
	v_add_nc_u32_e32 v34, v32, v37
                                        ; implicit-def: $vgpr32
	v_cmpx_ne_u32_e64 v35, v36
	s_xor_b32 s12, exec_lo, s12
; %bb.1729:                             ;   in Loop: Header=BB6_1686 Depth=2
	s_delay_alu instid0(VALU_DEP_2) | instskip(SKIP_1) | instid1(VALU_DEP_2)
	v_cmp_lt_u32_e64 s11, 0xffffff, v34
	v_sub_nc_u32_e32 v32, v35, v36
	v_cndmask_b32_e64 v35, 0, 1, s11
	s_delay_alu instid0(VALU_DEP_2) | instskip(NEXT) | instid1(VALU_DEP_2)
	v_add_co_ci_u32_e64 v32, s11, 0, v32, s11
	v_lshrrev_b32_e32 v34, v35, v34
; %bb.1730:                             ;   in Loop: Header=BB6_1686 Depth=2
	s_and_not1_saveexec_b32 s11, s12
; %bb.1731:                             ;   in Loop: Header=BB6_1686 Depth=2
	s_delay_alu instid0(VALU_DEP_1)
	v_bfe_u32 v32, v34, 23, 1
; %bb.1732:                             ;   in Loop: Header=BB6_1686 Depth=2
	s_or_b32 exec_lo, exec_lo, s11
	v_lshrrev_b32_e32 v34, 21, v34
	s_delay_alu instid0(VALU_DEP_2) | instskip(SKIP_2) | instid1(VALU_DEP_3)
	v_cmp_gt_i32_e64 s11, 32, v32
	v_lshrrev_b32_e32 v33, 24, v33
	v_min_i32_e32 v35, 31, v32
	v_cndmask_b32_e64 v34, 3, v34, s11
	s_delay_alu instid0(VALU_DEP_3) | instskip(NEXT) | instid1(VALU_DEP_3)
	v_and_b32_e32 v33, 0x80, v33
	v_lshlrev_b32_e32 v35, 2, v35
	s_delay_alu instid0(VALU_DEP_3) | instskip(SKIP_1) | instid1(VALU_DEP_2)
	v_and_b32_e32 v36, 3, v34
	v_or_b32_e32 v32, v32, v34
	v_or3_b32 v33, v35, v33, v36
	s_delay_alu instid0(VALU_DEP_2) | instskip(NEXT) | instid1(VALU_DEP_1)
	v_cmp_ne_u32_e64 s11, 0, v32
	v_cndmask_b32_e64 v32, 0, v33, s11
.LBB6_1733:                             ;   in Loop: Header=BB6_1686 Depth=2
	s_or_b32 exec_lo, exec_lo, s27
.LBB6_1734:                             ;   in Loop: Header=BB6_1686 Depth=2
	s_delay_alu instid0(SALU_CYCLE_1) | instskip(SKIP_3) | instid1(VALU_DEP_1)
	s_or_b32 exec_lo, exec_lo, s26
	v_lshrrev_b32_e32 v34, 24, v14
	s_mov_b32 s12, 0
	s_mov_b32 s27, exec_lo
                                        ; implicit-def: $sgpr26
	v_cmpx_lt_i16_e32 0x7f, v34
	s_xor_b32 s27, exec_lo, s27
	s_cbranch_execnz .LBB6_1964
; %bb.1735:                             ;   in Loop: Header=BB6_1686 Depth=2
	s_or_saveexec_b32 s27, s27
	v_mov_b32_e32 v33, s26
	s_xor_b32 exec_lo, exec_lo, s27
	s_cbranch_execnz .LBB6_1967
.LBB6_1736:                             ;   in Loop: Header=BB6_1686 Depth=2
	s_or_b32 exec_lo, exec_lo, s27
	s_and_saveexec_b32 s26, s12
	s_cbranch_execz .LBB6_1738
.LBB6_1737:                             ;   in Loop: Header=BB6_1686 Depth=2
	v_bfe_u32 v33, v14, 24, 2
	s_delay_alu instid0(VALU_DEP_1) | instskip(NEXT) | instid1(VALU_DEP_1)
	v_clz_i32_u32_e32 v35, v33
	v_min_u32_e32 v35, 32, v35
	s_delay_alu instid0(VALU_DEP_1) | instskip(SKIP_1) | instid1(VALU_DEP_2)
	v_subrev_nc_u32_e32 v36, 29, v35
	v_sub_nc_u32_e32 v35, 30, v35
	v_lshlrev_b32_e32 v34, v36, v34
	v_bfe_u32 v36, v14, 26, 5
	v_and_b32_e32 v14, 0x80000000, v14
	s_delay_alu instid0(VALU_DEP_3) | instskip(NEXT) | instid1(VALU_DEP_3)
	v_and_b32_e32 v34, 3, v34
	v_cmp_eq_u32_e64 s11, 0, v36
	s_delay_alu instid0(VALU_DEP_1) | instskip(NEXT) | instid1(VALU_DEP_3)
	v_cndmask_b32_e64 v35, v36, v35, s11
	v_cndmask_b32_e64 v33, v33, v34, s11
	s_delay_alu instid0(VALU_DEP_2) | instskip(NEXT) | instid1(VALU_DEP_2)
	v_lshl_add_u32 v34, v35, 23, 0x37800000
	v_lshlrev_b32_e32 v33, 21, v33
	s_delay_alu instid0(VALU_DEP_1)
	v_or3_b32 v33, v14, v34, v33
.LBB6_1738:                             ;   in Loop: Header=BB6_1686 Depth=2
	s_or_b32 exec_lo, exec_lo, s26
	v_lshrrev_b32_e32 v14, 24, v10
	s_mov_b32 s12, 0
	s_mov_b32 s27, exec_lo
                                        ; implicit-def: $sgpr26
	s_delay_alu instid0(VALU_DEP_1)
	v_cmpx_lt_i16_e32 0x7f, v14
	s_xor_b32 s27, exec_lo, s27
	s_cbranch_execnz .LBB6_1968
; %bb.1739:                             ;   in Loop: Header=BB6_1686 Depth=2
	s_or_saveexec_b32 s27, s27
	v_mov_b32_e32 v34, s26
	s_xor_b32 exec_lo, exec_lo, s27
	s_cbranch_execnz .LBB6_1971
.LBB6_1740:                             ;   in Loop: Header=BB6_1686 Depth=2
	s_or_b32 exec_lo, exec_lo, s27
	s_and_saveexec_b32 s26, s12
	s_cbranch_execz .LBB6_1742
.LBB6_1741:                             ;   in Loop: Header=BB6_1686 Depth=2
	v_bfe_u32 v34, v10, 24, 2
	s_delay_alu instid0(VALU_DEP_1) | instskip(NEXT) | instid1(VALU_DEP_1)
	v_clz_i32_u32_e32 v35, v34
	v_min_u32_e32 v35, 32, v35
	s_delay_alu instid0(VALU_DEP_1) | instskip(SKIP_1) | instid1(VALU_DEP_2)
	v_subrev_nc_u32_e32 v36, 29, v35
	v_sub_nc_u32_e32 v35, 30, v35
	v_lshlrev_b32_e32 v14, v36, v14
	v_bfe_u32 v36, v10, 26, 5
	v_and_b32_e32 v10, 0x80000000, v10
	s_delay_alu instid0(VALU_DEP_3) | instskip(NEXT) | instid1(VALU_DEP_3)
	v_and_b32_e32 v14, 3, v14
	v_cmp_eq_u32_e64 s11, 0, v36
	s_delay_alu instid0(VALU_DEP_1) | instskip(NEXT) | instid1(VALU_DEP_3)
	v_cndmask_b32_e64 v35, v36, v35, s11
	v_cndmask_b32_e64 v14, v34, v14, s11
	s_delay_alu instid0(VALU_DEP_2) | instskip(NEXT) | instid1(VALU_DEP_2)
	v_lshl_add_u32 v34, v35, 23, 0x37800000
	v_lshlrev_b32_e32 v14, 21, v14
	s_delay_alu instid0(VALU_DEP_1)
	v_or3_b32 v34, v10, v34, v14
.LBB6_1742:                             ;   in Loop: Header=BB6_1686 Depth=2
	s_or_b32 exec_lo, exec_lo, s26
	s_delay_alu instid0(VALU_DEP_1) | instskip(NEXT) | instid1(VALU_DEP_1)
	v_mul_f32_e32 v14, v33, v34
	v_and_b32_e32 v10, 0x7f800000, v14
	s_delay_alu instid0(VALU_DEP_1) | instskip(SKIP_1) | instid1(VALU_DEP_2)
	v_cmp_ne_u32_e64 s11, 0x7f800000, v10
	v_mov_b32_e32 v10, 0x80
	s_and_saveexec_b32 s26, s11
	s_cbranch_execz .LBB6_1750
; %bb.1743:                             ;   in Loop: Header=BB6_1686 Depth=2
	v_mov_b32_e32 v10, 0
	s_mov_b32 s27, exec_lo
	v_cmpx_ne_u32_e32 0, v14
	s_cbranch_execz .LBB6_1749
; %bb.1744:                             ;   in Loop: Header=BB6_1686 Depth=2
	v_bfe_u32 v10, v14, 23, 8
	v_and_b32_e32 v33, 0x7fffff, v14
	s_delay_alu instid0(VALU_DEP_2) | instskip(SKIP_1) | instid1(VALU_DEP_3)
	v_sub_nc_u32_e32 v34, 0x70, v10
	v_cmp_gt_u32_e64 s11, 0x71, v10
	v_or_b32_e32 v35, 0x800000, v33
	s_delay_alu instid0(VALU_DEP_2) | instskip(SKIP_2) | instid1(VALU_DEP_2)
	v_cndmask_b32_e64 v34, 0, v34, s11
	v_cmp_eq_u32_e64 s11, 0, v10
	v_add_nc_u32_e32 v10, 0xffffff91, v10
	v_cndmask_b32_e64 v34, v34, 0x6f, s11
	v_cndmask_b32_e64 v33, v35, v33, s11
	s_delay_alu instid0(VALU_DEP_3) | instskip(NEXT) | instid1(VALU_DEP_3)
	v_cndmask_b32_e64 v10, v10, 0xffffff92, s11
	v_lshl_add_u32 v35, 0x200000, v34, -1
	s_delay_alu instid0(VALU_DEP_3) | instskip(SKIP_1) | instid1(VALU_DEP_4)
	v_lshrrev_b32_e32 v36, v34, v33
	v_lshlrev_b32_e64 v38, v34, 0x100000
	v_add_nc_u32_e32 v34, v34, v10
	s_delay_alu instid0(VALU_DEP_4) | instskip(NEXT) | instid1(VALU_DEP_4)
	v_and_b32_e32 v33, v35, v33
	v_bfe_u32 v37, v36, 21, 1
	s_delay_alu instid0(VALU_DEP_2) | instskip(NEXT) | instid1(VALU_DEP_2)
	v_cmp_eq_u32_e64 s12, v33, v38
	v_add_nc_u32_e32 v35, -1, v37
	s_delay_alu instid0(VALU_DEP_1) | instskip(SKIP_2) | instid1(VALU_DEP_2)
	v_cndmask_b32_e64 v33, 0, v35, s12
	v_lshrrev_b32_e32 v35, 23, v36
	s_mov_b32 s12, exec_lo
	v_add_nc_u32_e32 v33, v33, v36
	s_delay_alu instid0(VALU_DEP_2) | instskip(NEXT) | instid1(VALU_DEP_2)
	v_xor_b32_e32 v35, 1, v35
	v_and_b32_e32 v10, 0x1fffff, v33
	s_delay_alu instid0(VALU_DEP_1) | instskip(NEXT) | instid1(VALU_DEP_3)
	v_add_nc_u32_e32 v33, v10, v36
                                        ; implicit-def: $vgpr10
	v_cmpx_ne_u32_e64 v34, v35
	s_xor_b32 s12, exec_lo, s12
; %bb.1745:                             ;   in Loop: Header=BB6_1686 Depth=2
	s_delay_alu instid0(VALU_DEP_2) | instskip(SKIP_1) | instid1(VALU_DEP_2)
	v_cmp_lt_u32_e64 s11, 0xffffff, v33
	v_sub_nc_u32_e32 v10, v34, v35
	v_cndmask_b32_e64 v34, 0, 1, s11
	s_delay_alu instid0(VALU_DEP_2) | instskip(NEXT) | instid1(VALU_DEP_2)
	v_add_co_ci_u32_e64 v10, s11, 0, v10, s11
	v_lshrrev_b32_e32 v33, v34, v33
; %bb.1746:                             ;   in Loop: Header=BB6_1686 Depth=2
	s_and_not1_saveexec_b32 s11, s12
; %bb.1747:                             ;   in Loop: Header=BB6_1686 Depth=2
	s_delay_alu instid0(VALU_DEP_1)
	v_bfe_u32 v10, v33, 23, 1
; %bb.1748:                             ;   in Loop: Header=BB6_1686 Depth=2
	s_or_b32 exec_lo, exec_lo, s11
	v_lshrrev_b32_e32 v33, 21, v33
	s_delay_alu instid0(VALU_DEP_2) | instskip(SKIP_2) | instid1(VALU_DEP_3)
	v_cmp_gt_i32_e64 s11, 32, v10
	v_lshrrev_b32_e32 v14, 24, v14
	v_min_i32_e32 v34, 31, v10
	v_cndmask_b32_e64 v33, 3, v33, s11
	s_delay_alu instid0(VALU_DEP_3) | instskip(NEXT) | instid1(VALU_DEP_3)
	v_and_b32_e32 v14, 0x80, v14
	v_lshlrev_b32_e32 v34, 2, v34
	s_delay_alu instid0(VALU_DEP_3) | instskip(SKIP_1) | instid1(VALU_DEP_2)
	v_and_b32_e32 v35, 3, v33
	v_or_b32_e32 v10, v10, v33
	v_or3_b32 v14, v34, v14, v35
	s_delay_alu instid0(VALU_DEP_2) | instskip(NEXT) | instid1(VALU_DEP_1)
	v_cmp_ne_u32_e64 s11, 0, v10
	v_cndmask_b32_e64 v10, 0, v14, s11
.LBB6_1749:                             ;   in Loop: Header=BB6_1686 Depth=2
	s_or_b32 exec_lo, exec_lo, s27
.LBB6_1750:                             ;   in Loop: Header=BB6_1686 Depth=2
	s_delay_alu instid0(SALU_CYCLE_1) | instskip(SKIP_3) | instid1(VALU_DEP_1)
	s_or_b32 exec_lo, exec_lo, s26
	v_and_b32_e32 v33, 0xff, v15
	s_mov_b32 s12, 0
	s_mov_b32 s27, exec_lo
                                        ; implicit-def: $sgpr26
	v_cmpx_lt_i16_e32 0x7f, v33
	s_xor_b32 s27, exec_lo, s27
	s_cbranch_execnz .LBB6_1972
; %bb.1751:                             ;   in Loop: Header=BB6_1686 Depth=2
	s_or_saveexec_b32 s27, s27
	v_mov_b32_e32 v14, s26
	s_xor_b32 exec_lo, exec_lo, s27
	s_cbranch_execnz .LBB6_1975
.LBB6_1752:                             ;   in Loop: Header=BB6_1686 Depth=2
	s_or_b32 exec_lo, exec_lo, s27
	s_and_saveexec_b32 s26, s12
	s_cbranch_execz .LBB6_1754
.LBB6_1753:                             ;   in Loop: Header=BB6_1686 Depth=2
	v_and_b32_e32 v14, 3, v15
	v_bfe_u32 v35, v15, 2, 5
	v_lshlrev_b32_e32 v36, 24, v15
	s_delay_alu instid0(VALU_DEP_3) | instskip(NEXT) | instid1(VALU_DEP_3)
	v_clz_i32_u32_e32 v33, v14
	v_cmp_eq_u32_e64 s11, 0, v35
	s_delay_alu instid0(VALU_DEP_2) | instskip(NEXT) | instid1(VALU_DEP_1)
	v_min_u32_e32 v33, 32, v33
	v_subrev_nc_u32_e32 v34, 29, v33
	v_sub_nc_u32_e32 v33, 30, v33
	s_delay_alu instid0(VALU_DEP_2) | instskip(NEXT) | instid1(VALU_DEP_2)
	v_lshlrev_b32_e32 v34, v34, v15
	v_cndmask_b32_e64 v33, v35, v33, s11
	s_delay_alu instid0(VALU_DEP_2) | instskip(NEXT) | instid1(VALU_DEP_2)
	v_and_b32_e32 v34, 3, v34
	v_lshl_add_u32 v33, v33, 23, 0x37800000
	s_delay_alu instid0(VALU_DEP_2) | instskip(SKIP_1) | instid1(VALU_DEP_2)
	v_cndmask_b32_e64 v14, v14, v34, s11
	v_and_b32_e32 v34, 0x80000000, v36
	v_lshlrev_b32_e32 v14, 21, v14
	s_delay_alu instid0(VALU_DEP_1)
	v_or3_b32 v14, v34, v33, v14
.LBB6_1754:                             ;   in Loop: Header=BB6_1686 Depth=2
	s_or_b32 exec_lo, exec_lo, s26
	v_and_b32_e32 v34, 0xff, v11
	s_mov_b32 s12, 0
	s_mov_b32 s27, exec_lo
                                        ; implicit-def: $sgpr26
	s_delay_alu instid0(VALU_DEP_1)
	v_cmpx_lt_i16_e32 0x7f, v34
	s_xor_b32 s27, exec_lo, s27
	s_cbranch_execnz .LBB6_1976
; %bb.1755:                             ;   in Loop: Header=BB6_1686 Depth=2
	s_or_saveexec_b32 s27, s27
	v_mov_b32_e32 v33, s26
	s_xor_b32 exec_lo, exec_lo, s27
	s_cbranch_execnz .LBB6_1979
.LBB6_1756:                             ;   in Loop: Header=BB6_1686 Depth=2
	s_or_b32 exec_lo, exec_lo, s27
	s_and_saveexec_b32 s26, s12
	s_cbranch_execz .LBB6_1758
.LBB6_1757:                             ;   in Loop: Header=BB6_1686 Depth=2
	v_and_b32_e32 v33, 3, v11
	v_bfe_u32 v36, v11, 2, 5
	v_lshlrev_b32_e32 v37, 24, v11
	s_delay_alu instid0(VALU_DEP_3) | instskip(NEXT) | instid1(VALU_DEP_3)
	v_clz_i32_u32_e32 v34, v33
	v_cmp_eq_u32_e64 s11, 0, v36
	s_delay_alu instid0(VALU_DEP_2) | instskip(NEXT) | instid1(VALU_DEP_1)
	v_min_u32_e32 v34, 32, v34
	v_subrev_nc_u32_e32 v35, 29, v34
	v_sub_nc_u32_e32 v34, 30, v34
	s_delay_alu instid0(VALU_DEP_2) | instskip(NEXT) | instid1(VALU_DEP_2)
	v_lshlrev_b32_e32 v35, v35, v11
	v_cndmask_b32_e64 v34, v36, v34, s11
	s_delay_alu instid0(VALU_DEP_2) | instskip(NEXT) | instid1(VALU_DEP_2)
	v_and_b32_e32 v35, 3, v35
	v_lshl_add_u32 v34, v34, 23, 0x37800000
	s_delay_alu instid0(VALU_DEP_2) | instskip(SKIP_1) | instid1(VALU_DEP_2)
	v_cndmask_b32_e64 v33, v33, v35, s11
	v_and_b32_e32 v35, 0x80000000, v37
	v_lshlrev_b32_e32 v33, 21, v33
	s_delay_alu instid0(VALU_DEP_1)
	v_or3_b32 v33, v35, v34, v33
.LBB6_1758:                             ;   in Loop: Header=BB6_1686 Depth=2
	s_or_b32 exec_lo, exec_lo, s26
	s_delay_alu instid0(VALU_DEP_1) | instskip(NEXT) | instid1(VALU_DEP_1)
	v_mul_f32_e32 v33, v14, v33
	v_and_b32_e32 v14, 0x7f800000, v33
	s_delay_alu instid0(VALU_DEP_1) | instskip(SKIP_1) | instid1(VALU_DEP_2)
	v_cmp_ne_u32_e64 s11, 0x7f800000, v14
	v_mov_b32_e32 v14, 0x80
	s_and_saveexec_b32 s26, s11
	s_cbranch_execz .LBB6_1766
; %bb.1759:                             ;   in Loop: Header=BB6_1686 Depth=2
	v_mov_b32_e32 v14, 0
	s_mov_b32 s27, exec_lo
	v_cmpx_ne_u32_e32 0, v33
	s_cbranch_execz .LBB6_1765
; %bb.1760:                             ;   in Loop: Header=BB6_1686 Depth=2
	v_bfe_u32 v14, v33, 23, 8
	v_and_b32_e32 v34, 0x7fffff, v33
	s_delay_alu instid0(VALU_DEP_2) | instskip(SKIP_1) | instid1(VALU_DEP_3)
	v_sub_nc_u32_e32 v35, 0x70, v14
	v_cmp_gt_u32_e64 s11, 0x71, v14
	v_or_b32_e32 v36, 0x800000, v34
	s_delay_alu instid0(VALU_DEP_2) | instskip(SKIP_2) | instid1(VALU_DEP_2)
	v_cndmask_b32_e64 v35, 0, v35, s11
	v_cmp_eq_u32_e64 s11, 0, v14
	v_add_nc_u32_e32 v14, 0xffffff91, v14
	v_cndmask_b32_e64 v35, v35, 0x6f, s11
	v_cndmask_b32_e64 v34, v36, v34, s11
	s_delay_alu instid0(VALU_DEP_3) | instskip(NEXT) | instid1(VALU_DEP_3)
	v_cndmask_b32_e64 v14, v14, 0xffffff92, s11
	v_lshl_add_u32 v36, 0x200000, v35, -1
	s_delay_alu instid0(VALU_DEP_3) | instskip(SKIP_1) | instid1(VALU_DEP_4)
	v_lshrrev_b32_e32 v37, v35, v34
	v_lshlrev_b32_e64 v39, v35, 0x100000
	v_add_nc_u32_e32 v35, v35, v14
	s_delay_alu instid0(VALU_DEP_4) | instskip(NEXT) | instid1(VALU_DEP_4)
	v_and_b32_e32 v34, v36, v34
	v_bfe_u32 v38, v37, 21, 1
	s_delay_alu instid0(VALU_DEP_2) | instskip(NEXT) | instid1(VALU_DEP_2)
	v_cmp_eq_u32_e64 s12, v34, v39
	v_add_nc_u32_e32 v36, -1, v38
	s_delay_alu instid0(VALU_DEP_1) | instskip(SKIP_2) | instid1(VALU_DEP_2)
	v_cndmask_b32_e64 v34, 0, v36, s12
	v_lshrrev_b32_e32 v36, 23, v37
	s_mov_b32 s12, exec_lo
	v_add_nc_u32_e32 v34, v34, v37
	s_delay_alu instid0(VALU_DEP_2) | instskip(NEXT) | instid1(VALU_DEP_2)
	v_xor_b32_e32 v36, 1, v36
	v_and_b32_e32 v14, 0x1fffff, v34
	s_delay_alu instid0(VALU_DEP_1) | instskip(NEXT) | instid1(VALU_DEP_3)
	v_add_nc_u32_e32 v34, v14, v37
                                        ; implicit-def: $vgpr14
	v_cmpx_ne_u32_e64 v35, v36
	s_xor_b32 s12, exec_lo, s12
; %bb.1761:                             ;   in Loop: Header=BB6_1686 Depth=2
	s_delay_alu instid0(VALU_DEP_2) | instskip(SKIP_1) | instid1(VALU_DEP_2)
	v_cmp_lt_u32_e64 s11, 0xffffff, v34
	v_sub_nc_u32_e32 v14, v35, v36
	v_cndmask_b32_e64 v35, 0, 1, s11
	s_delay_alu instid0(VALU_DEP_2) | instskip(NEXT) | instid1(VALU_DEP_2)
	v_add_co_ci_u32_e64 v14, s11, 0, v14, s11
	v_lshrrev_b32_e32 v34, v35, v34
; %bb.1762:                             ;   in Loop: Header=BB6_1686 Depth=2
	s_and_not1_saveexec_b32 s11, s12
; %bb.1763:                             ;   in Loop: Header=BB6_1686 Depth=2
	s_delay_alu instid0(VALU_DEP_1)
	v_bfe_u32 v14, v34, 23, 1
; %bb.1764:                             ;   in Loop: Header=BB6_1686 Depth=2
	s_or_b32 exec_lo, exec_lo, s11
	v_lshrrev_b32_e32 v34, 21, v34
	s_delay_alu instid0(VALU_DEP_2) | instskip(SKIP_2) | instid1(VALU_DEP_3)
	v_cmp_gt_i32_e64 s11, 32, v14
	v_lshrrev_b32_e32 v33, 24, v33
	v_min_i32_e32 v35, 31, v14
	v_cndmask_b32_e64 v34, 3, v34, s11
	s_delay_alu instid0(VALU_DEP_3) | instskip(NEXT) | instid1(VALU_DEP_3)
	v_and_b32_e32 v33, 0x80, v33
	v_lshlrev_b32_e32 v35, 2, v35
	s_delay_alu instid0(VALU_DEP_3) | instskip(SKIP_1) | instid1(VALU_DEP_2)
	v_and_b32_e32 v36, 3, v34
	v_or_b32_e32 v14, v14, v34
	v_or3_b32 v33, v35, v33, v36
	s_delay_alu instid0(VALU_DEP_2) | instskip(NEXT) | instid1(VALU_DEP_1)
	v_cmp_ne_u32_e64 s11, 0, v14
	v_cndmask_b32_e64 v14, 0, v33, s11
.LBB6_1765:                             ;   in Loop: Header=BB6_1686 Depth=2
	s_or_b32 exec_lo, exec_lo, s27
.LBB6_1766:                             ;   in Loop: Header=BB6_1686 Depth=2
	s_delay_alu instid0(SALU_CYCLE_1) | instskip(SKIP_3) | instid1(VALU_DEP_1)
	s_or_b32 exec_lo, exec_lo, s26
	v_lshrrev_b16 v34, 8, v15
	s_mov_b32 s12, 0
	s_mov_b32 s27, exec_lo
                                        ; implicit-def: $sgpr26
	v_cmpx_lt_i16_e32 0x7f, v34
	s_xor_b32 s27, exec_lo, s27
	s_cbranch_execnz .LBB6_1980
; %bb.1767:                             ;   in Loop: Header=BB6_1686 Depth=2
	s_or_saveexec_b32 s27, s27
	v_mov_b32_e32 v33, s26
	s_xor_b32 exec_lo, exec_lo, s27
	s_cbranch_execnz .LBB6_1983
.LBB6_1768:                             ;   in Loop: Header=BB6_1686 Depth=2
	s_or_b32 exec_lo, exec_lo, s27
	s_and_saveexec_b32 s26, s12
	s_cbranch_execz .LBB6_1770
.LBB6_1769:                             ;   in Loop: Header=BB6_1686 Depth=2
	v_and_b32_e32 v33, 0xffff, v34
	v_lshlrev_b32_e32 v34, 24, v34
	s_delay_alu instid0(VALU_DEP_2) | instskip(NEXT) | instid1(VALU_DEP_2)
	v_and_b32_e32 v35, 3, v33
	v_and_b32_e32 v34, 0x80000000, v34
	s_delay_alu instid0(VALU_DEP_2) | instskip(NEXT) | instid1(VALU_DEP_1)
	v_clz_i32_u32_e32 v36, v35
	v_min_u32_e32 v36, 32, v36
	s_delay_alu instid0(VALU_DEP_1) | instskip(SKIP_1) | instid1(VALU_DEP_2)
	v_subrev_nc_u32_e32 v37, 29, v36
	v_sub_nc_u32_e32 v36, 30, v36
	v_lshlrev_b32_e32 v37, v37, v33
	v_bfe_u32 v33, v33, 2, 5
	s_delay_alu instid0(VALU_DEP_2) | instskip(NEXT) | instid1(VALU_DEP_2)
	v_and_b32_e32 v37, 3, v37
	v_cmp_eq_u32_e64 s11, 0, v33
	s_delay_alu instid0(VALU_DEP_1) | instskip(NEXT) | instid1(VALU_DEP_3)
	v_cndmask_b32_e64 v33, v33, v36, s11
	v_cndmask_b32_e64 v35, v35, v37, s11
	s_delay_alu instid0(VALU_DEP_2) | instskip(NEXT) | instid1(VALU_DEP_2)
	v_lshl_add_u32 v33, v33, 23, 0x37800000
	v_lshlrev_b32_e32 v35, 21, v35
	s_delay_alu instid0(VALU_DEP_1)
	v_or3_b32 v33, v34, v33, v35
.LBB6_1770:                             ;   in Loop: Header=BB6_1686 Depth=2
	s_or_b32 exec_lo, exec_lo, s26
	v_lshrrev_b16 v34, 8, v11
	s_mov_b32 s12, 0
	s_mov_b32 s27, exec_lo
                                        ; implicit-def: $sgpr26
	s_delay_alu instid0(VALU_DEP_1)
	v_cmpx_lt_i16_e32 0x7f, v34
	s_xor_b32 s27, exec_lo, s27
	s_cbranch_execnz .LBB6_1984
; %bb.1771:                             ;   in Loop: Header=BB6_1686 Depth=2
	s_or_saveexec_b32 s27, s27
	v_mov_b32_e32 v35, s26
	s_xor_b32 exec_lo, exec_lo, s27
	s_cbranch_execnz .LBB6_1987
.LBB6_1772:                             ;   in Loop: Header=BB6_1686 Depth=2
	s_or_b32 exec_lo, exec_lo, s27
	s_and_saveexec_b32 s26, s12
	s_cbranch_execz .LBB6_1774
.LBB6_1773:                             ;   in Loop: Header=BB6_1686 Depth=2
	v_and_b32_e32 v35, 0xffff, v34
	v_lshlrev_b32_e32 v34, 24, v34
	s_delay_alu instid0(VALU_DEP_2) | instskip(NEXT) | instid1(VALU_DEP_2)
	v_and_b32_e32 v36, 3, v35
	v_and_b32_e32 v34, 0x80000000, v34
	s_delay_alu instid0(VALU_DEP_2) | instskip(NEXT) | instid1(VALU_DEP_1)
	v_clz_i32_u32_e32 v37, v36
	v_min_u32_e32 v37, 32, v37
	s_delay_alu instid0(VALU_DEP_1) | instskip(SKIP_1) | instid1(VALU_DEP_2)
	v_subrev_nc_u32_e32 v38, 29, v37
	v_sub_nc_u32_e32 v37, 30, v37
	v_lshlrev_b32_e32 v38, v38, v35
	v_bfe_u32 v35, v35, 2, 5
	s_delay_alu instid0(VALU_DEP_2) | instskip(NEXT) | instid1(VALU_DEP_2)
	v_and_b32_e32 v38, 3, v38
	v_cmp_eq_u32_e64 s11, 0, v35
	s_delay_alu instid0(VALU_DEP_1) | instskip(NEXT) | instid1(VALU_DEP_3)
	v_cndmask_b32_e64 v35, v35, v37, s11
	v_cndmask_b32_e64 v36, v36, v38, s11
	s_delay_alu instid0(VALU_DEP_2) | instskip(NEXT) | instid1(VALU_DEP_2)
	v_lshl_add_u32 v35, v35, 23, 0x37800000
	v_lshlrev_b32_e32 v36, 21, v36
	s_delay_alu instid0(VALU_DEP_1)
	v_or3_b32 v35, v34, v35, v36
.LBB6_1774:                             ;   in Loop: Header=BB6_1686 Depth=2
	s_or_b32 exec_lo, exec_lo, s26
	s_delay_alu instid0(VALU_DEP_1) | instskip(NEXT) | instid1(VALU_DEP_1)
	v_mul_f32_e32 v34, v33, v35
	v_and_b32_e32 v33, 0x7f800000, v34
	s_delay_alu instid0(VALU_DEP_1) | instskip(SKIP_1) | instid1(VALU_DEP_2)
	v_cmp_ne_u32_e64 s11, 0x7f800000, v33
	v_mov_b32_e32 v33, 0x8000
	s_and_saveexec_b32 s26, s11
	s_cbranch_execz .LBB6_1782
; %bb.1775:                             ;   in Loop: Header=BB6_1686 Depth=2
	v_mov_b32_e32 v33, 0
	s_mov_b32 s27, exec_lo
	v_cmpx_ne_u32_e32 0, v34
	s_cbranch_execz .LBB6_1781
; %bb.1776:                             ;   in Loop: Header=BB6_1686 Depth=2
	v_bfe_u32 v33, v34, 23, 8
	v_and_b32_e32 v35, 0x7fffff, v34
	s_delay_alu instid0(VALU_DEP_2) | instskip(SKIP_1) | instid1(VALU_DEP_3)
	v_sub_nc_u32_e32 v36, 0x70, v33
	v_cmp_gt_u32_e64 s11, 0x71, v33
	v_or_b32_e32 v37, 0x800000, v35
	s_delay_alu instid0(VALU_DEP_2) | instskip(SKIP_2) | instid1(VALU_DEP_2)
	v_cndmask_b32_e64 v36, 0, v36, s11
	v_cmp_eq_u32_e64 s11, 0, v33
	v_add_nc_u32_e32 v33, 0xffffff91, v33
	v_cndmask_b32_e64 v36, v36, 0x6f, s11
	v_cndmask_b32_e64 v35, v37, v35, s11
	s_delay_alu instid0(VALU_DEP_3) | instskip(NEXT) | instid1(VALU_DEP_3)
	v_cndmask_b32_e64 v33, v33, 0xffffff92, s11
	v_lshl_add_u32 v37, 0x200000, v36, -1
	s_delay_alu instid0(VALU_DEP_3) | instskip(SKIP_1) | instid1(VALU_DEP_4)
	v_lshrrev_b32_e32 v38, v36, v35
	v_lshlrev_b32_e64 v48, v36, 0x100000
	v_add_nc_u32_e32 v36, v36, v33
	s_delay_alu instid0(VALU_DEP_4) | instskip(NEXT) | instid1(VALU_DEP_4)
	v_and_b32_e32 v35, v37, v35
	v_bfe_u32 v39, v38, 21, 1
	s_delay_alu instid0(VALU_DEP_2) | instskip(NEXT) | instid1(VALU_DEP_2)
	v_cmp_eq_u32_e64 s12, v35, v48
	v_add_nc_u32_e32 v37, -1, v39
	s_delay_alu instid0(VALU_DEP_1) | instskip(SKIP_2) | instid1(VALU_DEP_2)
	v_cndmask_b32_e64 v35, 0, v37, s12
	v_lshrrev_b32_e32 v37, 23, v38
	s_mov_b32 s12, exec_lo
	v_add_nc_u32_e32 v35, v35, v38
	s_delay_alu instid0(VALU_DEP_2) | instskip(NEXT) | instid1(VALU_DEP_2)
	v_xor_b32_e32 v37, 1, v37
	v_and_b32_e32 v33, 0x1fffff, v35
	s_delay_alu instid0(VALU_DEP_1) | instskip(NEXT) | instid1(VALU_DEP_3)
	v_add_nc_u32_e32 v35, v33, v38
                                        ; implicit-def: $vgpr33
	v_cmpx_ne_u32_e64 v36, v37
	s_xor_b32 s12, exec_lo, s12
; %bb.1777:                             ;   in Loop: Header=BB6_1686 Depth=2
	s_delay_alu instid0(VALU_DEP_2) | instskip(SKIP_1) | instid1(VALU_DEP_2)
	v_cmp_lt_u32_e64 s11, 0xffffff, v35
	v_sub_nc_u32_e32 v33, v36, v37
	v_cndmask_b32_e64 v36, 0, 1, s11
	s_delay_alu instid0(VALU_DEP_2) | instskip(NEXT) | instid1(VALU_DEP_2)
	v_add_co_ci_u32_e64 v33, s11, 0, v33, s11
	v_lshrrev_b32_e32 v35, v36, v35
; %bb.1778:                             ;   in Loop: Header=BB6_1686 Depth=2
	s_and_not1_saveexec_b32 s11, s12
; %bb.1779:                             ;   in Loop: Header=BB6_1686 Depth=2
	s_delay_alu instid0(VALU_DEP_1)
	v_bfe_u32 v33, v35, 23, 1
; %bb.1780:                             ;   in Loop: Header=BB6_1686 Depth=2
	s_or_b32 exec_lo, exec_lo, s11
	v_lshrrev_b32_e32 v35, 21, v35
	s_delay_alu instid0(VALU_DEP_2) | instskip(SKIP_2) | instid1(VALU_DEP_3)
	v_min_i32_e32 v36, 31, v33
	v_cmp_gt_i32_e64 s11, 32, v33
	v_lshrrev_b32_e32 v34, 24, v34
	v_lshlrev_b32_e32 v36, 2, v36
	s_delay_alu instid0(VALU_DEP_3) | instskip(NEXT) | instid1(VALU_DEP_3)
	v_cndmask_b32_e64 v35, 3, v35, s11
	v_and_b32_e32 v34, 0x80, v34
	s_delay_alu instid0(VALU_DEP_3) | instskip(NEXT) | instid1(VALU_DEP_3)
	v_and_b32_e32 v36, 0xfc, v36
	v_and_b32_e32 v37, 3, v35
	v_or_b32_e32 v33, v33, v35
	s_delay_alu instid0(VALU_DEP_2) | instskip(NEXT) | instid1(VALU_DEP_2)
	v_or3_b32 v34, v34, v36, v37
	v_cmp_ne_u32_e64 s11, 0, v33
	s_delay_alu instid0(VALU_DEP_2) | instskip(NEXT) | instid1(VALU_DEP_1)
	v_lshlrev_b32_e32 v34, 8, v34
	v_cndmask_b32_e64 v33, 0, v34, s11
.LBB6_1781:                             ;   in Loop: Header=BB6_1686 Depth=2
	s_or_b32 exec_lo, exec_lo, s27
.LBB6_1782:                             ;   in Loop: Header=BB6_1686 Depth=2
	s_delay_alu instid0(SALU_CYCLE_1) | instskip(SKIP_3) | instid1(VALU_DEP_1)
	s_or_b32 exec_lo, exec_lo, s26
	v_lshrrev_b32_e32 v35, 16, v15
	s_mov_b32 s12, 0
	s_mov_b32 s27, exec_lo
                                        ; implicit-def: $sgpr26
	v_and_b32_e32 v36, 0xff, v35
	s_delay_alu instid0(VALU_DEP_1)
	v_cmpx_lt_i16_e32 0x7f, v36
	s_xor_b32 s27, exec_lo, s27
	s_cbranch_execnz .LBB6_1988
; %bb.1783:                             ;   in Loop: Header=BB6_1686 Depth=2
	s_or_saveexec_b32 s27, s27
	v_mov_b32_e32 v34, s26
	s_xor_b32 exec_lo, exec_lo, s27
	s_cbranch_execnz .LBB6_1991
.LBB6_1784:                             ;   in Loop: Header=BB6_1686 Depth=2
	s_or_b32 exec_lo, exec_lo, s27
	s_and_saveexec_b32 s26, s12
	s_cbranch_execz .LBB6_1786
.LBB6_1785:                             ;   in Loop: Header=BB6_1686 Depth=2
	v_bfe_u32 v34, v15, 16, 2
	v_lshlrev_b32_e32 v38, 8, v15
	s_delay_alu instid0(VALU_DEP_2) | instskip(NEXT) | instid1(VALU_DEP_1)
	v_clz_i32_u32_e32 v36, v34
	v_min_u32_e32 v36, 32, v36
	s_delay_alu instid0(VALU_DEP_1) | instskip(SKIP_1) | instid1(VALU_DEP_2)
	v_subrev_nc_u32_e32 v37, 29, v36
	v_sub_nc_u32_e32 v36, 30, v36
	v_lshlrev_b32_e32 v35, v37, v35
	v_bfe_u32 v37, v15, 18, 5
	s_delay_alu instid0(VALU_DEP_2) | instskip(NEXT) | instid1(VALU_DEP_2)
	v_and_b32_e32 v35, 3, v35
	v_cmp_eq_u32_e64 s11, 0, v37
	s_delay_alu instid0(VALU_DEP_1) | instskip(NEXT) | instid1(VALU_DEP_3)
	v_cndmask_b32_e64 v36, v37, v36, s11
	v_cndmask_b32_e64 v34, v34, v35, s11
	v_and_b32_e32 v35, 0x80000000, v38
	s_delay_alu instid0(VALU_DEP_3) | instskip(NEXT) | instid1(VALU_DEP_3)
	v_lshl_add_u32 v36, v36, 23, 0x37800000
	v_lshlrev_b32_e32 v34, 21, v34
	s_delay_alu instid0(VALU_DEP_1)
	v_or3_b32 v34, v35, v36, v34
.LBB6_1786:                             ;   in Loop: Header=BB6_1686 Depth=2
	s_or_b32 exec_lo, exec_lo, s26
	v_lshrrev_b32_e32 v35, 16, v11
	s_mov_b32 s12, 0
	s_mov_b32 s27, exec_lo
                                        ; implicit-def: $sgpr26
	s_delay_alu instid0(VALU_DEP_1) | instskip(NEXT) | instid1(VALU_DEP_1)
	v_and_b32_e32 v37, 0xff, v35
	v_cmpx_lt_i16_e32 0x7f, v37
	s_xor_b32 s27, exec_lo, s27
	s_cbranch_execnz .LBB6_1992
; %bb.1787:                             ;   in Loop: Header=BB6_1686 Depth=2
	s_or_saveexec_b32 s27, s27
	v_mov_b32_e32 v36, s26
	s_xor_b32 exec_lo, exec_lo, s27
	s_cbranch_execnz .LBB6_1995
.LBB6_1788:                             ;   in Loop: Header=BB6_1686 Depth=2
	s_or_b32 exec_lo, exec_lo, s27
	s_and_saveexec_b32 s26, s12
	s_cbranch_execz .LBB6_1790
.LBB6_1789:                             ;   in Loop: Header=BB6_1686 Depth=2
	v_bfe_u32 v36, v11, 16, 2
	v_lshlrev_b32_e32 v39, 8, v11
	s_delay_alu instid0(VALU_DEP_2) | instskip(NEXT) | instid1(VALU_DEP_1)
	v_clz_i32_u32_e32 v37, v36
	v_min_u32_e32 v37, 32, v37
	s_delay_alu instid0(VALU_DEP_1) | instskip(SKIP_1) | instid1(VALU_DEP_2)
	v_subrev_nc_u32_e32 v38, 29, v37
	v_sub_nc_u32_e32 v37, 30, v37
	v_lshlrev_b32_e32 v35, v38, v35
	v_bfe_u32 v38, v11, 18, 5
	s_delay_alu instid0(VALU_DEP_2) | instskip(NEXT) | instid1(VALU_DEP_2)
	v_and_b32_e32 v35, 3, v35
	v_cmp_eq_u32_e64 s11, 0, v38
	s_delay_alu instid0(VALU_DEP_1) | instskip(NEXT) | instid1(VALU_DEP_3)
	v_cndmask_b32_e64 v37, v38, v37, s11
	v_cndmask_b32_e64 v35, v36, v35, s11
	v_and_b32_e32 v36, 0x80000000, v39
	s_delay_alu instid0(VALU_DEP_3) | instskip(NEXT) | instid1(VALU_DEP_3)
	v_lshl_add_u32 v37, v37, 23, 0x37800000
	v_lshlrev_b32_e32 v35, 21, v35
	s_delay_alu instid0(VALU_DEP_1)
	v_or3_b32 v36, v36, v37, v35
.LBB6_1790:                             ;   in Loop: Header=BB6_1686 Depth=2
	s_or_b32 exec_lo, exec_lo, s26
	s_delay_alu instid0(VALU_DEP_1) | instskip(NEXT) | instid1(VALU_DEP_1)
	v_mul_f32_e32 v35, v34, v36
	v_and_b32_e32 v34, 0x7f800000, v35
	s_delay_alu instid0(VALU_DEP_1) | instskip(SKIP_1) | instid1(VALU_DEP_2)
	v_cmp_ne_u32_e64 s11, 0x7f800000, v34
	v_mov_b32_e32 v34, 0x80
	s_and_saveexec_b32 s26, s11
	s_cbranch_execz .LBB6_1798
; %bb.1791:                             ;   in Loop: Header=BB6_1686 Depth=2
	v_mov_b32_e32 v34, 0
	s_mov_b32 s27, exec_lo
	v_cmpx_ne_u32_e32 0, v35
	s_cbranch_execz .LBB6_1797
; %bb.1792:                             ;   in Loop: Header=BB6_1686 Depth=2
	v_bfe_u32 v34, v35, 23, 8
	v_and_b32_e32 v36, 0x7fffff, v35
	s_delay_alu instid0(VALU_DEP_2) | instskip(SKIP_1) | instid1(VALU_DEP_3)
	v_sub_nc_u32_e32 v37, 0x70, v34
	v_cmp_gt_u32_e64 s11, 0x71, v34
	v_or_b32_e32 v38, 0x800000, v36
	s_delay_alu instid0(VALU_DEP_2) | instskip(SKIP_2) | instid1(VALU_DEP_2)
	v_cndmask_b32_e64 v37, 0, v37, s11
	v_cmp_eq_u32_e64 s11, 0, v34
	v_add_nc_u32_e32 v34, 0xffffff91, v34
	v_cndmask_b32_e64 v37, v37, 0x6f, s11
	v_cndmask_b32_e64 v36, v38, v36, s11
	s_delay_alu instid0(VALU_DEP_3) | instskip(NEXT) | instid1(VALU_DEP_3)
	v_cndmask_b32_e64 v34, v34, 0xffffff92, s11
	v_lshl_add_u32 v38, 0x200000, v37, -1
	s_delay_alu instid0(VALU_DEP_3) | instskip(SKIP_1) | instid1(VALU_DEP_4)
	v_lshrrev_b32_e32 v39, v37, v36
	v_lshlrev_b32_e64 v49, v37, 0x100000
	v_add_nc_u32_e32 v37, v37, v34
	s_delay_alu instid0(VALU_DEP_4) | instskip(NEXT) | instid1(VALU_DEP_4)
	v_and_b32_e32 v36, v38, v36
	v_bfe_u32 v48, v39, 21, 1
	s_delay_alu instid0(VALU_DEP_2) | instskip(NEXT) | instid1(VALU_DEP_2)
	v_cmp_eq_u32_e64 s12, v36, v49
	v_add_nc_u32_e32 v38, -1, v48
	s_delay_alu instid0(VALU_DEP_1) | instskip(SKIP_2) | instid1(VALU_DEP_2)
	v_cndmask_b32_e64 v36, 0, v38, s12
	v_lshrrev_b32_e32 v38, 23, v39
	s_mov_b32 s12, exec_lo
	v_add_nc_u32_e32 v36, v36, v39
	s_delay_alu instid0(VALU_DEP_2) | instskip(NEXT) | instid1(VALU_DEP_2)
	v_xor_b32_e32 v38, 1, v38
	v_and_b32_e32 v34, 0x1fffff, v36
	s_delay_alu instid0(VALU_DEP_1) | instskip(NEXT) | instid1(VALU_DEP_3)
	v_add_nc_u32_e32 v36, v34, v39
                                        ; implicit-def: $vgpr34
	v_cmpx_ne_u32_e64 v37, v38
	s_xor_b32 s12, exec_lo, s12
; %bb.1793:                             ;   in Loop: Header=BB6_1686 Depth=2
	s_delay_alu instid0(VALU_DEP_2) | instskip(SKIP_1) | instid1(VALU_DEP_2)
	v_cmp_lt_u32_e64 s11, 0xffffff, v36
	v_sub_nc_u32_e32 v34, v37, v38
	v_cndmask_b32_e64 v37, 0, 1, s11
	s_delay_alu instid0(VALU_DEP_2) | instskip(NEXT) | instid1(VALU_DEP_2)
	v_add_co_ci_u32_e64 v34, s11, 0, v34, s11
	v_lshrrev_b32_e32 v36, v37, v36
; %bb.1794:                             ;   in Loop: Header=BB6_1686 Depth=2
	s_and_not1_saveexec_b32 s11, s12
; %bb.1795:                             ;   in Loop: Header=BB6_1686 Depth=2
	s_delay_alu instid0(VALU_DEP_1)
	v_bfe_u32 v34, v36, 23, 1
; %bb.1796:                             ;   in Loop: Header=BB6_1686 Depth=2
	s_or_b32 exec_lo, exec_lo, s11
	v_lshrrev_b32_e32 v36, 21, v36
	s_delay_alu instid0(VALU_DEP_2) | instskip(SKIP_2) | instid1(VALU_DEP_3)
	v_min_i32_e32 v37, 31, v34
	v_cmp_gt_i32_e64 s11, 32, v34
	v_lshrrev_b32_e32 v35, 24, v35
	v_lshlrev_b32_e32 v37, 2, v37
	s_delay_alu instid0(VALU_DEP_3) | instskip(NEXT) | instid1(VALU_DEP_3)
	v_cndmask_b32_e64 v36, 3, v36, s11
	v_and_b32_e32 v35, 0x80, v35
	s_delay_alu instid0(VALU_DEP_3) | instskip(NEXT) | instid1(VALU_DEP_3)
	v_and_b32_e32 v37, 0xfc, v37
	v_and_b32_e32 v38, 3, v36
	v_or_b32_e32 v34, v34, v36
	s_delay_alu instid0(VALU_DEP_2) | instskip(NEXT) | instid1(VALU_DEP_2)
	v_or3_b32 v35, v37, v35, v38
	v_cmp_ne_u32_e64 s11, 0, v34
	s_delay_alu instid0(VALU_DEP_1)
	v_cndmask_b32_e64 v34, 0, v35, s11
.LBB6_1797:                             ;   in Loop: Header=BB6_1686 Depth=2
	s_or_b32 exec_lo, exec_lo, s27
.LBB6_1798:                             ;   in Loop: Header=BB6_1686 Depth=2
	s_delay_alu instid0(SALU_CYCLE_1) | instskip(SKIP_3) | instid1(VALU_DEP_1)
	s_or_b32 exec_lo, exec_lo, s26
	v_lshrrev_b32_e32 v36, 24, v15
	s_mov_b32 s12, 0
	s_mov_b32 s27, exec_lo
                                        ; implicit-def: $sgpr26
	v_cmpx_lt_i16_e32 0x7f, v36
	s_xor_b32 s27, exec_lo, s27
	s_cbranch_execnz .LBB6_1996
; %bb.1799:                             ;   in Loop: Header=BB6_1686 Depth=2
	s_or_saveexec_b32 s27, s27
	v_mov_b32_e32 v35, s26
	s_xor_b32 exec_lo, exec_lo, s27
	s_cbranch_execnz .LBB6_1999
.LBB6_1800:                             ;   in Loop: Header=BB6_1686 Depth=2
	s_or_b32 exec_lo, exec_lo, s27
	s_and_saveexec_b32 s26, s12
	s_cbranch_execz .LBB6_1802
.LBB6_1801:                             ;   in Loop: Header=BB6_1686 Depth=2
	v_bfe_u32 v35, v15, 24, 2
	s_delay_alu instid0(VALU_DEP_1) | instskip(NEXT) | instid1(VALU_DEP_1)
	v_clz_i32_u32_e32 v37, v35
	v_min_u32_e32 v37, 32, v37
	s_delay_alu instid0(VALU_DEP_1) | instskip(SKIP_1) | instid1(VALU_DEP_2)
	v_subrev_nc_u32_e32 v38, 29, v37
	v_sub_nc_u32_e32 v37, 30, v37
	v_lshlrev_b32_e32 v36, v38, v36
	v_bfe_u32 v38, v15, 26, 5
	v_and_b32_e32 v15, 0x80000000, v15
	s_delay_alu instid0(VALU_DEP_3) | instskip(NEXT) | instid1(VALU_DEP_3)
	v_and_b32_e32 v36, 3, v36
	v_cmp_eq_u32_e64 s11, 0, v38
	s_delay_alu instid0(VALU_DEP_1) | instskip(NEXT) | instid1(VALU_DEP_3)
	v_cndmask_b32_e64 v37, v38, v37, s11
	v_cndmask_b32_e64 v35, v35, v36, s11
	s_delay_alu instid0(VALU_DEP_2) | instskip(NEXT) | instid1(VALU_DEP_2)
	v_lshl_add_u32 v36, v37, 23, 0x37800000
	v_lshlrev_b32_e32 v35, 21, v35
	s_delay_alu instid0(VALU_DEP_1)
	v_or3_b32 v35, v15, v36, v35
.LBB6_1802:                             ;   in Loop: Header=BB6_1686 Depth=2
	s_or_b32 exec_lo, exec_lo, s26
	v_lshrrev_b32_e32 v15, 24, v11
	s_mov_b32 s12, 0
	s_mov_b32 s27, exec_lo
                                        ; implicit-def: $sgpr26
	s_delay_alu instid0(VALU_DEP_1)
	v_cmpx_lt_i16_e32 0x7f, v15
	s_xor_b32 s27, exec_lo, s27
	s_cbranch_execnz .LBB6_2000
; %bb.1803:                             ;   in Loop: Header=BB6_1686 Depth=2
	s_or_saveexec_b32 s27, s27
	v_mov_b32_e32 v36, s26
	s_xor_b32 exec_lo, exec_lo, s27
	s_cbranch_execnz .LBB6_2003
.LBB6_1804:                             ;   in Loop: Header=BB6_1686 Depth=2
	s_or_b32 exec_lo, exec_lo, s27
	s_and_saveexec_b32 s26, s12
	s_cbranch_execz .LBB6_1806
.LBB6_1805:                             ;   in Loop: Header=BB6_1686 Depth=2
	v_bfe_u32 v36, v11, 24, 2
	s_delay_alu instid0(VALU_DEP_1) | instskip(NEXT) | instid1(VALU_DEP_1)
	v_clz_i32_u32_e32 v37, v36
	v_min_u32_e32 v37, 32, v37
	s_delay_alu instid0(VALU_DEP_1) | instskip(SKIP_1) | instid1(VALU_DEP_2)
	v_subrev_nc_u32_e32 v38, 29, v37
	v_sub_nc_u32_e32 v37, 30, v37
	v_lshlrev_b32_e32 v15, v38, v15
	v_bfe_u32 v38, v11, 26, 5
	v_and_b32_e32 v11, 0x80000000, v11
	s_delay_alu instid0(VALU_DEP_3) | instskip(NEXT) | instid1(VALU_DEP_3)
	v_and_b32_e32 v15, 3, v15
	v_cmp_eq_u32_e64 s11, 0, v38
	s_delay_alu instid0(VALU_DEP_1) | instskip(NEXT) | instid1(VALU_DEP_3)
	v_cndmask_b32_e64 v37, v38, v37, s11
	v_cndmask_b32_e64 v15, v36, v15, s11
	s_delay_alu instid0(VALU_DEP_2) | instskip(NEXT) | instid1(VALU_DEP_2)
	v_lshl_add_u32 v36, v37, 23, 0x37800000
	v_lshlrev_b32_e32 v15, 21, v15
	s_delay_alu instid0(VALU_DEP_1)
	v_or3_b32 v36, v11, v36, v15
.LBB6_1806:                             ;   in Loop: Header=BB6_1686 Depth=2
	s_or_b32 exec_lo, exec_lo, s26
	s_delay_alu instid0(VALU_DEP_1) | instskip(NEXT) | instid1(VALU_DEP_1)
	v_mul_f32_e32 v15, v35, v36
	v_and_b32_e32 v11, 0x7f800000, v15
	s_delay_alu instid0(VALU_DEP_1) | instskip(SKIP_1) | instid1(VALU_DEP_2)
	v_cmp_ne_u32_e64 s11, 0x7f800000, v11
	v_mov_b32_e32 v11, 0x8000
	s_and_saveexec_b32 s26, s11
	s_cbranch_execz .LBB6_1814
; %bb.1807:                             ;   in Loop: Header=BB6_1686 Depth=2
	v_mov_b32_e32 v11, 0
	s_mov_b32 s27, exec_lo
	v_cmpx_ne_u32_e32 0, v15
	s_cbranch_execz .LBB6_1813
; %bb.1808:                             ;   in Loop: Header=BB6_1686 Depth=2
	v_bfe_u32 v11, v15, 23, 8
	v_and_b32_e32 v35, 0x7fffff, v15
	s_delay_alu instid0(VALU_DEP_2) | instskip(SKIP_1) | instid1(VALU_DEP_3)
	v_sub_nc_u32_e32 v36, 0x70, v11
	v_cmp_gt_u32_e64 s11, 0x71, v11
	v_or_b32_e32 v37, 0x800000, v35
	s_delay_alu instid0(VALU_DEP_2) | instskip(SKIP_2) | instid1(VALU_DEP_2)
	v_cndmask_b32_e64 v36, 0, v36, s11
	v_cmp_eq_u32_e64 s11, 0, v11
	v_add_nc_u32_e32 v11, 0xffffff91, v11
	v_cndmask_b32_e64 v36, v36, 0x6f, s11
	v_cndmask_b32_e64 v35, v37, v35, s11
	s_delay_alu instid0(VALU_DEP_3) | instskip(NEXT) | instid1(VALU_DEP_3)
	v_cndmask_b32_e64 v11, v11, 0xffffff92, s11
	v_lshl_add_u32 v37, 0x200000, v36, -1
	s_delay_alu instid0(VALU_DEP_3) | instskip(SKIP_1) | instid1(VALU_DEP_4)
	v_lshrrev_b32_e32 v38, v36, v35
	v_lshlrev_b32_e64 v48, v36, 0x100000
	v_add_nc_u32_e32 v36, v36, v11
	s_delay_alu instid0(VALU_DEP_4) | instskip(NEXT) | instid1(VALU_DEP_4)
	v_and_b32_e32 v35, v37, v35
	v_bfe_u32 v39, v38, 21, 1
	s_delay_alu instid0(VALU_DEP_2) | instskip(NEXT) | instid1(VALU_DEP_2)
	v_cmp_eq_u32_e64 s12, v35, v48
	v_add_nc_u32_e32 v37, -1, v39
	s_delay_alu instid0(VALU_DEP_1) | instskip(SKIP_2) | instid1(VALU_DEP_2)
	v_cndmask_b32_e64 v35, 0, v37, s12
	v_lshrrev_b32_e32 v37, 23, v38
	s_mov_b32 s12, exec_lo
	v_add_nc_u32_e32 v35, v35, v38
	s_delay_alu instid0(VALU_DEP_2) | instskip(NEXT) | instid1(VALU_DEP_2)
	v_xor_b32_e32 v37, 1, v37
	v_and_b32_e32 v11, 0x1fffff, v35
	s_delay_alu instid0(VALU_DEP_1) | instskip(NEXT) | instid1(VALU_DEP_3)
	v_add_nc_u32_e32 v35, v11, v38
                                        ; implicit-def: $vgpr11
	v_cmpx_ne_u32_e64 v36, v37
	s_xor_b32 s12, exec_lo, s12
; %bb.1809:                             ;   in Loop: Header=BB6_1686 Depth=2
	s_delay_alu instid0(VALU_DEP_2) | instskip(SKIP_1) | instid1(VALU_DEP_2)
	v_cmp_lt_u32_e64 s11, 0xffffff, v35
	v_sub_nc_u32_e32 v11, v36, v37
	v_cndmask_b32_e64 v36, 0, 1, s11
	s_delay_alu instid0(VALU_DEP_2) | instskip(NEXT) | instid1(VALU_DEP_2)
	v_add_co_ci_u32_e64 v11, s11, 0, v11, s11
	v_lshrrev_b32_e32 v35, v36, v35
; %bb.1810:                             ;   in Loop: Header=BB6_1686 Depth=2
	s_and_not1_saveexec_b32 s11, s12
; %bb.1811:                             ;   in Loop: Header=BB6_1686 Depth=2
	s_delay_alu instid0(VALU_DEP_1)
	v_bfe_u32 v11, v35, 23, 1
; %bb.1812:                             ;   in Loop: Header=BB6_1686 Depth=2
	s_or_b32 exec_lo, exec_lo, s11
	v_lshrrev_b32_e32 v35, 21, v35
	s_delay_alu instid0(VALU_DEP_2) | instskip(SKIP_2) | instid1(VALU_DEP_3)
	v_min_i32_e32 v36, 31, v11
	v_cmp_gt_i32_e64 s11, 32, v11
	v_lshrrev_b32_e32 v15, 24, v15
	v_lshlrev_b32_e32 v36, 2, v36
	s_delay_alu instid0(VALU_DEP_3) | instskip(NEXT) | instid1(VALU_DEP_3)
	v_cndmask_b32_e64 v35, 3, v35, s11
	v_and_b32_e32 v15, 0x80, v15
	s_delay_alu instid0(VALU_DEP_3) | instskip(NEXT) | instid1(VALU_DEP_3)
	v_and_b32_e32 v36, 0xfc, v36
	v_and_b32_e32 v37, 3, v35
	v_or_b32_e32 v11, v11, v35
	s_delay_alu instid0(VALU_DEP_2) | instskip(NEXT) | instid1(VALU_DEP_2)
	v_or3_b32 v15, v15, v36, v37
	v_cmp_ne_u32_e64 s11, 0, v11
	s_delay_alu instid0(VALU_DEP_2) | instskip(NEXT) | instid1(VALU_DEP_1)
	v_lshlrev_b32_e32 v15, 8, v15
	v_cndmask_b32_e64 v11, 0, v15, s11
.LBB6_1813:                             ;   in Loop: Header=BB6_1686 Depth=2
	s_or_b32 exec_lo, exec_lo, s27
.LBB6_1814:                             ;   in Loop: Header=BB6_1686 Depth=2
	s_delay_alu instid0(SALU_CYCLE_1) | instskip(SKIP_3) | instid1(VALU_DEP_1)
	s_or_b32 exec_lo, exec_lo, s26
	v_and_b32_e32 v35, 0xff, v16
	s_mov_b32 s12, 0
	s_mov_b32 s27, exec_lo
                                        ; implicit-def: $sgpr26
	v_cmpx_lt_i16_e32 0x7f, v35
	s_xor_b32 s27, exec_lo, s27
	s_cbranch_execnz .LBB6_2004
; %bb.1815:                             ;   in Loop: Header=BB6_1686 Depth=2
	s_or_saveexec_b32 s27, s27
	v_mov_b32_e32 v15, s26
	s_xor_b32 exec_lo, exec_lo, s27
	s_cbranch_execnz .LBB6_2007
.LBB6_1816:                             ;   in Loop: Header=BB6_1686 Depth=2
	s_or_b32 exec_lo, exec_lo, s27
	s_and_saveexec_b32 s26, s12
	s_cbranch_execz .LBB6_1818
.LBB6_1817:                             ;   in Loop: Header=BB6_1686 Depth=2
	v_and_b32_e32 v15, 3, v16
	v_bfe_u32 v37, v16, 2, 5
	v_lshlrev_b32_e32 v38, 24, v16
	s_delay_alu instid0(VALU_DEP_3) | instskip(NEXT) | instid1(VALU_DEP_3)
	v_clz_i32_u32_e32 v35, v15
	v_cmp_eq_u32_e64 s11, 0, v37
	s_delay_alu instid0(VALU_DEP_2) | instskip(NEXT) | instid1(VALU_DEP_1)
	v_min_u32_e32 v35, 32, v35
	v_subrev_nc_u32_e32 v36, 29, v35
	v_sub_nc_u32_e32 v35, 30, v35
	s_delay_alu instid0(VALU_DEP_2) | instskip(NEXT) | instid1(VALU_DEP_2)
	v_lshlrev_b32_e32 v36, v36, v16
	v_cndmask_b32_e64 v35, v37, v35, s11
	s_delay_alu instid0(VALU_DEP_2) | instskip(NEXT) | instid1(VALU_DEP_2)
	v_and_b32_e32 v36, 3, v36
	v_lshl_add_u32 v35, v35, 23, 0x37800000
	s_delay_alu instid0(VALU_DEP_2) | instskip(SKIP_1) | instid1(VALU_DEP_2)
	v_cndmask_b32_e64 v15, v15, v36, s11
	v_and_b32_e32 v36, 0x80000000, v38
	v_lshlrev_b32_e32 v15, 21, v15
	s_delay_alu instid0(VALU_DEP_1)
	v_or3_b32 v15, v36, v35, v15
.LBB6_1818:                             ;   in Loop: Header=BB6_1686 Depth=2
	s_or_b32 exec_lo, exec_lo, s26
	v_and_b32_e32 v36, 0xff, v12
	s_mov_b32 s12, 0
	s_mov_b32 s27, exec_lo
                                        ; implicit-def: $sgpr26
	s_delay_alu instid0(VALU_DEP_1)
	v_cmpx_lt_i16_e32 0x7f, v36
	s_xor_b32 s27, exec_lo, s27
	s_cbranch_execnz .LBB6_2008
; %bb.1819:                             ;   in Loop: Header=BB6_1686 Depth=2
	s_or_saveexec_b32 s27, s27
	v_mov_b32_e32 v35, s26
	s_xor_b32 exec_lo, exec_lo, s27
	s_cbranch_execnz .LBB6_2011
.LBB6_1820:                             ;   in Loop: Header=BB6_1686 Depth=2
	s_or_b32 exec_lo, exec_lo, s27
	s_and_saveexec_b32 s26, s12
	s_cbranch_execz .LBB6_1822
.LBB6_1821:                             ;   in Loop: Header=BB6_1686 Depth=2
	v_and_b32_e32 v35, 3, v12
	v_bfe_u32 v38, v12, 2, 5
	v_lshlrev_b32_e32 v39, 24, v12
	s_delay_alu instid0(VALU_DEP_3) | instskip(NEXT) | instid1(VALU_DEP_3)
	v_clz_i32_u32_e32 v36, v35
	v_cmp_eq_u32_e64 s11, 0, v38
	s_delay_alu instid0(VALU_DEP_2) | instskip(NEXT) | instid1(VALU_DEP_1)
	v_min_u32_e32 v36, 32, v36
	v_subrev_nc_u32_e32 v37, 29, v36
	v_sub_nc_u32_e32 v36, 30, v36
	s_delay_alu instid0(VALU_DEP_2) | instskip(NEXT) | instid1(VALU_DEP_2)
	v_lshlrev_b32_e32 v37, v37, v12
	v_cndmask_b32_e64 v36, v38, v36, s11
	s_delay_alu instid0(VALU_DEP_2) | instskip(NEXT) | instid1(VALU_DEP_2)
	v_and_b32_e32 v37, 3, v37
	v_lshl_add_u32 v36, v36, 23, 0x37800000
	s_delay_alu instid0(VALU_DEP_2) | instskip(SKIP_1) | instid1(VALU_DEP_2)
	v_cndmask_b32_e64 v35, v35, v37, s11
	v_and_b32_e32 v37, 0x80000000, v39
	v_lshlrev_b32_e32 v35, 21, v35
	s_delay_alu instid0(VALU_DEP_1)
	v_or3_b32 v35, v37, v36, v35
.LBB6_1822:                             ;   in Loop: Header=BB6_1686 Depth=2
	s_or_b32 exec_lo, exec_lo, s26
	s_delay_alu instid0(VALU_DEP_1) | instskip(NEXT) | instid1(VALU_DEP_1)
	v_mul_f32_e32 v35, v15, v35
	v_and_b32_e32 v15, 0x7f800000, v35
	s_delay_alu instid0(VALU_DEP_1) | instskip(SKIP_1) | instid1(VALU_DEP_2)
	v_cmp_ne_u32_e64 s11, 0x7f800000, v15
	v_mov_b32_e32 v15, 0x80
	s_and_saveexec_b32 s26, s11
	s_cbranch_execz .LBB6_1830
; %bb.1823:                             ;   in Loop: Header=BB6_1686 Depth=2
	v_mov_b32_e32 v15, 0
	s_mov_b32 s27, exec_lo
	v_cmpx_ne_u32_e32 0, v35
	s_cbranch_execz .LBB6_1829
; %bb.1824:                             ;   in Loop: Header=BB6_1686 Depth=2
	v_bfe_u32 v15, v35, 23, 8
	v_and_b32_e32 v36, 0x7fffff, v35
	s_delay_alu instid0(VALU_DEP_2) | instskip(SKIP_1) | instid1(VALU_DEP_3)
	v_sub_nc_u32_e32 v37, 0x70, v15
	v_cmp_gt_u32_e64 s11, 0x71, v15
	v_or_b32_e32 v38, 0x800000, v36
	s_delay_alu instid0(VALU_DEP_2) | instskip(SKIP_2) | instid1(VALU_DEP_2)
	v_cndmask_b32_e64 v37, 0, v37, s11
	v_cmp_eq_u32_e64 s11, 0, v15
	v_add_nc_u32_e32 v15, 0xffffff91, v15
	v_cndmask_b32_e64 v37, v37, 0x6f, s11
	v_cndmask_b32_e64 v36, v38, v36, s11
	s_delay_alu instid0(VALU_DEP_3) | instskip(NEXT) | instid1(VALU_DEP_3)
	v_cndmask_b32_e64 v15, v15, 0xffffff92, s11
	v_lshl_add_u32 v38, 0x200000, v37, -1
	s_delay_alu instid0(VALU_DEP_3) | instskip(SKIP_1) | instid1(VALU_DEP_4)
	v_lshrrev_b32_e32 v39, v37, v36
	v_lshlrev_b32_e64 v49, v37, 0x100000
	v_add_nc_u32_e32 v37, v37, v15
	s_delay_alu instid0(VALU_DEP_4) | instskip(NEXT) | instid1(VALU_DEP_4)
	v_and_b32_e32 v36, v38, v36
	v_bfe_u32 v48, v39, 21, 1
	s_delay_alu instid0(VALU_DEP_2) | instskip(NEXT) | instid1(VALU_DEP_2)
	v_cmp_eq_u32_e64 s12, v36, v49
	v_add_nc_u32_e32 v38, -1, v48
	s_delay_alu instid0(VALU_DEP_1) | instskip(SKIP_2) | instid1(VALU_DEP_2)
	v_cndmask_b32_e64 v36, 0, v38, s12
	v_lshrrev_b32_e32 v38, 23, v39
	s_mov_b32 s12, exec_lo
	v_add_nc_u32_e32 v36, v36, v39
	s_delay_alu instid0(VALU_DEP_2) | instskip(NEXT) | instid1(VALU_DEP_2)
	v_xor_b32_e32 v38, 1, v38
	v_and_b32_e32 v15, 0x1fffff, v36
	s_delay_alu instid0(VALU_DEP_1) | instskip(NEXT) | instid1(VALU_DEP_3)
	v_add_nc_u32_e32 v36, v15, v39
                                        ; implicit-def: $vgpr15
	v_cmpx_ne_u32_e64 v37, v38
	s_xor_b32 s12, exec_lo, s12
; %bb.1825:                             ;   in Loop: Header=BB6_1686 Depth=2
	s_delay_alu instid0(VALU_DEP_2) | instskip(SKIP_1) | instid1(VALU_DEP_2)
	v_cmp_lt_u32_e64 s11, 0xffffff, v36
	v_sub_nc_u32_e32 v15, v37, v38
	v_cndmask_b32_e64 v37, 0, 1, s11
	s_delay_alu instid0(VALU_DEP_2) | instskip(NEXT) | instid1(VALU_DEP_2)
	v_add_co_ci_u32_e64 v15, s11, 0, v15, s11
	v_lshrrev_b32_e32 v36, v37, v36
; %bb.1826:                             ;   in Loop: Header=BB6_1686 Depth=2
	s_and_not1_saveexec_b32 s11, s12
; %bb.1827:                             ;   in Loop: Header=BB6_1686 Depth=2
	s_delay_alu instid0(VALU_DEP_1)
	v_bfe_u32 v15, v36, 23, 1
; %bb.1828:                             ;   in Loop: Header=BB6_1686 Depth=2
	s_or_b32 exec_lo, exec_lo, s11
	v_lshrrev_b32_e32 v36, 21, v36
	s_delay_alu instid0(VALU_DEP_2) | instskip(SKIP_2) | instid1(VALU_DEP_3)
	v_cmp_gt_i32_e64 s11, 32, v15
	v_lshrrev_b32_e32 v35, 24, v35
	v_min_i32_e32 v37, 31, v15
	v_cndmask_b32_e64 v36, 3, v36, s11
	s_delay_alu instid0(VALU_DEP_3) | instskip(NEXT) | instid1(VALU_DEP_3)
	v_and_b32_e32 v35, 0x80, v35
	v_lshlrev_b32_e32 v37, 2, v37
	s_delay_alu instid0(VALU_DEP_3) | instskip(SKIP_1) | instid1(VALU_DEP_2)
	v_and_b32_e32 v38, 3, v36
	v_or_b32_e32 v15, v15, v36
	v_or3_b32 v35, v37, v35, v38
	s_delay_alu instid0(VALU_DEP_2) | instskip(NEXT) | instid1(VALU_DEP_1)
	v_cmp_ne_u32_e64 s11, 0, v15
	v_cndmask_b32_e64 v15, 0, v35, s11
.LBB6_1829:                             ;   in Loop: Header=BB6_1686 Depth=2
	s_or_b32 exec_lo, exec_lo, s27
.LBB6_1830:                             ;   in Loop: Header=BB6_1686 Depth=2
	s_delay_alu instid0(SALU_CYCLE_1) | instskip(SKIP_3) | instid1(VALU_DEP_1)
	s_or_b32 exec_lo, exec_lo, s26
	v_lshrrev_b16 v36, 8, v16
	s_mov_b32 s12, 0
	s_mov_b32 s27, exec_lo
                                        ; implicit-def: $sgpr26
	v_cmpx_lt_i16_e32 0x7f, v36
	s_xor_b32 s27, exec_lo, s27
	s_cbranch_execnz .LBB6_2012
; %bb.1831:                             ;   in Loop: Header=BB6_1686 Depth=2
	s_or_saveexec_b32 s27, s27
	v_mov_b32_e32 v35, s26
	s_xor_b32 exec_lo, exec_lo, s27
	s_cbranch_execnz .LBB6_2015
.LBB6_1832:                             ;   in Loop: Header=BB6_1686 Depth=2
	s_or_b32 exec_lo, exec_lo, s27
	s_and_saveexec_b32 s26, s12
	s_cbranch_execz .LBB6_1834
.LBB6_1833:                             ;   in Loop: Header=BB6_1686 Depth=2
	v_and_b32_e32 v35, 0xffff, v36
	v_lshlrev_b32_e32 v36, 24, v36
	s_delay_alu instid0(VALU_DEP_2) | instskip(NEXT) | instid1(VALU_DEP_2)
	v_and_b32_e32 v37, 3, v35
	v_and_b32_e32 v36, 0x80000000, v36
	s_delay_alu instid0(VALU_DEP_2) | instskip(NEXT) | instid1(VALU_DEP_1)
	v_clz_i32_u32_e32 v38, v37
	v_min_u32_e32 v38, 32, v38
	s_delay_alu instid0(VALU_DEP_1) | instskip(SKIP_1) | instid1(VALU_DEP_2)
	v_subrev_nc_u32_e32 v39, 29, v38
	v_sub_nc_u32_e32 v38, 30, v38
	v_lshlrev_b32_e32 v39, v39, v35
	v_bfe_u32 v35, v35, 2, 5
	s_delay_alu instid0(VALU_DEP_2) | instskip(NEXT) | instid1(VALU_DEP_2)
	v_and_b32_e32 v39, 3, v39
	v_cmp_eq_u32_e64 s11, 0, v35
	s_delay_alu instid0(VALU_DEP_1) | instskip(NEXT) | instid1(VALU_DEP_3)
	v_cndmask_b32_e64 v35, v35, v38, s11
	v_cndmask_b32_e64 v37, v37, v39, s11
	s_delay_alu instid0(VALU_DEP_2) | instskip(NEXT) | instid1(VALU_DEP_2)
	v_lshl_add_u32 v35, v35, 23, 0x37800000
	v_lshlrev_b32_e32 v37, 21, v37
	s_delay_alu instid0(VALU_DEP_1)
	v_or3_b32 v35, v36, v35, v37
.LBB6_1834:                             ;   in Loop: Header=BB6_1686 Depth=2
	s_or_b32 exec_lo, exec_lo, s26
	v_lshrrev_b16 v36, 8, v12
	s_mov_b32 s12, 0
	s_mov_b32 s27, exec_lo
                                        ; implicit-def: $sgpr26
	s_delay_alu instid0(VALU_DEP_1)
	v_cmpx_lt_i16_e32 0x7f, v36
	s_xor_b32 s27, exec_lo, s27
	s_cbranch_execnz .LBB6_2016
; %bb.1835:                             ;   in Loop: Header=BB6_1686 Depth=2
	s_or_saveexec_b32 s27, s27
	v_mov_b32_e32 v37, s26
	s_xor_b32 exec_lo, exec_lo, s27
	s_cbranch_execnz .LBB6_2019
.LBB6_1836:                             ;   in Loop: Header=BB6_1686 Depth=2
	s_or_b32 exec_lo, exec_lo, s27
	s_and_saveexec_b32 s26, s12
	s_cbranch_execz .LBB6_1838
.LBB6_1837:                             ;   in Loop: Header=BB6_1686 Depth=2
	v_and_b32_e32 v37, 0xffff, v36
	v_lshlrev_b32_e32 v36, 24, v36
	s_delay_alu instid0(VALU_DEP_2) | instskip(NEXT) | instid1(VALU_DEP_2)
	v_and_b32_e32 v38, 3, v37
	v_and_b32_e32 v36, 0x80000000, v36
	s_delay_alu instid0(VALU_DEP_2) | instskip(NEXT) | instid1(VALU_DEP_1)
	v_clz_i32_u32_e32 v39, v38
	v_min_u32_e32 v39, 32, v39
	s_delay_alu instid0(VALU_DEP_1) | instskip(SKIP_1) | instid1(VALU_DEP_2)
	v_subrev_nc_u32_e32 v48, 29, v39
	v_sub_nc_u32_e32 v39, 30, v39
	v_lshlrev_b32_e32 v48, v48, v37
	v_bfe_u32 v37, v37, 2, 5
	s_delay_alu instid0(VALU_DEP_2) | instskip(NEXT) | instid1(VALU_DEP_2)
	v_and_b32_e32 v48, 3, v48
	v_cmp_eq_u32_e64 s11, 0, v37
	s_delay_alu instid0(VALU_DEP_1) | instskip(NEXT) | instid1(VALU_DEP_3)
	v_cndmask_b32_e64 v37, v37, v39, s11
	v_cndmask_b32_e64 v38, v38, v48, s11
	s_delay_alu instid0(VALU_DEP_2) | instskip(NEXT) | instid1(VALU_DEP_2)
	v_lshl_add_u32 v37, v37, 23, 0x37800000
	v_lshlrev_b32_e32 v38, 21, v38
	s_delay_alu instid0(VALU_DEP_1)
	v_or3_b32 v37, v36, v37, v38
.LBB6_1838:                             ;   in Loop: Header=BB6_1686 Depth=2
	s_or_b32 exec_lo, exec_lo, s26
	s_delay_alu instid0(VALU_DEP_1) | instskip(NEXT) | instid1(VALU_DEP_1)
	v_mul_f32_e32 v36, v35, v37
	v_and_b32_e32 v35, 0x7f800000, v36
	s_delay_alu instid0(VALU_DEP_1) | instskip(SKIP_1) | instid1(VALU_DEP_2)
	v_cmp_ne_u32_e64 s11, 0x7f800000, v35
	v_mov_b32_e32 v35, 0x80
	s_and_saveexec_b32 s26, s11
	s_cbranch_execz .LBB6_1846
; %bb.1839:                             ;   in Loop: Header=BB6_1686 Depth=2
	v_mov_b32_e32 v35, 0
	s_mov_b32 s27, exec_lo
	v_cmpx_ne_u32_e32 0, v36
	s_cbranch_execz .LBB6_1845
; %bb.1840:                             ;   in Loop: Header=BB6_1686 Depth=2
	v_bfe_u32 v35, v36, 23, 8
	v_and_b32_e32 v37, 0x7fffff, v36
	s_delay_alu instid0(VALU_DEP_2) | instskip(SKIP_1) | instid1(VALU_DEP_3)
	v_sub_nc_u32_e32 v38, 0x70, v35
	v_cmp_gt_u32_e64 s11, 0x71, v35
	v_or_b32_e32 v39, 0x800000, v37
	s_delay_alu instid0(VALU_DEP_2) | instskip(SKIP_2) | instid1(VALU_DEP_2)
	v_cndmask_b32_e64 v38, 0, v38, s11
	v_cmp_eq_u32_e64 s11, 0, v35
	v_add_nc_u32_e32 v35, 0xffffff91, v35
	v_cndmask_b32_e64 v38, v38, 0x6f, s11
	v_cndmask_b32_e64 v37, v39, v37, s11
	s_delay_alu instid0(VALU_DEP_3) | instskip(NEXT) | instid1(VALU_DEP_3)
	v_cndmask_b32_e64 v35, v35, 0xffffff92, s11
	v_lshl_add_u32 v39, 0x200000, v38, -1
	s_delay_alu instid0(VALU_DEP_3) | instskip(SKIP_1) | instid1(VALU_DEP_4)
	v_lshrrev_b32_e32 v48, v38, v37
	v_lshlrev_b32_e64 v50, v38, 0x100000
	v_add_nc_u32_e32 v38, v38, v35
	s_delay_alu instid0(VALU_DEP_4) | instskip(NEXT) | instid1(VALU_DEP_4)
	v_and_b32_e32 v37, v39, v37
	v_bfe_u32 v49, v48, 21, 1
	s_delay_alu instid0(VALU_DEP_2) | instskip(NEXT) | instid1(VALU_DEP_2)
	v_cmp_eq_u32_e64 s12, v37, v50
	v_add_nc_u32_e32 v39, -1, v49
	s_delay_alu instid0(VALU_DEP_1) | instskip(SKIP_2) | instid1(VALU_DEP_2)
	v_cndmask_b32_e64 v37, 0, v39, s12
	v_lshrrev_b32_e32 v39, 23, v48
	s_mov_b32 s12, exec_lo
	v_add_nc_u32_e32 v37, v37, v48
	s_delay_alu instid0(VALU_DEP_2) | instskip(NEXT) | instid1(VALU_DEP_2)
	v_xor_b32_e32 v39, 1, v39
	v_and_b32_e32 v35, 0x1fffff, v37
	s_delay_alu instid0(VALU_DEP_1) | instskip(NEXT) | instid1(VALU_DEP_3)
	v_add_nc_u32_e32 v37, v35, v48
                                        ; implicit-def: $vgpr35
	v_cmpx_ne_u32_e64 v38, v39
	s_xor_b32 s12, exec_lo, s12
; %bb.1841:                             ;   in Loop: Header=BB6_1686 Depth=2
	s_delay_alu instid0(VALU_DEP_2) | instskip(SKIP_1) | instid1(VALU_DEP_2)
	v_cmp_lt_u32_e64 s11, 0xffffff, v37
	v_sub_nc_u32_e32 v35, v38, v39
	v_cndmask_b32_e64 v38, 0, 1, s11
	s_delay_alu instid0(VALU_DEP_2) | instskip(NEXT) | instid1(VALU_DEP_2)
	v_add_co_ci_u32_e64 v35, s11, 0, v35, s11
	v_lshrrev_b32_e32 v37, v38, v37
; %bb.1842:                             ;   in Loop: Header=BB6_1686 Depth=2
	s_and_not1_saveexec_b32 s11, s12
; %bb.1843:                             ;   in Loop: Header=BB6_1686 Depth=2
	s_delay_alu instid0(VALU_DEP_1)
	v_bfe_u32 v35, v37, 23, 1
; %bb.1844:                             ;   in Loop: Header=BB6_1686 Depth=2
	s_or_b32 exec_lo, exec_lo, s11
	v_lshrrev_b32_e32 v37, 21, v37
	s_delay_alu instid0(VALU_DEP_2) | instskip(SKIP_2) | instid1(VALU_DEP_3)
	v_cmp_gt_i32_e64 s11, 32, v35
	v_lshrrev_b32_e32 v36, 24, v36
	v_min_i32_e32 v38, 31, v35
	v_cndmask_b32_e64 v37, 3, v37, s11
	s_delay_alu instid0(VALU_DEP_3) | instskip(NEXT) | instid1(VALU_DEP_3)
	v_and_b32_e32 v36, 0x80, v36
	v_lshlrev_b32_e32 v38, 2, v38
	s_delay_alu instid0(VALU_DEP_3) | instskip(SKIP_1) | instid1(VALU_DEP_2)
	v_and_b32_e32 v39, 3, v37
	v_or_b32_e32 v35, v35, v37
	v_or3_b32 v36, v38, v36, v39
	s_delay_alu instid0(VALU_DEP_2) | instskip(NEXT) | instid1(VALU_DEP_1)
	v_cmp_ne_u32_e64 s11, 0, v35
	v_cndmask_b32_e64 v35, 0, v36, s11
.LBB6_1845:                             ;   in Loop: Header=BB6_1686 Depth=2
	s_or_b32 exec_lo, exec_lo, s27
.LBB6_1846:                             ;   in Loop: Header=BB6_1686 Depth=2
	s_delay_alu instid0(SALU_CYCLE_1) | instskip(SKIP_3) | instid1(VALU_DEP_1)
	s_or_b32 exec_lo, exec_lo, s26
	v_lshrrev_b32_e32 v37, 16, v16
	s_mov_b32 s12, 0
	s_mov_b32 s27, exec_lo
                                        ; implicit-def: $sgpr26
	v_and_b32_e32 v38, 0xff, v37
	s_delay_alu instid0(VALU_DEP_1)
	v_cmpx_lt_i16_e32 0x7f, v38
	s_xor_b32 s27, exec_lo, s27
	s_cbranch_execnz .LBB6_2020
; %bb.1847:                             ;   in Loop: Header=BB6_1686 Depth=2
	s_or_saveexec_b32 s27, s27
	v_mov_b32_e32 v36, s26
	s_xor_b32 exec_lo, exec_lo, s27
	s_cbranch_execnz .LBB6_2023
.LBB6_1848:                             ;   in Loop: Header=BB6_1686 Depth=2
	s_or_b32 exec_lo, exec_lo, s27
	s_and_saveexec_b32 s26, s12
	s_cbranch_execz .LBB6_1850
.LBB6_1849:                             ;   in Loop: Header=BB6_1686 Depth=2
	v_bfe_u32 v36, v16, 16, 2
	v_lshlrev_b32_e32 v48, 8, v16
	s_delay_alu instid0(VALU_DEP_2) | instskip(NEXT) | instid1(VALU_DEP_1)
	v_clz_i32_u32_e32 v38, v36
	v_min_u32_e32 v38, 32, v38
	s_delay_alu instid0(VALU_DEP_1) | instskip(SKIP_1) | instid1(VALU_DEP_2)
	v_subrev_nc_u32_e32 v39, 29, v38
	v_sub_nc_u32_e32 v38, 30, v38
	v_lshlrev_b32_e32 v37, v39, v37
	v_bfe_u32 v39, v16, 18, 5
	s_delay_alu instid0(VALU_DEP_2) | instskip(NEXT) | instid1(VALU_DEP_2)
	v_and_b32_e32 v37, 3, v37
	v_cmp_eq_u32_e64 s11, 0, v39
	s_delay_alu instid0(VALU_DEP_1) | instskip(NEXT) | instid1(VALU_DEP_3)
	v_cndmask_b32_e64 v38, v39, v38, s11
	v_cndmask_b32_e64 v36, v36, v37, s11
	v_and_b32_e32 v37, 0x80000000, v48
	s_delay_alu instid0(VALU_DEP_3) | instskip(NEXT) | instid1(VALU_DEP_3)
	v_lshl_add_u32 v38, v38, 23, 0x37800000
	v_lshlrev_b32_e32 v36, 21, v36
	s_delay_alu instid0(VALU_DEP_1)
	v_or3_b32 v36, v37, v38, v36
.LBB6_1850:                             ;   in Loop: Header=BB6_1686 Depth=2
	s_or_b32 exec_lo, exec_lo, s26
	v_lshrrev_b32_e32 v37, 16, v12
	s_mov_b32 s12, 0
	s_mov_b32 s27, exec_lo
                                        ; implicit-def: $sgpr26
	s_delay_alu instid0(VALU_DEP_1) | instskip(NEXT) | instid1(VALU_DEP_1)
	v_and_b32_e32 v39, 0xff, v37
	v_cmpx_lt_i16_e32 0x7f, v39
	s_xor_b32 s27, exec_lo, s27
	s_cbranch_execnz .LBB6_2024
; %bb.1851:                             ;   in Loop: Header=BB6_1686 Depth=2
	s_or_saveexec_b32 s27, s27
	v_mov_b32_e32 v38, s26
	s_xor_b32 exec_lo, exec_lo, s27
	s_cbranch_execnz .LBB6_2027
.LBB6_1852:                             ;   in Loop: Header=BB6_1686 Depth=2
	s_or_b32 exec_lo, exec_lo, s27
	s_and_saveexec_b32 s26, s12
	s_cbranch_execz .LBB6_1854
.LBB6_1853:                             ;   in Loop: Header=BB6_1686 Depth=2
	v_bfe_u32 v38, v12, 16, 2
	v_lshlrev_b32_e32 v49, 8, v12
	s_delay_alu instid0(VALU_DEP_2) | instskip(NEXT) | instid1(VALU_DEP_1)
	v_clz_i32_u32_e32 v39, v38
	v_min_u32_e32 v39, 32, v39
	s_delay_alu instid0(VALU_DEP_1) | instskip(SKIP_1) | instid1(VALU_DEP_2)
	v_subrev_nc_u32_e32 v48, 29, v39
	v_sub_nc_u32_e32 v39, 30, v39
	v_lshlrev_b32_e32 v37, v48, v37
	v_bfe_u32 v48, v12, 18, 5
	s_delay_alu instid0(VALU_DEP_2) | instskip(NEXT) | instid1(VALU_DEP_2)
	v_and_b32_e32 v37, 3, v37
	v_cmp_eq_u32_e64 s11, 0, v48
	s_delay_alu instid0(VALU_DEP_1) | instskip(NEXT) | instid1(VALU_DEP_3)
	v_cndmask_b32_e64 v39, v48, v39, s11
	v_cndmask_b32_e64 v37, v38, v37, s11
	v_and_b32_e32 v38, 0x80000000, v49
	s_delay_alu instid0(VALU_DEP_3) | instskip(NEXT) | instid1(VALU_DEP_3)
	v_lshl_add_u32 v39, v39, 23, 0x37800000
	v_lshlrev_b32_e32 v37, 21, v37
	s_delay_alu instid0(VALU_DEP_1)
	v_or3_b32 v38, v38, v39, v37
.LBB6_1854:                             ;   in Loop: Header=BB6_1686 Depth=2
	s_or_b32 exec_lo, exec_lo, s26
	s_delay_alu instid0(VALU_DEP_1) | instskip(NEXT) | instid1(VALU_DEP_1)
	v_mul_f32_e32 v37, v36, v38
	v_and_b32_e32 v36, 0x7f800000, v37
	s_delay_alu instid0(VALU_DEP_1) | instskip(SKIP_1) | instid1(VALU_DEP_2)
	v_cmp_ne_u32_e64 s11, 0x7f800000, v36
	v_mov_b32_e32 v36, 0x80
	s_and_saveexec_b32 s26, s11
	s_cbranch_execz .LBB6_1862
; %bb.1855:                             ;   in Loop: Header=BB6_1686 Depth=2
	v_mov_b32_e32 v36, 0
	s_mov_b32 s27, exec_lo
	v_cmpx_ne_u32_e32 0, v37
	s_cbranch_execz .LBB6_1861
; %bb.1856:                             ;   in Loop: Header=BB6_1686 Depth=2
	v_bfe_u32 v36, v37, 23, 8
	v_and_b32_e32 v38, 0x7fffff, v37
	s_delay_alu instid0(VALU_DEP_2) | instskip(SKIP_1) | instid1(VALU_DEP_3)
	v_sub_nc_u32_e32 v39, 0x70, v36
	v_cmp_gt_u32_e64 s11, 0x71, v36
	v_or_b32_e32 v48, 0x800000, v38
	s_delay_alu instid0(VALU_DEP_2) | instskip(SKIP_2) | instid1(VALU_DEP_2)
	v_cndmask_b32_e64 v39, 0, v39, s11
	v_cmp_eq_u32_e64 s11, 0, v36
	v_add_nc_u32_e32 v36, 0xffffff91, v36
	v_cndmask_b32_e64 v39, v39, 0x6f, s11
	v_cndmask_b32_e64 v38, v48, v38, s11
	s_delay_alu instid0(VALU_DEP_3) | instskip(NEXT) | instid1(VALU_DEP_3)
	v_cndmask_b32_e64 v36, v36, 0xffffff92, s11
	v_lshl_add_u32 v48, 0x200000, v39, -1
	s_delay_alu instid0(VALU_DEP_3) | instskip(SKIP_1) | instid1(VALU_DEP_4)
	v_lshrrev_b32_e32 v49, v39, v38
	v_lshlrev_b32_e64 v51, v39, 0x100000
	v_add_nc_u32_e32 v39, v39, v36
	s_delay_alu instid0(VALU_DEP_4) | instskip(NEXT) | instid1(VALU_DEP_4)
	v_and_b32_e32 v38, v48, v38
	v_bfe_u32 v50, v49, 21, 1
	s_delay_alu instid0(VALU_DEP_2) | instskip(NEXT) | instid1(VALU_DEP_2)
	v_cmp_eq_u32_e64 s12, v38, v51
	v_add_nc_u32_e32 v48, -1, v50
	s_delay_alu instid0(VALU_DEP_1) | instskip(SKIP_2) | instid1(VALU_DEP_2)
	v_cndmask_b32_e64 v38, 0, v48, s12
	v_lshrrev_b32_e32 v48, 23, v49
	s_mov_b32 s12, exec_lo
	v_add_nc_u32_e32 v38, v38, v49
	s_delay_alu instid0(VALU_DEP_2) | instskip(NEXT) | instid1(VALU_DEP_2)
	v_xor_b32_e32 v48, 1, v48
	v_and_b32_e32 v36, 0x1fffff, v38
	s_delay_alu instid0(VALU_DEP_1) | instskip(NEXT) | instid1(VALU_DEP_3)
	v_add_nc_u32_e32 v38, v36, v49
                                        ; implicit-def: $vgpr36
	v_cmpx_ne_u32_e64 v39, v48
	s_xor_b32 s12, exec_lo, s12
; %bb.1857:                             ;   in Loop: Header=BB6_1686 Depth=2
	s_delay_alu instid0(VALU_DEP_2) | instskip(SKIP_1) | instid1(VALU_DEP_2)
	v_cmp_lt_u32_e64 s11, 0xffffff, v38
	v_sub_nc_u32_e32 v36, v39, v48
	v_cndmask_b32_e64 v39, 0, 1, s11
	s_delay_alu instid0(VALU_DEP_2) | instskip(NEXT) | instid1(VALU_DEP_2)
	v_add_co_ci_u32_e64 v36, s11, 0, v36, s11
	v_lshrrev_b32_e32 v38, v39, v38
; %bb.1858:                             ;   in Loop: Header=BB6_1686 Depth=2
	s_and_not1_saveexec_b32 s11, s12
; %bb.1859:                             ;   in Loop: Header=BB6_1686 Depth=2
	s_delay_alu instid0(VALU_DEP_1)
	v_bfe_u32 v36, v38, 23, 1
; %bb.1860:                             ;   in Loop: Header=BB6_1686 Depth=2
	s_or_b32 exec_lo, exec_lo, s11
	v_lshrrev_b32_e32 v38, 21, v38
	s_delay_alu instid0(VALU_DEP_2) | instskip(SKIP_2) | instid1(VALU_DEP_3)
	v_cmp_gt_i32_e64 s11, 32, v36
	v_lshrrev_b32_e32 v37, 24, v37
	v_min_i32_e32 v39, 31, v36
	v_cndmask_b32_e64 v38, 3, v38, s11
	s_delay_alu instid0(VALU_DEP_3) | instskip(NEXT) | instid1(VALU_DEP_3)
	v_and_b32_e32 v37, 0x80, v37
	v_lshlrev_b32_e32 v39, 2, v39
	s_delay_alu instid0(VALU_DEP_3) | instskip(SKIP_1) | instid1(VALU_DEP_2)
	v_and_b32_e32 v48, 3, v38
	v_or_b32_e32 v36, v36, v38
	v_or3_b32 v37, v39, v37, v48
	s_delay_alu instid0(VALU_DEP_2) | instskip(NEXT) | instid1(VALU_DEP_1)
	v_cmp_ne_u32_e64 s11, 0, v36
	v_cndmask_b32_e64 v36, 0, v37, s11
.LBB6_1861:                             ;   in Loop: Header=BB6_1686 Depth=2
	s_or_b32 exec_lo, exec_lo, s27
.LBB6_1862:                             ;   in Loop: Header=BB6_1686 Depth=2
	s_delay_alu instid0(SALU_CYCLE_1) | instskip(SKIP_3) | instid1(VALU_DEP_1)
	s_or_b32 exec_lo, exec_lo, s26
	v_lshrrev_b32_e32 v38, 24, v16
	s_mov_b32 s12, 0
	s_mov_b32 s27, exec_lo
                                        ; implicit-def: $sgpr26
	v_cmpx_lt_i16_e32 0x7f, v38
	s_xor_b32 s27, exec_lo, s27
	s_cbranch_execnz .LBB6_2028
; %bb.1863:                             ;   in Loop: Header=BB6_1686 Depth=2
	s_or_saveexec_b32 s27, s27
	v_mov_b32_e32 v37, s26
	s_xor_b32 exec_lo, exec_lo, s27
	s_cbranch_execnz .LBB6_2031
.LBB6_1864:                             ;   in Loop: Header=BB6_1686 Depth=2
	s_or_b32 exec_lo, exec_lo, s27
	s_and_saveexec_b32 s26, s12
	s_cbranch_execz .LBB6_1866
.LBB6_1865:                             ;   in Loop: Header=BB6_1686 Depth=2
	v_bfe_u32 v37, v16, 24, 2
	s_delay_alu instid0(VALU_DEP_1) | instskip(NEXT) | instid1(VALU_DEP_1)
	v_clz_i32_u32_e32 v39, v37
	v_min_u32_e32 v39, 32, v39
	s_delay_alu instid0(VALU_DEP_1) | instskip(SKIP_1) | instid1(VALU_DEP_2)
	v_subrev_nc_u32_e32 v48, 29, v39
	v_sub_nc_u32_e32 v39, 30, v39
	v_lshlrev_b32_e32 v38, v48, v38
	v_bfe_u32 v48, v16, 26, 5
	v_and_b32_e32 v16, 0x80000000, v16
	s_delay_alu instid0(VALU_DEP_3) | instskip(NEXT) | instid1(VALU_DEP_3)
	v_and_b32_e32 v38, 3, v38
	v_cmp_eq_u32_e64 s11, 0, v48
	s_delay_alu instid0(VALU_DEP_1) | instskip(NEXT) | instid1(VALU_DEP_3)
	v_cndmask_b32_e64 v39, v48, v39, s11
	v_cndmask_b32_e64 v37, v37, v38, s11
	s_delay_alu instid0(VALU_DEP_2) | instskip(NEXT) | instid1(VALU_DEP_2)
	v_lshl_add_u32 v38, v39, 23, 0x37800000
	v_lshlrev_b32_e32 v37, 21, v37
	s_delay_alu instid0(VALU_DEP_1)
	v_or3_b32 v37, v16, v38, v37
.LBB6_1866:                             ;   in Loop: Header=BB6_1686 Depth=2
	s_or_b32 exec_lo, exec_lo, s26
	v_lshrrev_b32_e32 v16, 24, v12
	s_mov_b32 s12, 0
	s_mov_b32 s27, exec_lo
                                        ; implicit-def: $sgpr26
	s_delay_alu instid0(VALU_DEP_1)
	v_cmpx_lt_i16_e32 0x7f, v16
	s_xor_b32 s27, exec_lo, s27
	s_cbranch_execnz .LBB6_2032
; %bb.1867:                             ;   in Loop: Header=BB6_1686 Depth=2
	s_or_saveexec_b32 s27, s27
	v_mov_b32_e32 v38, s26
	s_xor_b32 exec_lo, exec_lo, s27
	s_cbranch_execnz .LBB6_2035
.LBB6_1868:                             ;   in Loop: Header=BB6_1686 Depth=2
	s_or_b32 exec_lo, exec_lo, s27
	s_and_saveexec_b32 s26, s12
	s_cbranch_execz .LBB6_1870
.LBB6_1869:                             ;   in Loop: Header=BB6_1686 Depth=2
	v_bfe_u32 v38, v12, 24, 2
	s_delay_alu instid0(VALU_DEP_1) | instskip(NEXT) | instid1(VALU_DEP_1)
	v_clz_i32_u32_e32 v39, v38
	v_min_u32_e32 v39, 32, v39
	s_delay_alu instid0(VALU_DEP_1) | instskip(SKIP_1) | instid1(VALU_DEP_2)
	v_subrev_nc_u32_e32 v48, 29, v39
	v_sub_nc_u32_e32 v39, 30, v39
	v_lshlrev_b32_e32 v16, v48, v16
	v_bfe_u32 v48, v12, 26, 5
	v_and_b32_e32 v12, 0x80000000, v12
	s_delay_alu instid0(VALU_DEP_3) | instskip(NEXT) | instid1(VALU_DEP_3)
	v_and_b32_e32 v16, 3, v16
	v_cmp_eq_u32_e64 s11, 0, v48
	s_delay_alu instid0(VALU_DEP_1) | instskip(NEXT) | instid1(VALU_DEP_3)
	v_cndmask_b32_e64 v39, v48, v39, s11
	v_cndmask_b32_e64 v16, v38, v16, s11
	s_delay_alu instid0(VALU_DEP_2) | instskip(NEXT) | instid1(VALU_DEP_2)
	v_lshl_add_u32 v38, v39, 23, 0x37800000
	v_lshlrev_b32_e32 v16, 21, v16
	s_delay_alu instid0(VALU_DEP_1)
	v_or3_b32 v38, v12, v38, v16
.LBB6_1870:                             ;   in Loop: Header=BB6_1686 Depth=2
	s_or_b32 exec_lo, exec_lo, s26
	s_delay_alu instid0(VALU_DEP_1) | instskip(NEXT) | instid1(VALU_DEP_1)
	v_mul_f32_e32 v16, v37, v38
	v_and_b32_e32 v12, 0x7f800000, v16
	s_delay_alu instid0(VALU_DEP_1) | instskip(SKIP_1) | instid1(VALU_DEP_2)
	v_cmp_ne_u32_e64 s11, 0x7f800000, v12
	v_mov_b32_e32 v12, 0x80
	s_and_saveexec_b32 s26, s11
	s_cbranch_execz .LBB6_1878
; %bb.1871:                             ;   in Loop: Header=BB6_1686 Depth=2
	v_mov_b32_e32 v12, 0
	s_mov_b32 s27, exec_lo
	v_cmpx_ne_u32_e32 0, v16
	s_cbranch_execz .LBB6_1877
; %bb.1872:                             ;   in Loop: Header=BB6_1686 Depth=2
	v_bfe_u32 v12, v16, 23, 8
	v_and_b32_e32 v37, 0x7fffff, v16
	s_delay_alu instid0(VALU_DEP_2) | instskip(SKIP_1) | instid1(VALU_DEP_3)
	v_sub_nc_u32_e32 v38, 0x70, v12
	v_cmp_gt_u32_e64 s11, 0x71, v12
	v_or_b32_e32 v39, 0x800000, v37
	s_delay_alu instid0(VALU_DEP_2) | instskip(SKIP_2) | instid1(VALU_DEP_2)
	v_cndmask_b32_e64 v38, 0, v38, s11
	v_cmp_eq_u32_e64 s11, 0, v12
	v_add_nc_u32_e32 v12, 0xffffff91, v12
	v_cndmask_b32_e64 v38, v38, 0x6f, s11
	v_cndmask_b32_e64 v37, v39, v37, s11
	s_delay_alu instid0(VALU_DEP_3) | instskip(NEXT) | instid1(VALU_DEP_3)
	v_cndmask_b32_e64 v12, v12, 0xffffff92, s11
	v_lshl_add_u32 v39, 0x200000, v38, -1
	s_delay_alu instid0(VALU_DEP_3) | instskip(SKIP_1) | instid1(VALU_DEP_4)
	v_lshrrev_b32_e32 v48, v38, v37
	v_lshlrev_b32_e64 v50, v38, 0x100000
	v_add_nc_u32_e32 v38, v38, v12
	s_delay_alu instid0(VALU_DEP_4) | instskip(NEXT) | instid1(VALU_DEP_4)
	v_and_b32_e32 v37, v39, v37
	v_bfe_u32 v49, v48, 21, 1
	s_delay_alu instid0(VALU_DEP_2) | instskip(NEXT) | instid1(VALU_DEP_2)
	v_cmp_eq_u32_e64 s12, v37, v50
	v_add_nc_u32_e32 v39, -1, v49
	s_delay_alu instid0(VALU_DEP_1) | instskip(SKIP_2) | instid1(VALU_DEP_2)
	v_cndmask_b32_e64 v37, 0, v39, s12
	v_lshrrev_b32_e32 v39, 23, v48
	s_mov_b32 s12, exec_lo
	v_add_nc_u32_e32 v37, v37, v48
	s_delay_alu instid0(VALU_DEP_2) | instskip(NEXT) | instid1(VALU_DEP_2)
	v_xor_b32_e32 v39, 1, v39
	v_and_b32_e32 v12, 0x1fffff, v37
	s_delay_alu instid0(VALU_DEP_1) | instskip(NEXT) | instid1(VALU_DEP_3)
	v_add_nc_u32_e32 v37, v12, v48
                                        ; implicit-def: $vgpr12
	v_cmpx_ne_u32_e64 v38, v39
	s_xor_b32 s12, exec_lo, s12
; %bb.1873:                             ;   in Loop: Header=BB6_1686 Depth=2
	s_delay_alu instid0(VALU_DEP_2) | instskip(SKIP_1) | instid1(VALU_DEP_2)
	v_cmp_lt_u32_e64 s11, 0xffffff, v37
	v_sub_nc_u32_e32 v12, v38, v39
	v_cndmask_b32_e64 v38, 0, 1, s11
	s_delay_alu instid0(VALU_DEP_2) | instskip(NEXT) | instid1(VALU_DEP_2)
	v_add_co_ci_u32_e64 v12, s11, 0, v12, s11
	v_lshrrev_b32_e32 v37, v38, v37
; %bb.1874:                             ;   in Loop: Header=BB6_1686 Depth=2
	s_and_not1_saveexec_b32 s11, s12
; %bb.1875:                             ;   in Loop: Header=BB6_1686 Depth=2
	s_delay_alu instid0(VALU_DEP_1)
	v_bfe_u32 v12, v37, 23, 1
; %bb.1876:                             ;   in Loop: Header=BB6_1686 Depth=2
	s_or_b32 exec_lo, exec_lo, s11
	v_lshrrev_b32_e32 v37, 21, v37
	s_delay_alu instid0(VALU_DEP_2) | instskip(SKIP_2) | instid1(VALU_DEP_3)
	v_cmp_gt_i32_e64 s11, 32, v12
	v_lshrrev_b32_e32 v16, 24, v16
	v_min_i32_e32 v38, 31, v12
	v_cndmask_b32_e64 v37, 3, v37, s11
	s_delay_alu instid0(VALU_DEP_3) | instskip(NEXT) | instid1(VALU_DEP_3)
	v_and_b32_e32 v16, 0x80, v16
	v_lshlrev_b32_e32 v38, 2, v38
	s_delay_alu instid0(VALU_DEP_3) | instskip(SKIP_1) | instid1(VALU_DEP_2)
	v_and_b32_e32 v39, 3, v37
	v_or_b32_e32 v12, v12, v37
	v_or3_b32 v16, v38, v16, v39
	s_delay_alu instid0(VALU_DEP_2) | instskip(NEXT) | instid1(VALU_DEP_1)
	v_cmp_ne_u32_e64 s11, 0, v12
	v_cndmask_b32_e64 v12, 0, v16, s11
.LBB6_1877:                             ;   in Loop: Header=BB6_1686 Depth=2
	s_or_b32 exec_lo, exec_lo, s27
.LBB6_1878:                             ;   in Loop: Header=BB6_1686 Depth=2
	s_delay_alu instid0(SALU_CYCLE_1) | instskip(SKIP_3) | instid1(VALU_DEP_1)
	s_or_b32 exec_lo, exec_lo, s26
	v_and_b32_e32 v37, 0xff, v17
	s_mov_b32 s12, 0
	s_mov_b32 s27, exec_lo
                                        ; implicit-def: $sgpr26
	v_cmpx_lt_i16_e32 0x7f, v37
	s_xor_b32 s27, exec_lo, s27
	s_cbranch_execnz .LBB6_2036
; %bb.1879:                             ;   in Loop: Header=BB6_1686 Depth=2
	s_or_saveexec_b32 s27, s27
	v_mov_b32_e32 v16, s26
	s_xor_b32 exec_lo, exec_lo, s27
	s_cbranch_execnz .LBB6_2039
.LBB6_1880:                             ;   in Loop: Header=BB6_1686 Depth=2
	s_or_b32 exec_lo, exec_lo, s27
	s_and_saveexec_b32 s26, s12
	s_cbranch_execz .LBB6_1882
.LBB6_1881:                             ;   in Loop: Header=BB6_1686 Depth=2
	v_and_b32_e32 v16, 3, v17
	v_bfe_u32 v39, v17, 2, 5
	v_lshlrev_b32_e32 v48, 24, v17
	s_delay_alu instid0(VALU_DEP_3) | instskip(NEXT) | instid1(VALU_DEP_3)
	v_clz_i32_u32_e32 v37, v16
	v_cmp_eq_u32_e64 s11, 0, v39
	s_delay_alu instid0(VALU_DEP_2) | instskip(NEXT) | instid1(VALU_DEP_1)
	v_min_u32_e32 v37, 32, v37
	v_subrev_nc_u32_e32 v38, 29, v37
	v_sub_nc_u32_e32 v37, 30, v37
	s_delay_alu instid0(VALU_DEP_2) | instskip(NEXT) | instid1(VALU_DEP_2)
	v_lshlrev_b32_e32 v38, v38, v17
	v_cndmask_b32_e64 v37, v39, v37, s11
	s_delay_alu instid0(VALU_DEP_2) | instskip(NEXT) | instid1(VALU_DEP_2)
	v_and_b32_e32 v38, 3, v38
	v_lshl_add_u32 v37, v37, 23, 0x37800000
	s_delay_alu instid0(VALU_DEP_2) | instskip(SKIP_1) | instid1(VALU_DEP_2)
	v_cndmask_b32_e64 v16, v16, v38, s11
	v_and_b32_e32 v38, 0x80000000, v48
	v_lshlrev_b32_e32 v16, 21, v16
	s_delay_alu instid0(VALU_DEP_1)
	v_or3_b32 v16, v38, v37, v16
.LBB6_1882:                             ;   in Loop: Header=BB6_1686 Depth=2
	s_or_b32 exec_lo, exec_lo, s26
	v_and_b32_e32 v38, 0xff, v13
	s_mov_b32 s12, 0
	s_mov_b32 s27, exec_lo
                                        ; implicit-def: $sgpr26
	s_delay_alu instid0(VALU_DEP_1)
	v_cmpx_lt_i16_e32 0x7f, v38
	s_xor_b32 s27, exec_lo, s27
	s_cbranch_execnz .LBB6_2040
; %bb.1883:                             ;   in Loop: Header=BB6_1686 Depth=2
	s_or_saveexec_b32 s27, s27
	v_mov_b32_e32 v37, s26
	s_xor_b32 exec_lo, exec_lo, s27
	s_cbranch_execnz .LBB6_2043
.LBB6_1884:                             ;   in Loop: Header=BB6_1686 Depth=2
	s_or_b32 exec_lo, exec_lo, s27
	s_and_saveexec_b32 s26, s12
	s_cbranch_execz .LBB6_1886
.LBB6_1885:                             ;   in Loop: Header=BB6_1686 Depth=2
	v_and_b32_e32 v37, 3, v13
	v_bfe_u32 v48, v13, 2, 5
	v_lshlrev_b32_e32 v49, 24, v13
	s_delay_alu instid0(VALU_DEP_3) | instskip(NEXT) | instid1(VALU_DEP_3)
	v_clz_i32_u32_e32 v38, v37
	v_cmp_eq_u32_e64 s11, 0, v48
	s_delay_alu instid0(VALU_DEP_2) | instskip(NEXT) | instid1(VALU_DEP_1)
	v_min_u32_e32 v38, 32, v38
	v_subrev_nc_u32_e32 v39, 29, v38
	v_sub_nc_u32_e32 v38, 30, v38
	s_delay_alu instid0(VALU_DEP_2) | instskip(NEXT) | instid1(VALU_DEP_2)
	v_lshlrev_b32_e32 v39, v39, v13
	v_cndmask_b32_e64 v38, v48, v38, s11
	s_delay_alu instid0(VALU_DEP_2) | instskip(NEXT) | instid1(VALU_DEP_2)
	v_and_b32_e32 v39, 3, v39
	v_lshl_add_u32 v38, v38, 23, 0x37800000
	s_delay_alu instid0(VALU_DEP_2) | instskip(SKIP_1) | instid1(VALU_DEP_2)
	v_cndmask_b32_e64 v37, v37, v39, s11
	v_and_b32_e32 v39, 0x80000000, v49
	v_lshlrev_b32_e32 v37, 21, v37
	s_delay_alu instid0(VALU_DEP_1)
	v_or3_b32 v37, v39, v38, v37
.LBB6_1886:                             ;   in Loop: Header=BB6_1686 Depth=2
	s_or_b32 exec_lo, exec_lo, s26
	s_delay_alu instid0(VALU_DEP_1) | instskip(NEXT) | instid1(VALU_DEP_1)
	v_mul_f32_e32 v37, v16, v37
	v_and_b32_e32 v16, 0x7f800000, v37
	s_delay_alu instid0(VALU_DEP_1) | instskip(SKIP_1) | instid1(VALU_DEP_2)
	v_cmp_ne_u32_e64 s11, 0x7f800000, v16
	v_mov_b32_e32 v16, 0x80
	s_and_saveexec_b32 s26, s11
	s_cbranch_execz .LBB6_1894
; %bb.1887:                             ;   in Loop: Header=BB6_1686 Depth=2
	v_mov_b32_e32 v16, 0
	s_mov_b32 s27, exec_lo
	v_cmpx_ne_u32_e32 0, v37
	s_cbranch_execz .LBB6_1893
; %bb.1888:                             ;   in Loop: Header=BB6_1686 Depth=2
	v_bfe_u32 v16, v37, 23, 8
	v_and_b32_e32 v38, 0x7fffff, v37
	s_delay_alu instid0(VALU_DEP_2) | instskip(SKIP_1) | instid1(VALU_DEP_3)
	v_sub_nc_u32_e32 v39, 0x70, v16
	v_cmp_gt_u32_e64 s11, 0x71, v16
	v_or_b32_e32 v48, 0x800000, v38
	s_delay_alu instid0(VALU_DEP_2) | instskip(SKIP_2) | instid1(VALU_DEP_2)
	v_cndmask_b32_e64 v39, 0, v39, s11
	v_cmp_eq_u32_e64 s11, 0, v16
	v_add_nc_u32_e32 v16, 0xffffff91, v16
	v_cndmask_b32_e64 v39, v39, 0x6f, s11
	v_cndmask_b32_e64 v38, v48, v38, s11
	s_delay_alu instid0(VALU_DEP_3) | instskip(NEXT) | instid1(VALU_DEP_3)
	v_cndmask_b32_e64 v16, v16, 0xffffff92, s11
	v_lshl_add_u32 v48, 0x200000, v39, -1
	s_delay_alu instid0(VALU_DEP_3) | instskip(SKIP_1) | instid1(VALU_DEP_4)
	v_lshrrev_b32_e32 v49, v39, v38
	v_lshlrev_b32_e64 v51, v39, 0x100000
	v_add_nc_u32_e32 v39, v39, v16
	s_delay_alu instid0(VALU_DEP_4) | instskip(NEXT) | instid1(VALU_DEP_4)
	v_and_b32_e32 v38, v48, v38
	v_bfe_u32 v50, v49, 21, 1
	s_delay_alu instid0(VALU_DEP_2) | instskip(NEXT) | instid1(VALU_DEP_2)
	v_cmp_eq_u32_e64 s12, v38, v51
	v_add_nc_u32_e32 v48, -1, v50
	s_delay_alu instid0(VALU_DEP_1) | instskip(SKIP_2) | instid1(VALU_DEP_2)
	v_cndmask_b32_e64 v38, 0, v48, s12
	v_lshrrev_b32_e32 v48, 23, v49
	s_mov_b32 s12, exec_lo
	v_add_nc_u32_e32 v38, v38, v49
	s_delay_alu instid0(VALU_DEP_2) | instskip(NEXT) | instid1(VALU_DEP_2)
	v_xor_b32_e32 v48, 1, v48
	v_and_b32_e32 v16, 0x1fffff, v38
	s_delay_alu instid0(VALU_DEP_1) | instskip(NEXT) | instid1(VALU_DEP_3)
	v_add_nc_u32_e32 v38, v16, v49
                                        ; implicit-def: $vgpr16
	v_cmpx_ne_u32_e64 v39, v48
	s_xor_b32 s12, exec_lo, s12
; %bb.1889:                             ;   in Loop: Header=BB6_1686 Depth=2
	s_delay_alu instid0(VALU_DEP_2) | instskip(SKIP_1) | instid1(VALU_DEP_2)
	v_cmp_lt_u32_e64 s11, 0xffffff, v38
	v_sub_nc_u32_e32 v16, v39, v48
	v_cndmask_b32_e64 v39, 0, 1, s11
	s_delay_alu instid0(VALU_DEP_2) | instskip(NEXT) | instid1(VALU_DEP_2)
	v_add_co_ci_u32_e64 v16, s11, 0, v16, s11
	v_lshrrev_b32_e32 v38, v39, v38
; %bb.1890:                             ;   in Loop: Header=BB6_1686 Depth=2
	s_and_not1_saveexec_b32 s11, s12
; %bb.1891:                             ;   in Loop: Header=BB6_1686 Depth=2
	s_delay_alu instid0(VALU_DEP_1)
	v_bfe_u32 v16, v38, 23, 1
; %bb.1892:                             ;   in Loop: Header=BB6_1686 Depth=2
	s_or_b32 exec_lo, exec_lo, s11
	v_lshrrev_b32_e32 v38, 21, v38
	s_delay_alu instid0(VALU_DEP_2) | instskip(SKIP_2) | instid1(VALU_DEP_3)
	v_cmp_gt_i32_e64 s11, 32, v16
	v_lshrrev_b32_e32 v37, 24, v37
	v_min_i32_e32 v39, 31, v16
	v_cndmask_b32_e64 v38, 3, v38, s11
	s_delay_alu instid0(VALU_DEP_3) | instskip(NEXT) | instid1(VALU_DEP_3)
	v_and_b32_e32 v37, 0x80, v37
	v_lshlrev_b32_e32 v39, 2, v39
	s_delay_alu instid0(VALU_DEP_3) | instskip(SKIP_1) | instid1(VALU_DEP_2)
	v_and_b32_e32 v48, 3, v38
	v_or_b32_e32 v16, v16, v38
	v_or3_b32 v37, v39, v37, v48
	s_delay_alu instid0(VALU_DEP_2) | instskip(NEXT) | instid1(VALU_DEP_1)
	v_cmp_ne_u32_e64 s11, 0, v16
	v_cndmask_b32_e64 v16, 0, v37, s11
.LBB6_1893:                             ;   in Loop: Header=BB6_1686 Depth=2
	s_or_b32 exec_lo, exec_lo, s27
.LBB6_1894:                             ;   in Loop: Header=BB6_1686 Depth=2
	s_delay_alu instid0(SALU_CYCLE_1) | instskip(SKIP_3) | instid1(VALU_DEP_1)
	s_or_b32 exec_lo, exec_lo, s26
	v_lshrrev_b16 v38, 8, v17
	s_mov_b32 s12, 0
	s_mov_b32 s27, exec_lo
                                        ; implicit-def: $sgpr26
	v_cmpx_lt_i16_e32 0x7f, v38
	s_xor_b32 s27, exec_lo, s27
	s_cbranch_execnz .LBB6_2044
; %bb.1895:                             ;   in Loop: Header=BB6_1686 Depth=2
	s_or_saveexec_b32 s27, s27
	v_mov_b32_e32 v37, s26
	s_xor_b32 exec_lo, exec_lo, s27
	s_cbranch_execnz .LBB6_2047
.LBB6_1896:                             ;   in Loop: Header=BB6_1686 Depth=2
	s_or_b32 exec_lo, exec_lo, s27
	s_and_saveexec_b32 s26, s12
	s_cbranch_execz .LBB6_1898
.LBB6_1897:                             ;   in Loop: Header=BB6_1686 Depth=2
	v_and_b32_e32 v37, 0xffff, v38
	v_lshlrev_b32_e32 v38, 24, v38
	s_delay_alu instid0(VALU_DEP_2) | instskip(NEXT) | instid1(VALU_DEP_2)
	v_and_b32_e32 v39, 3, v37
	v_and_b32_e32 v38, 0x80000000, v38
	s_delay_alu instid0(VALU_DEP_2) | instskip(NEXT) | instid1(VALU_DEP_1)
	v_clz_i32_u32_e32 v48, v39
	v_min_u32_e32 v48, 32, v48
	s_delay_alu instid0(VALU_DEP_1) | instskip(SKIP_1) | instid1(VALU_DEP_2)
	v_subrev_nc_u32_e32 v49, 29, v48
	v_sub_nc_u32_e32 v48, 30, v48
	v_lshlrev_b32_e32 v49, v49, v37
	v_bfe_u32 v37, v37, 2, 5
	s_delay_alu instid0(VALU_DEP_2) | instskip(NEXT) | instid1(VALU_DEP_2)
	v_and_b32_e32 v49, 3, v49
	v_cmp_eq_u32_e64 s11, 0, v37
	s_delay_alu instid0(VALU_DEP_1) | instskip(NEXT) | instid1(VALU_DEP_3)
	v_cndmask_b32_e64 v37, v37, v48, s11
	v_cndmask_b32_e64 v39, v39, v49, s11
	s_delay_alu instid0(VALU_DEP_2) | instskip(NEXT) | instid1(VALU_DEP_2)
	v_lshl_add_u32 v37, v37, 23, 0x37800000
	v_lshlrev_b32_e32 v39, 21, v39
	s_delay_alu instid0(VALU_DEP_1)
	v_or3_b32 v37, v38, v37, v39
.LBB6_1898:                             ;   in Loop: Header=BB6_1686 Depth=2
	s_or_b32 exec_lo, exec_lo, s26
	v_lshrrev_b16 v38, 8, v13
	s_mov_b32 s12, 0
	s_mov_b32 s27, exec_lo
                                        ; implicit-def: $sgpr26
	s_delay_alu instid0(VALU_DEP_1)
	v_cmpx_lt_i16_e32 0x7f, v38
	s_xor_b32 s27, exec_lo, s27
	s_cbranch_execnz .LBB6_2048
; %bb.1899:                             ;   in Loop: Header=BB6_1686 Depth=2
	s_or_saveexec_b32 s27, s27
	v_mov_b32_e32 v39, s26
	s_xor_b32 exec_lo, exec_lo, s27
	s_cbranch_execnz .LBB6_2051
.LBB6_1900:                             ;   in Loop: Header=BB6_1686 Depth=2
	s_or_b32 exec_lo, exec_lo, s27
	s_and_saveexec_b32 s26, s12
	s_cbranch_execz .LBB6_1902
.LBB6_1901:                             ;   in Loop: Header=BB6_1686 Depth=2
	v_and_b32_e32 v39, 0xffff, v38
	v_lshlrev_b32_e32 v38, 24, v38
	s_delay_alu instid0(VALU_DEP_2) | instskip(NEXT) | instid1(VALU_DEP_2)
	v_and_b32_e32 v48, 3, v39
	v_and_b32_e32 v38, 0x80000000, v38
	s_delay_alu instid0(VALU_DEP_2) | instskip(NEXT) | instid1(VALU_DEP_1)
	v_clz_i32_u32_e32 v49, v48
	v_min_u32_e32 v49, 32, v49
	s_delay_alu instid0(VALU_DEP_1) | instskip(SKIP_1) | instid1(VALU_DEP_2)
	v_subrev_nc_u32_e32 v50, 29, v49
	v_sub_nc_u32_e32 v49, 30, v49
	v_lshlrev_b32_e32 v50, v50, v39
	v_bfe_u32 v39, v39, 2, 5
	s_delay_alu instid0(VALU_DEP_2) | instskip(NEXT) | instid1(VALU_DEP_2)
	v_and_b32_e32 v50, 3, v50
	v_cmp_eq_u32_e64 s11, 0, v39
	s_delay_alu instid0(VALU_DEP_1) | instskip(NEXT) | instid1(VALU_DEP_3)
	v_cndmask_b32_e64 v39, v39, v49, s11
	v_cndmask_b32_e64 v48, v48, v50, s11
	s_delay_alu instid0(VALU_DEP_2) | instskip(NEXT) | instid1(VALU_DEP_2)
	v_lshl_add_u32 v39, v39, 23, 0x37800000
	v_lshlrev_b32_e32 v48, 21, v48
	s_delay_alu instid0(VALU_DEP_1)
	v_or3_b32 v39, v38, v39, v48
.LBB6_1902:                             ;   in Loop: Header=BB6_1686 Depth=2
	s_or_b32 exec_lo, exec_lo, s26
	s_delay_alu instid0(VALU_DEP_1) | instskip(NEXT) | instid1(VALU_DEP_1)
	v_mul_f32_e32 v38, v37, v39
	v_and_b32_e32 v37, 0x7f800000, v38
	s_delay_alu instid0(VALU_DEP_1) | instskip(SKIP_1) | instid1(VALU_DEP_2)
	v_cmp_ne_u32_e64 s11, 0x7f800000, v37
	v_mov_b32_e32 v37, 0x8000
	s_and_saveexec_b32 s26, s11
	s_cbranch_execz .LBB6_1910
; %bb.1903:                             ;   in Loop: Header=BB6_1686 Depth=2
	v_mov_b32_e32 v37, 0
	s_mov_b32 s27, exec_lo
	v_cmpx_ne_u32_e32 0, v38
	s_cbranch_execz .LBB6_1909
; %bb.1904:                             ;   in Loop: Header=BB6_1686 Depth=2
	v_bfe_u32 v37, v38, 23, 8
	v_and_b32_e32 v39, 0x7fffff, v38
	s_delay_alu instid0(VALU_DEP_2) | instskip(SKIP_1) | instid1(VALU_DEP_3)
	v_sub_nc_u32_e32 v48, 0x70, v37
	v_cmp_gt_u32_e64 s11, 0x71, v37
	v_or_b32_e32 v49, 0x800000, v39
	s_delay_alu instid0(VALU_DEP_2) | instskip(SKIP_2) | instid1(VALU_DEP_2)
	v_cndmask_b32_e64 v48, 0, v48, s11
	v_cmp_eq_u32_e64 s11, 0, v37
	v_add_nc_u32_e32 v37, 0xffffff91, v37
	v_cndmask_b32_e64 v48, v48, 0x6f, s11
	v_cndmask_b32_e64 v39, v49, v39, s11
	s_delay_alu instid0(VALU_DEP_3) | instskip(NEXT) | instid1(VALU_DEP_3)
	v_cndmask_b32_e64 v37, v37, 0xffffff92, s11
	v_lshl_add_u32 v49, 0x200000, v48, -1
	s_delay_alu instid0(VALU_DEP_3) | instskip(SKIP_1) | instid1(VALU_DEP_4)
	v_lshrrev_b32_e32 v50, v48, v39
	v_lshlrev_b32_e64 v97, v48, 0x100000
	v_add_nc_u32_e32 v48, v48, v37
	s_delay_alu instid0(VALU_DEP_4) | instskip(NEXT) | instid1(VALU_DEP_4)
	v_and_b32_e32 v39, v49, v39
	v_bfe_u32 v51, v50, 21, 1
	s_delay_alu instid0(VALU_DEP_2) | instskip(NEXT) | instid1(VALU_DEP_2)
	v_cmp_eq_u32_e64 s12, v39, v97
	v_add_nc_u32_e32 v49, -1, v51
	s_delay_alu instid0(VALU_DEP_1) | instskip(SKIP_2) | instid1(VALU_DEP_2)
	v_cndmask_b32_e64 v39, 0, v49, s12
	v_lshrrev_b32_e32 v49, 23, v50
	s_mov_b32 s12, exec_lo
	v_add_nc_u32_e32 v39, v39, v50
	s_delay_alu instid0(VALU_DEP_2) | instskip(NEXT) | instid1(VALU_DEP_2)
	v_xor_b32_e32 v49, 1, v49
	v_and_b32_e32 v37, 0x1fffff, v39
	s_delay_alu instid0(VALU_DEP_1) | instskip(NEXT) | instid1(VALU_DEP_3)
	v_add_nc_u32_e32 v39, v37, v50
                                        ; implicit-def: $vgpr37
	v_cmpx_ne_u32_e64 v48, v49
	s_xor_b32 s12, exec_lo, s12
; %bb.1905:                             ;   in Loop: Header=BB6_1686 Depth=2
	s_delay_alu instid0(VALU_DEP_2) | instskip(SKIP_1) | instid1(VALU_DEP_2)
	v_cmp_lt_u32_e64 s11, 0xffffff, v39
	v_sub_nc_u32_e32 v37, v48, v49
	v_cndmask_b32_e64 v48, 0, 1, s11
	s_delay_alu instid0(VALU_DEP_2) | instskip(NEXT) | instid1(VALU_DEP_2)
	v_add_co_ci_u32_e64 v37, s11, 0, v37, s11
	v_lshrrev_b32_e32 v39, v48, v39
; %bb.1906:                             ;   in Loop: Header=BB6_1686 Depth=2
	s_and_not1_saveexec_b32 s11, s12
; %bb.1907:                             ;   in Loop: Header=BB6_1686 Depth=2
	s_delay_alu instid0(VALU_DEP_1)
	v_bfe_u32 v37, v39, 23, 1
; %bb.1908:                             ;   in Loop: Header=BB6_1686 Depth=2
	s_or_b32 exec_lo, exec_lo, s11
	v_lshrrev_b32_e32 v39, 21, v39
	s_delay_alu instid0(VALU_DEP_2) | instskip(SKIP_2) | instid1(VALU_DEP_3)
	v_min_i32_e32 v48, 31, v37
	v_cmp_gt_i32_e64 s11, 32, v37
	v_lshrrev_b32_e32 v38, 24, v38
	v_lshlrev_b32_e32 v48, 2, v48
	s_delay_alu instid0(VALU_DEP_3) | instskip(NEXT) | instid1(VALU_DEP_3)
	v_cndmask_b32_e64 v39, 3, v39, s11
	v_and_b32_e32 v38, 0x80, v38
	s_delay_alu instid0(VALU_DEP_3) | instskip(NEXT) | instid1(VALU_DEP_3)
	v_and_b32_e32 v48, 0xfc, v48
	v_and_b32_e32 v49, 3, v39
	v_or_b32_e32 v37, v37, v39
	s_delay_alu instid0(VALU_DEP_2) | instskip(NEXT) | instid1(VALU_DEP_2)
	v_or3_b32 v38, v38, v48, v49
	v_cmp_ne_u32_e64 s11, 0, v37
	s_delay_alu instid0(VALU_DEP_2) | instskip(NEXT) | instid1(VALU_DEP_1)
	v_lshlrev_b32_e32 v38, 8, v38
	v_cndmask_b32_e64 v37, 0, v38, s11
.LBB6_1909:                             ;   in Loop: Header=BB6_1686 Depth=2
	s_or_b32 exec_lo, exec_lo, s27
.LBB6_1910:                             ;   in Loop: Header=BB6_1686 Depth=2
	s_delay_alu instid0(SALU_CYCLE_1) | instskip(SKIP_3) | instid1(VALU_DEP_1)
	s_or_b32 exec_lo, exec_lo, s26
	v_lshrrev_b32_e32 v39, 16, v17
	s_mov_b32 s12, 0
	s_mov_b32 s27, exec_lo
                                        ; implicit-def: $sgpr26
	v_and_b32_e32 v48, 0xff, v39
	s_delay_alu instid0(VALU_DEP_1)
	v_cmpx_lt_i16_e32 0x7f, v48
	s_xor_b32 s27, exec_lo, s27
	s_cbranch_execnz .LBB6_2052
; %bb.1911:                             ;   in Loop: Header=BB6_1686 Depth=2
	s_or_saveexec_b32 s27, s27
	v_mov_b32_e32 v38, s26
	s_xor_b32 exec_lo, exec_lo, s27
	s_cbranch_execnz .LBB6_2055
.LBB6_1912:                             ;   in Loop: Header=BB6_1686 Depth=2
	s_or_b32 exec_lo, exec_lo, s27
	s_and_saveexec_b32 s26, s12
	s_cbranch_execz .LBB6_1914
.LBB6_1913:                             ;   in Loop: Header=BB6_1686 Depth=2
	v_bfe_u32 v38, v17, 16, 2
	v_lshlrev_b32_e32 v50, 8, v17
	s_delay_alu instid0(VALU_DEP_2) | instskip(NEXT) | instid1(VALU_DEP_1)
	v_clz_i32_u32_e32 v48, v38
	v_min_u32_e32 v48, 32, v48
	s_delay_alu instid0(VALU_DEP_1) | instskip(SKIP_1) | instid1(VALU_DEP_2)
	v_subrev_nc_u32_e32 v49, 29, v48
	v_sub_nc_u32_e32 v48, 30, v48
	v_lshlrev_b32_e32 v39, v49, v39
	v_bfe_u32 v49, v17, 18, 5
	s_delay_alu instid0(VALU_DEP_2) | instskip(NEXT) | instid1(VALU_DEP_2)
	v_and_b32_e32 v39, 3, v39
	v_cmp_eq_u32_e64 s11, 0, v49
	s_delay_alu instid0(VALU_DEP_1) | instskip(NEXT) | instid1(VALU_DEP_3)
	v_cndmask_b32_e64 v48, v49, v48, s11
	v_cndmask_b32_e64 v38, v38, v39, s11
	v_and_b32_e32 v39, 0x80000000, v50
	s_delay_alu instid0(VALU_DEP_3) | instskip(NEXT) | instid1(VALU_DEP_3)
	v_lshl_add_u32 v48, v48, 23, 0x37800000
	v_lshlrev_b32_e32 v38, 21, v38
	s_delay_alu instid0(VALU_DEP_1)
	v_or3_b32 v38, v39, v48, v38
.LBB6_1914:                             ;   in Loop: Header=BB6_1686 Depth=2
	s_or_b32 exec_lo, exec_lo, s26
	v_lshrrev_b32_e32 v39, 16, v13
	s_mov_b32 s12, 0
	s_mov_b32 s27, exec_lo
                                        ; implicit-def: $sgpr26
	s_delay_alu instid0(VALU_DEP_1) | instskip(NEXT) | instid1(VALU_DEP_1)
	v_and_b32_e32 v49, 0xff, v39
	v_cmpx_lt_i16_e32 0x7f, v49
	s_xor_b32 s27, exec_lo, s27
	s_cbranch_execnz .LBB6_2056
; %bb.1915:                             ;   in Loop: Header=BB6_1686 Depth=2
	s_or_saveexec_b32 s27, s27
	v_mov_b32_e32 v48, s26
	s_xor_b32 exec_lo, exec_lo, s27
	s_cbranch_execnz .LBB6_2059
.LBB6_1916:                             ;   in Loop: Header=BB6_1686 Depth=2
	s_or_b32 exec_lo, exec_lo, s27
	s_and_saveexec_b32 s26, s12
	s_cbranch_execz .LBB6_1918
.LBB6_1917:                             ;   in Loop: Header=BB6_1686 Depth=2
	v_bfe_u32 v48, v13, 16, 2
	v_lshlrev_b32_e32 v51, 8, v13
	s_delay_alu instid0(VALU_DEP_2) | instskip(NEXT) | instid1(VALU_DEP_1)
	v_clz_i32_u32_e32 v49, v48
	v_min_u32_e32 v49, 32, v49
	s_delay_alu instid0(VALU_DEP_1) | instskip(SKIP_1) | instid1(VALU_DEP_2)
	v_subrev_nc_u32_e32 v50, 29, v49
	v_sub_nc_u32_e32 v49, 30, v49
	v_lshlrev_b32_e32 v39, v50, v39
	v_bfe_u32 v50, v13, 18, 5
	s_delay_alu instid0(VALU_DEP_2) | instskip(NEXT) | instid1(VALU_DEP_2)
	v_and_b32_e32 v39, 3, v39
	v_cmp_eq_u32_e64 s11, 0, v50
	s_delay_alu instid0(VALU_DEP_1) | instskip(NEXT) | instid1(VALU_DEP_3)
	v_cndmask_b32_e64 v49, v50, v49, s11
	v_cndmask_b32_e64 v39, v48, v39, s11
	v_and_b32_e32 v48, 0x80000000, v51
	s_delay_alu instid0(VALU_DEP_3) | instskip(NEXT) | instid1(VALU_DEP_3)
	v_lshl_add_u32 v49, v49, 23, 0x37800000
	v_lshlrev_b32_e32 v39, 21, v39
	s_delay_alu instid0(VALU_DEP_1)
	v_or3_b32 v48, v48, v49, v39
.LBB6_1918:                             ;   in Loop: Header=BB6_1686 Depth=2
	s_or_b32 exec_lo, exec_lo, s26
	s_delay_alu instid0(VALU_DEP_1) | instskip(NEXT) | instid1(VALU_DEP_1)
	v_mul_f32_e32 v39, v38, v48
	v_and_b32_e32 v38, 0x7f800000, v39
	s_delay_alu instid0(VALU_DEP_1) | instskip(SKIP_1) | instid1(VALU_DEP_2)
	v_cmp_ne_u32_e64 s11, 0x7f800000, v38
	v_mov_b32_e32 v38, 0x80
	s_and_saveexec_b32 s26, s11
	s_cbranch_execz .LBB6_1926
; %bb.1919:                             ;   in Loop: Header=BB6_1686 Depth=2
	v_mov_b32_e32 v38, 0
	s_mov_b32 s27, exec_lo
	v_cmpx_ne_u32_e32 0, v39
	s_cbranch_execz .LBB6_1925
; %bb.1920:                             ;   in Loop: Header=BB6_1686 Depth=2
	v_bfe_u32 v38, v39, 23, 8
	v_and_b32_e32 v48, 0x7fffff, v39
	s_delay_alu instid0(VALU_DEP_2) | instskip(SKIP_1) | instid1(VALU_DEP_3)
	v_sub_nc_u32_e32 v49, 0x70, v38
	v_cmp_gt_u32_e64 s11, 0x71, v38
	v_or_b32_e32 v50, 0x800000, v48
	s_delay_alu instid0(VALU_DEP_2) | instskip(SKIP_2) | instid1(VALU_DEP_2)
	v_cndmask_b32_e64 v49, 0, v49, s11
	v_cmp_eq_u32_e64 s11, 0, v38
	v_add_nc_u32_e32 v38, 0xffffff91, v38
	v_cndmask_b32_e64 v49, v49, 0x6f, s11
	v_cndmask_b32_e64 v48, v50, v48, s11
	s_delay_alu instid0(VALU_DEP_3) | instskip(NEXT) | instid1(VALU_DEP_3)
	v_cndmask_b32_e64 v38, v38, 0xffffff92, s11
	v_lshl_add_u32 v50, 0x200000, v49, -1
	s_delay_alu instid0(VALU_DEP_3) | instskip(SKIP_1) | instid1(VALU_DEP_4)
	v_lshrrev_b32_e32 v51, v49, v48
	v_lshlrev_b32_e64 v98, v49, 0x100000
	v_add_nc_u32_e32 v49, v49, v38
	s_delay_alu instid0(VALU_DEP_4) | instskip(NEXT) | instid1(VALU_DEP_4)
	v_and_b32_e32 v48, v50, v48
	v_bfe_u32 v97, v51, 21, 1
	s_delay_alu instid0(VALU_DEP_2) | instskip(NEXT) | instid1(VALU_DEP_2)
	v_cmp_eq_u32_e64 s12, v48, v98
	v_add_nc_u32_e32 v50, -1, v97
	s_delay_alu instid0(VALU_DEP_1) | instskip(SKIP_2) | instid1(VALU_DEP_2)
	v_cndmask_b32_e64 v48, 0, v50, s12
	v_lshrrev_b32_e32 v50, 23, v51
	s_mov_b32 s12, exec_lo
	v_add_nc_u32_e32 v48, v48, v51
	s_delay_alu instid0(VALU_DEP_2) | instskip(NEXT) | instid1(VALU_DEP_2)
	v_xor_b32_e32 v50, 1, v50
	v_and_b32_e32 v38, 0x1fffff, v48
	s_delay_alu instid0(VALU_DEP_1) | instskip(NEXT) | instid1(VALU_DEP_3)
	v_add_nc_u32_e32 v48, v38, v51
                                        ; implicit-def: $vgpr38
	v_cmpx_ne_u32_e64 v49, v50
	s_xor_b32 s12, exec_lo, s12
; %bb.1921:                             ;   in Loop: Header=BB6_1686 Depth=2
	s_delay_alu instid0(VALU_DEP_2) | instskip(SKIP_1) | instid1(VALU_DEP_2)
	v_cmp_lt_u32_e64 s11, 0xffffff, v48
	v_sub_nc_u32_e32 v38, v49, v50
	v_cndmask_b32_e64 v49, 0, 1, s11
	s_delay_alu instid0(VALU_DEP_2) | instskip(NEXT) | instid1(VALU_DEP_2)
	v_add_co_ci_u32_e64 v38, s11, 0, v38, s11
	v_lshrrev_b32_e32 v48, v49, v48
; %bb.1922:                             ;   in Loop: Header=BB6_1686 Depth=2
	s_and_not1_saveexec_b32 s11, s12
; %bb.1923:                             ;   in Loop: Header=BB6_1686 Depth=2
	s_delay_alu instid0(VALU_DEP_1)
	v_bfe_u32 v38, v48, 23, 1
; %bb.1924:                             ;   in Loop: Header=BB6_1686 Depth=2
	s_or_b32 exec_lo, exec_lo, s11
	v_lshrrev_b32_e32 v48, 21, v48
	s_delay_alu instid0(VALU_DEP_2) | instskip(SKIP_2) | instid1(VALU_DEP_3)
	v_min_i32_e32 v49, 31, v38
	v_cmp_gt_i32_e64 s11, 32, v38
	v_lshrrev_b32_e32 v39, 24, v39
	v_lshlrev_b32_e32 v49, 2, v49
	s_delay_alu instid0(VALU_DEP_3) | instskip(NEXT) | instid1(VALU_DEP_3)
	v_cndmask_b32_e64 v48, 3, v48, s11
	v_and_b32_e32 v39, 0x80, v39
	s_delay_alu instid0(VALU_DEP_3) | instskip(NEXT) | instid1(VALU_DEP_3)
	v_and_b32_e32 v49, 0xfc, v49
	v_and_b32_e32 v50, 3, v48
	v_or_b32_e32 v38, v38, v48
	s_delay_alu instid0(VALU_DEP_2) | instskip(NEXT) | instid1(VALU_DEP_2)
	v_or3_b32 v39, v49, v39, v50
	v_cmp_ne_u32_e64 s11, 0, v38
	s_delay_alu instid0(VALU_DEP_1)
	v_cndmask_b32_e64 v38, 0, v39, s11
.LBB6_1925:                             ;   in Loop: Header=BB6_1686 Depth=2
	s_or_b32 exec_lo, exec_lo, s27
.LBB6_1926:                             ;   in Loop: Header=BB6_1686 Depth=2
	s_delay_alu instid0(SALU_CYCLE_1) | instskip(SKIP_3) | instid1(VALU_DEP_1)
	s_or_b32 exec_lo, exec_lo, s26
	v_lshrrev_b32_e32 v48, 24, v17
	s_mov_b32 s12, 0
	s_mov_b32 s27, exec_lo
                                        ; implicit-def: $sgpr26
	v_cmpx_lt_i16_e32 0x7f, v48
	s_xor_b32 s27, exec_lo, s27
	s_cbranch_execnz .LBB6_2060
; %bb.1927:                             ;   in Loop: Header=BB6_1686 Depth=2
	s_or_saveexec_b32 s27, s27
	v_mov_b32_e32 v39, s26
	s_xor_b32 exec_lo, exec_lo, s27
	s_cbranch_execnz .LBB6_2063
.LBB6_1928:                             ;   in Loop: Header=BB6_1686 Depth=2
	s_or_b32 exec_lo, exec_lo, s27
	s_and_saveexec_b32 s26, s12
	s_cbranch_execz .LBB6_1930
.LBB6_1929:                             ;   in Loop: Header=BB6_1686 Depth=2
	v_bfe_u32 v39, v17, 24, 2
	s_delay_alu instid0(VALU_DEP_1) | instskip(NEXT) | instid1(VALU_DEP_1)
	v_clz_i32_u32_e32 v49, v39
	v_min_u32_e32 v49, 32, v49
	s_delay_alu instid0(VALU_DEP_1) | instskip(SKIP_1) | instid1(VALU_DEP_2)
	v_subrev_nc_u32_e32 v50, 29, v49
	v_sub_nc_u32_e32 v49, 30, v49
	v_lshlrev_b32_e32 v48, v50, v48
	v_bfe_u32 v50, v17, 26, 5
	v_and_b32_e32 v17, 0x80000000, v17
	s_delay_alu instid0(VALU_DEP_3) | instskip(NEXT) | instid1(VALU_DEP_3)
	v_and_b32_e32 v48, 3, v48
	v_cmp_eq_u32_e64 s11, 0, v50
	s_delay_alu instid0(VALU_DEP_1) | instskip(NEXT) | instid1(VALU_DEP_3)
	v_cndmask_b32_e64 v49, v50, v49, s11
	v_cndmask_b32_e64 v39, v39, v48, s11
	s_delay_alu instid0(VALU_DEP_2) | instskip(NEXT) | instid1(VALU_DEP_2)
	v_lshl_add_u32 v48, v49, 23, 0x37800000
	v_lshlrev_b32_e32 v39, 21, v39
	s_delay_alu instid0(VALU_DEP_1)
	v_or3_b32 v39, v17, v48, v39
.LBB6_1930:                             ;   in Loop: Header=BB6_1686 Depth=2
	s_or_b32 exec_lo, exec_lo, s26
	v_lshrrev_b32_e32 v17, 24, v13
	s_mov_b32 s12, 0
	s_mov_b32 s27, exec_lo
                                        ; implicit-def: $sgpr26
	s_delay_alu instid0(VALU_DEP_1)
	v_cmpx_lt_i16_e32 0x7f, v17
	s_xor_b32 s27, exec_lo, s27
	s_cbranch_execnz .LBB6_2064
; %bb.1931:                             ;   in Loop: Header=BB6_1686 Depth=2
	s_or_saveexec_b32 s27, s27
	v_mov_b32_e32 v48, s26
	s_xor_b32 exec_lo, exec_lo, s27
	s_cbranch_execnz .LBB6_2067
.LBB6_1932:                             ;   in Loop: Header=BB6_1686 Depth=2
	s_or_b32 exec_lo, exec_lo, s27
	s_and_saveexec_b32 s26, s12
	s_cbranch_execz .LBB6_1934
.LBB6_1933:                             ;   in Loop: Header=BB6_1686 Depth=2
	v_bfe_u32 v48, v13, 24, 2
	s_delay_alu instid0(VALU_DEP_1) | instskip(NEXT) | instid1(VALU_DEP_1)
	v_clz_i32_u32_e32 v49, v48
	v_min_u32_e32 v49, 32, v49
	s_delay_alu instid0(VALU_DEP_1) | instskip(SKIP_1) | instid1(VALU_DEP_2)
	v_subrev_nc_u32_e32 v50, 29, v49
	v_sub_nc_u32_e32 v49, 30, v49
	v_lshlrev_b32_e32 v17, v50, v17
	v_bfe_u32 v50, v13, 26, 5
	v_and_b32_e32 v13, 0x80000000, v13
	s_delay_alu instid0(VALU_DEP_3) | instskip(NEXT) | instid1(VALU_DEP_3)
	v_and_b32_e32 v17, 3, v17
	v_cmp_eq_u32_e64 s11, 0, v50
	s_delay_alu instid0(VALU_DEP_1) | instskip(NEXT) | instid1(VALU_DEP_3)
	v_cndmask_b32_e64 v49, v50, v49, s11
	v_cndmask_b32_e64 v17, v48, v17, s11
	s_delay_alu instid0(VALU_DEP_2) | instskip(NEXT) | instid1(VALU_DEP_2)
	v_lshl_add_u32 v48, v49, 23, 0x37800000
	v_lshlrev_b32_e32 v17, 21, v17
	s_delay_alu instid0(VALU_DEP_1)
	v_or3_b32 v48, v13, v48, v17
.LBB6_1934:                             ;   in Loop: Header=BB6_1686 Depth=2
	s_or_b32 exec_lo, exec_lo, s26
	s_delay_alu instid0(VALU_DEP_1) | instskip(NEXT) | instid1(VALU_DEP_1)
	v_mul_f32_e32 v13, v39, v48
	v_and_b32_e32 v17, 0x7f800000, v13
	s_delay_alu instid0(VALU_DEP_1) | instskip(SKIP_1) | instid1(VALU_DEP_2)
	v_cmp_ne_u32_e64 s11, 0x7f800000, v17
	v_mov_b32_e32 v17, 0x8000
	s_and_saveexec_b32 s26, s11
	s_cbranch_execz .LBB6_1685
; %bb.1935:                             ;   in Loop: Header=BB6_1686 Depth=2
	v_mov_b32_e32 v17, 0
	s_mov_b32 s27, exec_lo
	v_cmpx_ne_u32_e32 0, v13
	s_cbranch_execz .LBB6_1684
; %bb.1936:                             ;   in Loop: Header=BB6_1686 Depth=2
	v_bfe_u32 v17, v13, 23, 8
	v_and_b32_e32 v39, 0x7fffff, v13
	s_delay_alu instid0(VALU_DEP_2) | instskip(SKIP_1) | instid1(VALU_DEP_3)
	v_sub_nc_u32_e32 v48, 0x70, v17
	v_cmp_gt_u32_e64 s11, 0x71, v17
	v_or_b32_e32 v49, 0x800000, v39
	s_delay_alu instid0(VALU_DEP_2) | instskip(SKIP_2) | instid1(VALU_DEP_2)
	v_cndmask_b32_e64 v48, 0, v48, s11
	v_cmp_eq_u32_e64 s11, 0, v17
	v_add_nc_u32_e32 v17, 0xffffff91, v17
	v_cndmask_b32_e64 v48, v48, 0x6f, s11
	v_cndmask_b32_e64 v39, v49, v39, s11
	s_delay_alu instid0(VALU_DEP_3) | instskip(NEXT) | instid1(VALU_DEP_3)
	v_cndmask_b32_e64 v17, v17, 0xffffff92, s11
	v_lshl_add_u32 v49, 0x200000, v48, -1
	s_delay_alu instid0(VALU_DEP_3) | instskip(SKIP_1) | instid1(VALU_DEP_4)
	v_lshrrev_b32_e32 v50, v48, v39
	v_lshlrev_b32_e64 v97, v48, 0x100000
	v_add_nc_u32_e32 v48, v48, v17
	s_delay_alu instid0(VALU_DEP_4) | instskip(NEXT) | instid1(VALU_DEP_4)
	v_and_b32_e32 v39, v49, v39
	v_bfe_u32 v51, v50, 21, 1
	s_delay_alu instid0(VALU_DEP_2) | instskip(NEXT) | instid1(VALU_DEP_2)
	v_cmp_eq_u32_e64 s12, v39, v97
	v_add_nc_u32_e32 v49, -1, v51
	s_delay_alu instid0(VALU_DEP_1) | instskip(SKIP_2) | instid1(VALU_DEP_2)
	v_cndmask_b32_e64 v39, 0, v49, s12
	v_lshrrev_b32_e32 v49, 23, v50
	s_mov_b32 s12, exec_lo
	v_add_nc_u32_e32 v39, v39, v50
	s_delay_alu instid0(VALU_DEP_2) | instskip(NEXT) | instid1(VALU_DEP_2)
	v_xor_b32_e32 v49, 1, v49
	v_and_b32_e32 v17, 0x1fffff, v39
	s_delay_alu instid0(VALU_DEP_1) | instskip(NEXT) | instid1(VALU_DEP_3)
	v_add_nc_u32_e32 v39, v17, v50
                                        ; implicit-def: $vgpr17
	v_cmpx_ne_u32_e64 v48, v49
	s_xor_b32 s12, exec_lo, s12
; %bb.1937:                             ;   in Loop: Header=BB6_1686 Depth=2
	s_delay_alu instid0(VALU_DEP_2) | instskip(SKIP_1) | instid1(VALU_DEP_2)
	v_cmp_lt_u32_e64 s11, 0xffffff, v39
	v_sub_nc_u32_e32 v17, v48, v49
	v_cndmask_b32_e64 v48, 0, 1, s11
	s_delay_alu instid0(VALU_DEP_2) | instskip(NEXT) | instid1(VALU_DEP_2)
	v_add_co_ci_u32_e64 v17, s11, 0, v17, s11
	v_lshrrev_b32_e32 v39, v48, v39
; %bb.1938:                             ;   in Loop: Header=BB6_1686 Depth=2
	s_and_not1_saveexec_b32 s11, s12
	s_cbranch_execz .LBB6_1683
; %bb.1939:                             ;   in Loop: Header=BB6_1686 Depth=2
	s_delay_alu instid0(VALU_DEP_1)
	v_bfe_u32 v17, v39, 23, 1
	s_branch .LBB6_1683
.LBB6_1940:                             ;   in Loop: Header=BB6_1686 Depth=2
	s_mov_b32 s12, -1
	s_mov_b32 s28, exec_lo
                                        ; implicit-def: $sgpr26
	v_cmpx_eq_u16_e32 0x80, v29
; %bb.1941:                             ;   in Loop: Header=BB6_1686 Depth=2
	s_mov_b32 s26, 0x7f800001
	s_xor_b32 s12, exec_lo, -1
; %bb.1942:                             ;   in Loop: Header=BB6_1686 Depth=2
	s_or_b32 exec_lo, exec_lo, s28
	s_delay_alu instid0(SALU_CYCLE_1)
	s_and_b32 s12, s12, exec_lo
                                        ; implicit-def: $vgpr29
	s_or_saveexec_b32 s27, s27
	v_mov_b32_e32 v28, s26
	s_xor_b32 exec_lo, exec_lo, s27
	s_cbranch_execz .LBB6_1688
.LBB6_1943:                             ;   in Loop: Header=BB6_1686 Depth=2
	v_cmp_ne_u16_e64 s11, 0, v29
	v_mov_b32_e32 v28, 0
	s_and_not1_b32 s12, s12, exec_lo
	s_delay_alu instid0(VALU_DEP_2) | instskip(NEXT) | instid1(SALU_CYCLE_1)
	s_and_b32 s11, s11, exec_lo
	s_or_b32 s12, s12, s11
	s_or_b32 exec_lo, exec_lo, s27
	s_and_saveexec_b32 s26, s12
	s_cbranch_execnz .LBB6_1689
	s_branch .LBB6_1690
.LBB6_1944:                             ;   in Loop: Header=BB6_1686 Depth=2
	s_mov_b32 s12, -1
	s_mov_b32 s28, exec_lo
                                        ; implicit-def: $sgpr26
	v_cmpx_eq_u16_e32 0x80, v32
; %bb.1945:                             ;   in Loop: Header=BB6_1686 Depth=2
	s_mov_b32 s26, 0x7f800001
	s_xor_b32 s12, exec_lo, -1
; %bb.1946:                             ;   in Loop: Header=BB6_1686 Depth=2
	s_or_b32 exec_lo, exec_lo, s28
	s_delay_alu instid0(SALU_CYCLE_1)
	s_and_b32 s12, s12, exec_lo
                                        ; implicit-def: $vgpr32
	s_or_saveexec_b32 s27, s27
	v_mov_b32_e32 v29, s26
	s_xor_b32 exec_lo, exec_lo, s27
	s_cbranch_execz .LBB6_1692
.LBB6_1947:                             ;   in Loop: Header=BB6_1686 Depth=2
	v_cmp_ne_u16_e64 s11, 0, v32
	v_mov_b32_e32 v29, 0
	s_and_not1_b32 s12, s12, exec_lo
	s_delay_alu instid0(VALU_DEP_2) | instskip(NEXT) | instid1(SALU_CYCLE_1)
	s_and_b32 s11, s11, exec_lo
	s_or_b32 s12, s12, s11
	s_or_b32 exec_lo, exec_lo, s27
	s_and_saveexec_b32 s26, s12
	s_cbranch_execnz .LBB6_1693
	s_branch .LBB6_1694
.LBB6_1948:                             ;   in Loop: Header=BB6_1686 Depth=2
	s_mov_b32 s12, -1
	s_mov_b32 s28, exec_lo
                                        ; implicit-def: $sgpr26
	v_cmpx_eq_u16_e32 0x80, v32
; %bb.1949:                             ;   in Loop: Header=BB6_1686 Depth=2
	s_mov_b32 s26, 0x7f800001
	s_xor_b32 s12, exec_lo, -1
; %bb.1950:                             ;   in Loop: Header=BB6_1686 Depth=2
	s_or_b32 exec_lo, exec_lo, s28
	s_delay_alu instid0(SALU_CYCLE_1)
	s_and_b32 s12, s12, exec_lo
	s_or_saveexec_b32 s27, s27
	v_mov_b32_e32 v29, s26
	s_xor_b32 exec_lo, exec_lo, s27
	s_cbranch_execz .LBB6_1704
.LBB6_1951:                             ;   in Loop: Header=BB6_1686 Depth=2
	v_cmp_ne_u16_e64 s11, 0, v32
	v_mov_b32_e32 v29, 0
	s_and_not1_b32 s12, s12, exec_lo
	s_delay_alu instid0(VALU_DEP_2) | instskip(NEXT) | instid1(SALU_CYCLE_1)
	s_and_b32 s11, s11, exec_lo
	s_or_b32 s12, s12, s11
	s_or_b32 exec_lo, exec_lo, s27
	s_and_saveexec_b32 s26, s12
	s_cbranch_execnz .LBB6_1705
	s_branch .LBB6_1706
.LBB6_1952:                             ;   in Loop: Header=BB6_1686 Depth=2
	s_mov_b32 s12, -1
	s_mov_b32 s28, exec_lo
                                        ; implicit-def: $sgpr26
	v_cmpx_eq_u16_e32 0x80, v32
; %bb.1953:                             ;   in Loop: Header=BB6_1686 Depth=2
	s_mov_b32 s26, 0x7f800001
	s_xor_b32 s12, exec_lo, -1
; %bb.1954:                             ;   in Loop: Header=BB6_1686 Depth=2
	s_or_b32 exec_lo, exec_lo, s28
	s_delay_alu instid0(SALU_CYCLE_1)
	s_and_b32 s12, s12, exec_lo
	s_or_saveexec_b32 s27, s27
	v_mov_b32_e32 v33, s26
	s_xor_b32 exec_lo, exec_lo, s27
	s_cbranch_execz .LBB6_1708
.LBB6_1955:                             ;   in Loop: Header=BB6_1686 Depth=2
	v_cmp_ne_u16_e64 s11, 0, v32
	v_mov_b32_e32 v33, 0
	s_and_not1_b32 s12, s12, exec_lo
	s_delay_alu instid0(VALU_DEP_2) | instskip(NEXT) | instid1(SALU_CYCLE_1)
	s_and_b32 s11, s11, exec_lo
	s_or_b32 s12, s12, s11
	s_or_b32 exec_lo, exec_lo, s27
	s_and_saveexec_b32 s26, s12
	s_cbranch_execnz .LBB6_1709
	s_branch .LBB6_1710
.LBB6_1956:                             ;   in Loop: Header=BB6_1686 Depth=2
	s_mov_b32 s12, -1
	s_mov_b32 s28, exec_lo
                                        ; implicit-def: $sgpr26
	v_cmpx_eq_u16_e32 0x80, v34
; %bb.1957:                             ;   in Loop: Header=BB6_1686 Depth=2
	s_mov_b32 s26, 0x7f800001
	s_xor_b32 s12, exec_lo, -1
; %bb.1958:                             ;   in Loop: Header=BB6_1686 Depth=2
	s_or_b32 exec_lo, exec_lo, s28
	s_delay_alu instid0(SALU_CYCLE_1)
	s_and_b32 s12, s12, exec_lo
                                        ; implicit-def: $vgpr34
	s_or_saveexec_b32 s27, s27
	v_mov_b32_e32 v32, s26
	s_xor_b32 exec_lo, exec_lo, s27
	s_cbranch_execz .LBB6_1720
.LBB6_1959:                             ;   in Loop: Header=BB6_1686 Depth=2
	v_cmp_ne_u16_e64 s11, 0, v34
	v_mov_b32_e32 v32, 0
	s_and_not1_b32 s12, s12, exec_lo
	s_delay_alu instid0(VALU_DEP_2) | instskip(NEXT) | instid1(SALU_CYCLE_1)
	s_and_b32 s11, s11, exec_lo
	s_or_b32 s12, s12, s11
	s_or_b32 exec_lo, exec_lo, s27
	s_and_saveexec_b32 s26, s12
	s_cbranch_execnz .LBB6_1721
	s_branch .LBB6_1722
.LBB6_1960:                             ;   in Loop: Header=BB6_1686 Depth=2
	s_mov_b32 s12, -1
	s_mov_b32 s28, exec_lo
                                        ; implicit-def: $sgpr26
	v_cmpx_eq_u16_e32 0x80, v35
; %bb.1961:                             ;   in Loop: Header=BB6_1686 Depth=2
	s_mov_b32 s26, 0x7f800001
	s_xor_b32 s12, exec_lo, -1
; %bb.1962:                             ;   in Loop: Header=BB6_1686 Depth=2
	s_or_b32 exec_lo, exec_lo, s28
	s_delay_alu instid0(SALU_CYCLE_1)
	s_and_b32 s12, s12, exec_lo
                                        ; implicit-def: $vgpr35
	s_or_saveexec_b32 s27, s27
	v_mov_b32_e32 v34, s26
	s_xor_b32 exec_lo, exec_lo, s27
	s_cbranch_execz .LBB6_1724
.LBB6_1963:                             ;   in Loop: Header=BB6_1686 Depth=2
	v_cmp_ne_u16_e64 s11, 0, v35
	v_mov_b32_e32 v34, 0
	s_and_not1_b32 s12, s12, exec_lo
	s_delay_alu instid0(VALU_DEP_2) | instskip(NEXT) | instid1(SALU_CYCLE_1)
	s_and_b32 s11, s11, exec_lo
	s_or_b32 s12, s12, s11
	s_or_b32 exec_lo, exec_lo, s27
	s_and_saveexec_b32 s26, s12
	s_cbranch_execnz .LBB6_1725
	s_branch .LBB6_1726
.LBB6_1964:                             ;   in Loop: Header=BB6_1686 Depth=2
	s_mov_b32 s12, -1
	s_mov_b32 s28, exec_lo
                                        ; implicit-def: $sgpr26
	v_cmpx_eq_u16_e32 0x80, v34
; %bb.1965:                             ;   in Loop: Header=BB6_1686 Depth=2
	s_mov_b32 s26, 0x7f800001
	s_xor_b32 s12, exec_lo, -1
; %bb.1966:                             ;   in Loop: Header=BB6_1686 Depth=2
	s_or_b32 exec_lo, exec_lo, s28
	s_delay_alu instid0(SALU_CYCLE_1)
	s_and_b32 s12, s12, exec_lo
	s_or_saveexec_b32 s27, s27
	v_mov_b32_e32 v33, s26
	s_xor_b32 exec_lo, exec_lo, s27
	s_cbranch_execz .LBB6_1736
.LBB6_1967:                             ;   in Loop: Header=BB6_1686 Depth=2
	v_cmp_ne_u16_e64 s11, 0, v34
	v_mov_b32_e32 v33, 0
	s_and_not1_b32 s12, s12, exec_lo
	s_delay_alu instid0(VALU_DEP_2) | instskip(NEXT) | instid1(SALU_CYCLE_1)
	s_and_b32 s11, s11, exec_lo
	s_or_b32 s12, s12, s11
	s_or_b32 exec_lo, exec_lo, s27
	s_and_saveexec_b32 s26, s12
	s_cbranch_execnz .LBB6_1737
	s_branch .LBB6_1738
.LBB6_1968:                             ;   in Loop: Header=BB6_1686 Depth=2
	s_mov_b32 s12, -1
	s_mov_b32 s28, exec_lo
                                        ; implicit-def: $sgpr26
	v_cmpx_eq_u16_e32 0x80, v14
; %bb.1969:                             ;   in Loop: Header=BB6_1686 Depth=2
	s_mov_b32 s26, 0x7f800001
	s_xor_b32 s12, exec_lo, -1
; %bb.1970:                             ;   in Loop: Header=BB6_1686 Depth=2
	s_or_b32 exec_lo, exec_lo, s28
	s_delay_alu instid0(SALU_CYCLE_1)
	s_and_b32 s12, s12, exec_lo
	s_or_saveexec_b32 s27, s27
	v_mov_b32_e32 v34, s26
	s_xor_b32 exec_lo, exec_lo, s27
	s_cbranch_execz .LBB6_1740
.LBB6_1971:                             ;   in Loop: Header=BB6_1686 Depth=2
	v_cmp_ne_u16_e64 s11, 0, v14
	v_mov_b32_e32 v34, 0
	s_and_not1_b32 s12, s12, exec_lo
	s_delay_alu instid0(VALU_DEP_2) | instskip(NEXT) | instid1(SALU_CYCLE_1)
	s_and_b32 s11, s11, exec_lo
	s_or_b32 s12, s12, s11
	s_or_b32 exec_lo, exec_lo, s27
	s_and_saveexec_b32 s26, s12
	s_cbranch_execnz .LBB6_1741
	s_branch .LBB6_1742
.LBB6_1972:                             ;   in Loop: Header=BB6_1686 Depth=2
	s_mov_b32 s12, -1
	s_mov_b32 s28, exec_lo
                                        ; implicit-def: $sgpr26
	v_cmpx_eq_u16_e32 0x80, v33
; %bb.1973:                             ;   in Loop: Header=BB6_1686 Depth=2
	s_mov_b32 s26, 0x7f800001
	s_xor_b32 s12, exec_lo, -1
; %bb.1974:                             ;   in Loop: Header=BB6_1686 Depth=2
	s_or_b32 exec_lo, exec_lo, s28
	s_delay_alu instid0(SALU_CYCLE_1)
	s_and_b32 s12, s12, exec_lo
                                        ; implicit-def: $vgpr33
	s_or_saveexec_b32 s27, s27
	v_mov_b32_e32 v14, s26
	s_xor_b32 exec_lo, exec_lo, s27
	s_cbranch_execz .LBB6_1752
.LBB6_1975:                             ;   in Loop: Header=BB6_1686 Depth=2
	v_cmp_ne_u16_e64 s11, 0, v33
	v_mov_b32_e32 v14, 0
	s_and_not1_b32 s12, s12, exec_lo
	s_delay_alu instid0(VALU_DEP_2) | instskip(NEXT) | instid1(SALU_CYCLE_1)
	s_and_b32 s11, s11, exec_lo
	s_or_b32 s12, s12, s11
	s_or_b32 exec_lo, exec_lo, s27
	s_and_saveexec_b32 s26, s12
	s_cbranch_execnz .LBB6_1753
	s_branch .LBB6_1754
.LBB6_1976:                             ;   in Loop: Header=BB6_1686 Depth=2
	s_mov_b32 s12, -1
	s_mov_b32 s28, exec_lo
                                        ; implicit-def: $sgpr26
	v_cmpx_eq_u16_e32 0x80, v34
; %bb.1977:                             ;   in Loop: Header=BB6_1686 Depth=2
	s_mov_b32 s26, 0x7f800001
	s_xor_b32 s12, exec_lo, -1
; %bb.1978:                             ;   in Loop: Header=BB6_1686 Depth=2
	s_or_b32 exec_lo, exec_lo, s28
	s_delay_alu instid0(SALU_CYCLE_1)
	s_and_b32 s12, s12, exec_lo
                                        ; implicit-def: $vgpr34
	s_or_saveexec_b32 s27, s27
	v_mov_b32_e32 v33, s26
	s_xor_b32 exec_lo, exec_lo, s27
	s_cbranch_execz .LBB6_1756
.LBB6_1979:                             ;   in Loop: Header=BB6_1686 Depth=2
	v_cmp_ne_u16_e64 s11, 0, v34
	v_mov_b32_e32 v33, 0
	s_and_not1_b32 s12, s12, exec_lo
	s_delay_alu instid0(VALU_DEP_2) | instskip(NEXT) | instid1(SALU_CYCLE_1)
	s_and_b32 s11, s11, exec_lo
	s_or_b32 s12, s12, s11
	s_or_b32 exec_lo, exec_lo, s27
	s_and_saveexec_b32 s26, s12
	s_cbranch_execnz .LBB6_1757
	s_branch .LBB6_1758
.LBB6_1980:                             ;   in Loop: Header=BB6_1686 Depth=2
	s_mov_b32 s12, -1
	s_mov_b32 s28, exec_lo
                                        ; implicit-def: $sgpr26
	v_cmpx_eq_u16_e32 0x80, v34
; %bb.1981:                             ;   in Loop: Header=BB6_1686 Depth=2
	s_mov_b32 s26, 0x7f800001
	s_xor_b32 s12, exec_lo, -1
; %bb.1982:                             ;   in Loop: Header=BB6_1686 Depth=2
	s_or_b32 exec_lo, exec_lo, s28
	s_delay_alu instid0(SALU_CYCLE_1)
	s_and_b32 s12, s12, exec_lo
	s_or_saveexec_b32 s27, s27
	v_mov_b32_e32 v33, s26
	s_xor_b32 exec_lo, exec_lo, s27
	s_cbranch_execz .LBB6_1768
.LBB6_1983:                             ;   in Loop: Header=BB6_1686 Depth=2
	v_cmp_ne_u16_e64 s11, 0, v34
	v_mov_b32_e32 v33, 0
	s_and_not1_b32 s12, s12, exec_lo
	s_delay_alu instid0(VALU_DEP_2) | instskip(NEXT) | instid1(SALU_CYCLE_1)
	s_and_b32 s11, s11, exec_lo
	s_or_b32 s12, s12, s11
	s_or_b32 exec_lo, exec_lo, s27
	s_and_saveexec_b32 s26, s12
	s_cbranch_execnz .LBB6_1769
	s_branch .LBB6_1770
.LBB6_1984:                             ;   in Loop: Header=BB6_1686 Depth=2
	s_mov_b32 s12, -1
	s_mov_b32 s28, exec_lo
                                        ; implicit-def: $sgpr26
	v_cmpx_eq_u16_e32 0x80, v34
; %bb.1985:                             ;   in Loop: Header=BB6_1686 Depth=2
	s_mov_b32 s26, 0x7f800001
	s_xor_b32 s12, exec_lo, -1
; %bb.1986:                             ;   in Loop: Header=BB6_1686 Depth=2
	s_or_b32 exec_lo, exec_lo, s28
	s_delay_alu instid0(SALU_CYCLE_1)
	s_and_b32 s12, s12, exec_lo
	s_or_saveexec_b32 s27, s27
	v_mov_b32_e32 v35, s26
	s_xor_b32 exec_lo, exec_lo, s27
	s_cbranch_execz .LBB6_1772
.LBB6_1987:                             ;   in Loop: Header=BB6_1686 Depth=2
	v_cmp_ne_u16_e64 s11, 0, v34
	v_mov_b32_e32 v35, 0
	s_and_not1_b32 s12, s12, exec_lo
	s_delay_alu instid0(VALU_DEP_2) | instskip(NEXT) | instid1(SALU_CYCLE_1)
	s_and_b32 s11, s11, exec_lo
	s_or_b32 s12, s12, s11
	s_or_b32 exec_lo, exec_lo, s27
	s_and_saveexec_b32 s26, s12
	s_cbranch_execnz .LBB6_1773
	s_branch .LBB6_1774
.LBB6_1988:                             ;   in Loop: Header=BB6_1686 Depth=2
	s_mov_b32 s12, -1
	s_mov_b32 s28, exec_lo
                                        ; implicit-def: $sgpr26
	v_cmpx_eq_u16_e32 0x80, v36
; %bb.1989:                             ;   in Loop: Header=BB6_1686 Depth=2
	s_mov_b32 s26, 0x7f800001
	s_xor_b32 s12, exec_lo, -1
; %bb.1990:                             ;   in Loop: Header=BB6_1686 Depth=2
	s_or_b32 exec_lo, exec_lo, s28
	s_delay_alu instid0(SALU_CYCLE_1)
	s_and_b32 s12, s12, exec_lo
                                        ; implicit-def: $vgpr36
	s_or_saveexec_b32 s27, s27
	v_mov_b32_e32 v34, s26
	s_xor_b32 exec_lo, exec_lo, s27
	s_cbranch_execz .LBB6_1784
.LBB6_1991:                             ;   in Loop: Header=BB6_1686 Depth=2
	v_cmp_ne_u16_e64 s11, 0, v36
	v_mov_b32_e32 v34, 0
	s_and_not1_b32 s12, s12, exec_lo
	s_delay_alu instid0(VALU_DEP_2) | instskip(NEXT) | instid1(SALU_CYCLE_1)
	s_and_b32 s11, s11, exec_lo
	s_or_b32 s12, s12, s11
	s_or_b32 exec_lo, exec_lo, s27
	s_and_saveexec_b32 s26, s12
	s_cbranch_execnz .LBB6_1785
	s_branch .LBB6_1786
.LBB6_1992:                             ;   in Loop: Header=BB6_1686 Depth=2
	s_mov_b32 s12, -1
	s_mov_b32 s28, exec_lo
                                        ; implicit-def: $sgpr26
	v_cmpx_eq_u16_e32 0x80, v37
; %bb.1993:                             ;   in Loop: Header=BB6_1686 Depth=2
	s_mov_b32 s26, 0x7f800001
	s_xor_b32 s12, exec_lo, -1
; %bb.1994:                             ;   in Loop: Header=BB6_1686 Depth=2
	s_or_b32 exec_lo, exec_lo, s28
	s_delay_alu instid0(SALU_CYCLE_1)
	s_and_b32 s12, s12, exec_lo
                                        ; implicit-def: $vgpr37
	s_or_saveexec_b32 s27, s27
	v_mov_b32_e32 v36, s26
	s_xor_b32 exec_lo, exec_lo, s27
	s_cbranch_execz .LBB6_1788
.LBB6_1995:                             ;   in Loop: Header=BB6_1686 Depth=2
	v_cmp_ne_u16_e64 s11, 0, v37
	v_mov_b32_e32 v36, 0
	s_and_not1_b32 s12, s12, exec_lo
	s_delay_alu instid0(VALU_DEP_2) | instskip(NEXT) | instid1(SALU_CYCLE_1)
	s_and_b32 s11, s11, exec_lo
	s_or_b32 s12, s12, s11
	s_or_b32 exec_lo, exec_lo, s27
	s_and_saveexec_b32 s26, s12
	s_cbranch_execnz .LBB6_1789
	s_branch .LBB6_1790
.LBB6_1996:                             ;   in Loop: Header=BB6_1686 Depth=2
	s_mov_b32 s12, -1
	s_mov_b32 s28, exec_lo
                                        ; implicit-def: $sgpr26
	v_cmpx_eq_u16_e32 0x80, v36
; %bb.1997:                             ;   in Loop: Header=BB6_1686 Depth=2
	s_mov_b32 s26, 0x7f800001
	s_xor_b32 s12, exec_lo, -1
; %bb.1998:                             ;   in Loop: Header=BB6_1686 Depth=2
	s_or_b32 exec_lo, exec_lo, s28
	s_delay_alu instid0(SALU_CYCLE_1)
	s_and_b32 s12, s12, exec_lo
	s_or_saveexec_b32 s27, s27
	v_mov_b32_e32 v35, s26
	s_xor_b32 exec_lo, exec_lo, s27
	s_cbranch_execz .LBB6_1800
.LBB6_1999:                             ;   in Loop: Header=BB6_1686 Depth=2
	v_cmp_ne_u16_e64 s11, 0, v36
	v_mov_b32_e32 v35, 0
	s_and_not1_b32 s12, s12, exec_lo
	s_delay_alu instid0(VALU_DEP_2) | instskip(NEXT) | instid1(SALU_CYCLE_1)
	s_and_b32 s11, s11, exec_lo
	s_or_b32 s12, s12, s11
	s_or_b32 exec_lo, exec_lo, s27
	s_and_saveexec_b32 s26, s12
	s_cbranch_execnz .LBB6_1801
	s_branch .LBB6_1802
.LBB6_2000:                             ;   in Loop: Header=BB6_1686 Depth=2
	s_mov_b32 s12, -1
	s_mov_b32 s28, exec_lo
                                        ; implicit-def: $sgpr26
	v_cmpx_eq_u16_e32 0x80, v15
; %bb.2001:                             ;   in Loop: Header=BB6_1686 Depth=2
	s_mov_b32 s26, 0x7f800001
	s_xor_b32 s12, exec_lo, -1
; %bb.2002:                             ;   in Loop: Header=BB6_1686 Depth=2
	s_or_b32 exec_lo, exec_lo, s28
	s_delay_alu instid0(SALU_CYCLE_1)
	s_and_b32 s12, s12, exec_lo
	s_or_saveexec_b32 s27, s27
	v_mov_b32_e32 v36, s26
	s_xor_b32 exec_lo, exec_lo, s27
	s_cbranch_execz .LBB6_1804
.LBB6_2003:                             ;   in Loop: Header=BB6_1686 Depth=2
	v_cmp_ne_u16_e64 s11, 0, v15
	v_mov_b32_e32 v36, 0
	s_and_not1_b32 s12, s12, exec_lo
	s_delay_alu instid0(VALU_DEP_2) | instskip(NEXT) | instid1(SALU_CYCLE_1)
	s_and_b32 s11, s11, exec_lo
	s_or_b32 s12, s12, s11
	s_or_b32 exec_lo, exec_lo, s27
	s_and_saveexec_b32 s26, s12
	s_cbranch_execnz .LBB6_1805
	s_branch .LBB6_1806
.LBB6_2004:                             ;   in Loop: Header=BB6_1686 Depth=2
	s_mov_b32 s12, -1
	s_mov_b32 s28, exec_lo
                                        ; implicit-def: $sgpr26
	v_cmpx_eq_u16_e32 0x80, v35
; %bb.2005:                             ;   in Loop: Header=BB6_1686 Depth=2
	s_mov_b32 s26, 0x7f800001
	s_xor_b32 s12, exec_lo, -1
; %bb.2006:                             ;   in Loop: Header=BB6_1686 Depth=2
	s_or_b32 exec_lo, exec_lo, s28
	s_delay_alu instid0(SALU_CYCLE_1)
	s_and_b32 s12, s12, exec_lo
                                        ; implicit-def: $vgpr35
	s_or_saveexec_b32 s27, s27
	v_mov_b32_e32 v15, s26
	s_xor_b32 exec_lo, exec_lo, s27
	s_cbranch_execz .LBB6_1816
.LBB6_2007:                             ;   in Loop: Header=BB6_1686 Depth=2
	v_cmp_ne_u16_e64 s11, 0, v35
	v_mov_b32_e32 v15, 0
	s_and_not1_b32 s12, s12, exec_lo
	s_delay_alu instid0(VALU_DEP_2) | instskip(NEXT) | instid1(SALU_CYCLE_1)
	s_and_b32 s11, s11, exec_lo
	s_or_b32 s12, s12, s11
	s_or_b32 exec_lo, exec_lo, s27
	s_and_saveexec_b32 s26, s12
	s_cbranch_execnz .LBB6_1817
	s_branch .LBB6_1818
.LBB6_2008:                             ;   in Loop: Header=BB6_1686 Depth=2
	s_mov_b32 s12, -1
	s_mov_b32 s28, exec_lo
                                        ; implicit-def: $sgpr26
	v_cmpx_eq_u16_e32 0x80, v36
; %bb.2009:                             ;   in Loop: Header=BB6_1686 Depth=2
	s_mov_b32 s26, 0x7f800001
	s_xor_b32 s12, exec_lo, -1
; %bb.2010:                             ;   in Loop: Header=BB6_1686 Depth=2
	s_or_b32 exec_lo, exec_lo, s28
	s_delay_alu instid0(SALU_CYCLE_1)
	s_and_b32 s12, s12, exec_lo
                                        ; implicit-def: $vgpr36
	s_or_saveexec_b32 s27, s27
	v_mov_b32_e32 v35, s26
	s_xor_b32 exec_lo, exec_lo, s27
	s_cbranch_execz .LBB6_1820
.LBB6_2011:                             ;   in Loop: Header=BB6_1686 Depth=2
	v_cmp_ne_u16_e64 s11, 0, v36
	v_mov_b32_e32 v35, 0
	s_and_not1_b32 s12, s12, exec_lo
	s_delay_alu instid0(VALU_DEP_2) | instskip(NEXT) | instid1(SALU_CYCLE_1)
	s_and_b32 s11, s11, exec_lo
	s_or_b32 s12, s12, s11
	s_or_b32 exec_lo, exec_lo, s27
	s_and_saveexec_b32 s26, s12
	s_cbranch_execnz .LBB6_1821
	s_branch .LBB6_1822
.LBB6_2012:                             ;   in Loop: Header=BB6_1686 Depth=2
	s_mov_b32 s12, -1
	s_mov_b32 s28, exec_lo
                                        ; implicit-def: $sgpr26
	v_cmpx_eq_u16_e32 0x80, v36
; %bb.2013:                             ;   in Loop: Header=BB6_1686 Depth=2
	s_mov_b32 s26, 0x7f800001
	s_xor_b32 s12, exec_lo, -1
; %bb.2014:                             ;   in Loop: Header=BB6_1686 Depth=2
	s_or_b32 exec_lo, exec_lo, s28
	s_delay_alu instid0(SALU_CYCLE_1)
	s_and_b32 s12, s12, exec_lo
	s_or_saveexec_b32 s27, s27
	v_mov_b32_e32 v35, s26
	s_xor_b32 exec_lo, exec_lo, s27
	s_cbranch_execz .LBB6_1832
.LBB6_2015:                             ;   in Loop: Header=BB6_1686 Depth=2
	v_cmp_ne_u16_e64 s11, 0, v36
	v_mov_b32_e32 v35, 0
	s_and_not1_b32 s12, s12, exec_lo
	s_delay_alu instid0(VALU_DEP_2) | instskip(NEXT) | instid1(SALU_CYCLE_1)
	s_and_b32 s11, s11, exec_lo
	s_or_b32 s12, s12, s11
	s_or_b32 exec_lo, exec_lo, s27
	s_and_saveexec_b32 s26, s12
	s_cbranch_execnz .LBB6_1833
	s_branch .LBB6_1834
.LBB6_2016:                             ;   in Loop: Header=BB6_1686 Depth=2
	s_mov_b32 s12, -1
	s_mov_b32 s28, exec_lo
                                        ; implicit-def: $sgpr26
	v_cmpx_eq_u16_e32 0x80, v36
; %bb.2017:                             ;   in Loop: Header=BB6_1686 Depth=2
	s_mov_b32 s26, 0x7f800001
	s_xor_b32 s12, exec_lo, -1
; %bb.2018:                             ;   in Loop: Header=BB6_1686 Depth=2
	s_or_b32 exec_lo, exec_lo, s28
	s_delay_alu instid0(SALU_CYCLE_1)
	s_and_b32 s12, s12, exec_lo
	s_or_saveexec_b32 s27, s27
	v_mov_b32_e32 v37, s26
	s_xor_b32 exec_lo, exec_lo, s27
	s_cbranch_execz .LBB6_1836
.LBB6_2019:                             ;   in Loop: Header=BB6_1686 Depth=2
	v_cmp_ne_u16_e64 s11, 0, v36
	v_mov_b32_e32 v37, 0
	s_and_not1_b32 s12, s12, exec_lo
	s_delay_alu instid0(VALU_DEP_2) | instskip(NEXT) | instid1(SALU_CYCLE_1)
	s_and_b32 s11, s11, exec_lo
	s_or_b32 s12, s12, s11
	s_or_b32 exec_lo, exec_lo, s27
	s_and_saveexec_b32 s26, s12
	s_cbranch_execnz .LBB6_1837
	s_branch .LBB6_1838
.LBB6_2020:                             ;   in Loop: Header=BB6_1686 Depth=2
	s_mov_b32 s12, -1
	s_mov_b32 s28, exec_lo
                                        ; implicit-def: $sgpr26
	v_cmpx_eq_u16_e32 0x80, v38
; %bb.2021:                             ;   in Loop: Header=BB6_1686 Depth=2
	s_mov_b32 s26, 0x7f800001
	s_xor_b32 s12, exec_lo, -1
; %bb.2022:                             ;   in Loop: Header=BB6_1686 Depth=2
	s_or_b32 exec_lo, exec_lo, s28
	s_delay_alu instid0(SALU_CYCLE_1)
	s_and_b32 s12, s12, exec_lo
                                        ; implicit-def: $vgpr38
	s_or_saveexec_b32 s27, s27
	v_mov_b32_e32 v36, s26
	s_xor_b32 exec_lo, exec_lo, s27
	s_cbranch_execz .LBB6_1848
.LBB6_2023:                             ;   in Loop: Header=BB6_1686 Depth=2
	v_cmp_ne_u16_e64 s11, 0, v38
	v_mov_b32_e32 v36, 0
	s_and_not1_b32 s12, s12, exec_lo
	s_delay_alu instid0(VALU_DEP_2) | instskip(NEXT) | instid1(SALU_CYCLE_1)
	s_and_b32 s11, s11, exec_lo
	s_or_b32 s12, s12, s11
	s_or_b32 exec_lo, exec_lo, s27
	s_and_saveexec_b32 s26, s12
	s_cbranch_execnz .LBB6_1849
	s_branch .LBB6_1850
.LBB6_2024:                             ;   in Loop: Header=BB6_1686 Depth=2
	s_mov_b32 s12, -1
	s_mov_b32 s28, exec_lo
                                        ; implicit-def: $sgpr26
	v_cmpx_eq_u16_e32 0x80, v39
; %bb.2025:                             ;   in Loop: Header=BB6_1686 Depth=2
	s_mov_b32 s26, 0x7f800001
	s_xor_b32 s12, exec_lo, -1
; %bb.2026:                             ;   in Loop: Header=BB6_1686 Depth=2
	s_or_b32 exec_lo, exec_lo, s28
	s_delay_alu instid0(SALU_CYCLE_1)
	s_and_b32 s12, s12, exec_lo
                                        ; implicit-def: $vgpr39
	s_or_saveexec_b32 s27, s27
	v_mov_b32_e32 v38, s26
	s_xor_b32 exec_lo, exec_lo, s27
	s_cbranch_execz .LBB6_1852
.LBB6_2027:                             ;   in Loop: Header=BB6_1686 Depth=2
	v_cmp_ne_u16_e64 s11, 0, v39
	v_mov_b32_e32 v38, 0
	s_and_not1_b32 s12, s12, exec_lo
	s_delay_alu instid0(VALU_DEP_2) | instskip(NEXT) | instid1(SALU_CYCLE_1)
	s_and_b32 s11, s11, exec_lo
	s_or_b32 s12, s12, s11
	s_or_b32 exec_lo, exec_lo, s27
	s_and_saveexec_b32 s26, s12
	s_cbranch_execnz .LBB6_1853
	s_branch .LBB6_1854
.LBB6_2028:                             ;   in Loop: Header=BB6_1686 Depth=2
	s_mov_b32 s12, -1
	s_mov_b32 s28, exec_lo
                                        ; implicit-def: $sgpr26
	v_cmpx_eq_u16_e32 0x80, v38
; %bb.2029:                             ;   in Loop: Header=BB6_1686 Depth=2
	s_mov_b32 s26, 0x7f800001
	s_xor_b32 s12, exec_lo, -1
; %bb.2030:                             ;   in Loop: Header=BB6_1686 Depth=2
	s_or_b32 exec_lo, exec_lo, s28
	s_delay_alu instid0(SALU_CYCLE_1)
	s_and_b32 s12, s12, exec_lo
	s_or_saveexec_b32 s27, s27
	v_mov_b32_e32 v37, s26
	s_xor_b32 exec_lo, exec_lo, s27
	s_cbranch_execz .LBB6_1864
.LBB6_2031:                             ;   in Loop: Header=BB6_1686 Depth=2
	v_cmp_ne_u16_e64 s11, 0, v38
	v_mov_b32_e32 v37, 0
	s_and_not1_b32 s12, s12, exec_lo
	s_delay_alu instid0(VALU_DEP_2) | instskip(NEXT) | instid1(SALU_CYCLE_1)
	s_and_b32 s11, s11, exec_lo
	s_or_b32 s12, s12, s11
	s_or_b32 exec_lo, exec_lo, s27
	s_and_saveexec_b32 s26, s12
	s_cbranch_execnz .LBB6_1865
	s_branch .LBB6_1866
.LBB6_2032:                             ;   in Loop: Header=BB6_1686 Depth=2
	s_mov_b32 s12, -1
	s_mov_b32 s28, exec_lo
                                        ; implicit-def: $sgpr26
	v_cmpx_eq_u16_e32 0x80, v16
; %bb.2033:                             ;   in Loop: Header=BB6_1686 Depth=2
	s_mov_b32 s26, 0x7f800001
	s_xor_b32 s12, exec_lo, -1
; %bb.2034:                             ;   in Loop: Header=BB6_1686 Depth=2
	s_or_b32 exec_lo, exec_lo, s28
	s_delay_alu instid0(SALU_CYCLE_1)
	s_and_b32 s12, s12, exec_lo
	s_or_saveexec_b32 s27, s27
	v_mov_b32_e32 v38, s26
	s_xor_b32 exec_lo, exec_lo, s27
	s_cbranch_execz .LBB6_1868
.LBB6_2035:                             ;   in Loop: Header=BB6_1686 Depth=2
	v_cmp_ne_u16_e64 s11, 0, v16
	v_mov_b32_e32 v38, 0
	s_and_not1_b32 s12, s12, exec_lo
	s_delay_alu instid0(VALU_DEP_2) | instskip(NEXT) | instid1(SALU_CYCLE_1)
	s_and_b32 s11, s11, exec_lo
	s_or_b32 s12, s12, s11
	s_or_b32 exec_lo, exec_lo, s27
	s_and_saveexec_b32 s26, s12
	s_cbranch_execnz .LBB6_1869
	s_branch .LBB6_1870
.LBB6_2036:                             ;   in Loop: Header=BB6_1686 Depth=2
	s_mov_b32 s12, -1
	s_mov_b32 s28, exec_lo
                                        ; implicit-def: $sgpr26
	v_cmpx_eq_u16_e32 0x80, v37
; %bb.2037:                             ;   in Loop: Header=BB6_1686 Depth=2
	s_mov_b32 s26, 0x7f800001
	s_xor_b32 s12, exec_lo, -1
; %bb.2038:                             ;   in Loop: Header=BB6_1686 Depth=2
	s_or_b32 exec_lo, exec_lo, s28
	s_delay_alu instid0(SALU_CYCLE_1)
	s_and_b32 s12, s12, exec_lo
                                        ; implicit-def: $vgpr37
	s_or_saveexec_b32 s27, s27
	v_mov_b32_e32 v16, s26
	s_xor_b32 exec_lo, exec_lo, s27
	s_cbranch_execz .LBB6_1880
.LBB6_2039:                             ;   in Loop: Header=BB6_1686 Depth=2
	v_cmp_ne_u16_e64 s11, 0, v37
	v_mov_b32_e32 v16, 0
	s_and_not1_b32 s12, s12, exec_lo
	s_delay_alu instid0(VALU_DEP_2) | instskip(NEXT) | instid1(SALU_CYCLE_1)
	s_and_b32 s11, s11, exec_lo
	s_or_b32 s12, s12, s11
	s_or_b32 exec_lo, exec_lo, s27
	s_and_saveexec_b32 s26, s12
	s_cbranch_execnz .LBB6_1881
	s_branch .LBB6_1882
.LBB6_2040:                             ;   in Loop: Header=BB6_1686 Depth=2
	s_mov_b32 s12, -1
	s_mov_b32 s28, exec_lo
                                        ; implicit-def: $sgpr26
	v_cmpx_eq_u16_e32 0x80, v38
; %bb.2041:                             ;   in Loop: Header=BB6_1686 Depth=2
	s_mov_b32 s26, 0x7f800001
	s_xor_b32 s12, exec_lo, -1
; %bb.2042:                             ;   in Loop: Header=BB6_1686 Depth=2
	s_or_b32 exec_lo, exec_lo, s28
	s_delay_alu instid0(SALU_CYCLE_1)
	s_and_b32 s12, s12, exec_lo
                                        ; implicit-def: $vgpr38
	s_or_saveexec_b32 s27, s27
	v_mov_b32_e32 v37, s26
	s_xor_b32 exec_lo, exec_lo, s27
	s_cbranch_execz .LBB6_1884
.LBB6_2043:                             ;   in Loop: Header=BB6_1686 Depth=2
	v_cmp_ne_u16_e64 s11, 0, v38
	v_mov_b32_e32 v37, 0
	s_and_not1_b32 s12, s12, exec_lo
	s_delay_alu instid0(VALU_DEP_2) | instskip(NEXT) | instid1(SALU_CYCLE_1)
	s_and_b32 s11, s11, exec_lo
	s_or_b32 s12, s12, s11
	s_or_b32 exec_lo, exec_lo, s27
	s_and_saveexec_b32 s26, s12
	s_cbranch_execnz .LBB6_1885
	s_branch .LBB6_1886
.LBB6_2044:                             ;   in Loop: Header=BB6_1686 Depth=2
	s_mov_b32 s12, -1
	s_mov_b32 s28, exec_lo
                                        ; implicit-def: $sgpr26
	v_cmpx_eq_u16_e32 0x80, v38
; %bb.2045:                             ;   in Loop: Header=BB6_1686 Depth=2
	s_mov_b32 s26, 0x7f800001
	s_xor_b32 s12, exec_lo, -1
; %bb.2046:                             ;   in Loop: Header=BB6_1686 Depth=2
	s_or_b32 exec_lo, exec_lo, s28
	s_delay_alu instid0(SALU_CYCLE_1)
	s_and_b32 s12, s12, exec_lo
	s_or_saveexec_b32 s27, s27
	v_mov_b32_e32 v37, s26
	s_xor_b32 exec_lo, exec_lo, s27
	s_cbranch_execz .LBB6_1896
.LBB6_2047:                             ;   in Loop: Header=BB6_1686 Depth=2
	v_cmp_ne_u16_e64 s11, 0, v38
	v_mov_b32_e32 v37, 0
	s_and_not1_b32 s12, s12, exec_lo
	s_delay_alu instid0(VALU_DEP_2) | instskip(NEXT) | instid1(SALU_CYCLE_1)
	s_and_b32 s11, s11, exec_lo
	s_or_b32 s12, s12, s11
	s_or_b32 exec_lo, exec_lo, s27
	s_and_saveexec_b32 s26, s12
	s_cbranch_execnz .LBB6_1897
	s_branch .LBB6_1898
.LBB6_2048:                             ;   in Loop: Header=BB6_1686 Depth=2
	s_mov_b32 s12, -1
	s_mov_b32 s28, exec_lo
                                        ; implicit-def: $sgpr26
	v_cmpx_eq_u16_e32 0x80, v38
; %bb.2049:                             ;   in Loop: Header=BB6_1686 Depth=2
	s_mov_b32 s26, 0x7f800001
	s_xor_b32 s12, exec_lo, -1
; %bb.2050:                             ;   in Loop: Header=BB6_1686 Depth=2
	s_or_b32 exec_lo, exec_lo, s28
	s_delay_alu instid0(SALU_CYCLE_1)
	s_and_b32 s12, s12, exec_lo
	s_or_saveexec_b32 s27, s27
	v_mov_b32_e32 v39, s26
	s_xor_b32 exec_lo, exec_lo, s27
	s_cbranch_execz .LBB6_1900
.LBB6_2051:                             ;   in Loop: Header=BB6_1686 Depth=2
	v_cmp_ne_u16_e64 s11, 0, v38
	v_mov_b32_e32 v39, 0
	s_and_not1_b32 s12, s12, exec_lo
	s_delay_alu instid0(VALU_DEP_2) | instskip(NEXT) | instid1(SALU_CYCLE_1)
	s_and_b32 s11, s11, exec_lo
	s_or_b32 s12, s12, s11
	s_or_b32 exec_lo, exec_lo, s27
	s_and_saveexec_b32 s26, s12
	s_cbranch_execnz .LBB6_1901
	s_branch .LBB6_1902
.LBB6_2052:                             ;   in Loop: Header=BB6_1686 Depth=2
	s_mov_b32 s12, -1
	s_mov_b32 s28, exec_lo
                                        ; implicit-def: $sgpr26
	v_cmpx_eq_u16_e32 0x80, v48
; %bb.2053:                             ;   in Loop: Header=BB6_1686 Depth=2
	s_mov_b32 s26, 0x7f800001
	s_xor_b32 s12, exec_lo, -1
; %bb.2054:                             ;   in Loop: Header=BB6_1686 Depth=2
	s_or_b32 exec_lo, exec_lo, s28
	s_delay_alu instid0(SALU_CYCLE_1)
	s_and_b32 s12, s12, exec_lo
                                        ; implicit-def: $vgpr48
	s_or_saveexec_b32 s27, s27
	v_mov_b32_e32 v38, s26
	s_xor_b32 exec_lo, exec_lo, s27
	s_cbranch_execz .LBB6_1912
.LBB6_2055:                             ;   in Loop: Header=BB6_1686 Depth=2
	v_cmp_ne_u16_e64 s11, 0, v48
	v_mov_b32_e32 v38, 0
	s_and_not1_b32 s12, s12, exec_lo
	s_delay_alu instid0(VALU_DEP_2) | instskip(NEXT) | instid1(SALU_CYCLE_1)
	s_and_b32 s11, s11, exec_lo
	s_or_b32 s12, s12, s11
	s_or_b32 exec_lo, exec_lo, s27
	s_and_saveexec_b32 s26, s12
	s_cbranch_execnz .LBB6_1913
	s_branch .LBB6_1914
.LBB6_2056:                             ;   in Loop: Header=BB6_1686 Depth=2
	s_mov_b32 s12, -1
	s_mov_b32 s28, exec_lo
                                        ; implicit-def: $sgpr26
	v_cmpx_eq_u16_e32 0x80, v49
; %bb.2057:                             ;   in Loop: Header=BB6_1686 Depth=2
	s_mov_b32 s26, 0x7f800001
	s_xor_b32 s12, exec_lo, -1
; %bb.2058:                             ;   in Loop: Header=BB6_1686 Depth=2
	s_or_b32 exec_lo, exec_lo, s28
	s_delay_alu instid0(SALU_CYCLE_1)
	s_and_b32 s12, s12, exec_lo
                                        ; implicit-def: $vgpr49
	s_or_saveexec_b32 s27, s27
	v_mov_b32_e32 v48, s26
	s_xor_b32 exec_lo, exec_lo, s27
	s_cbranch_execz .LBB6_1916
.LBB6_2059:                             ;   in Loop: Header=BB6_1686 Depth=2
	v_cmp_ne_u16_e64 s11, 0, v49
	v_mov_b32_e32 v48, 0
	s_and_not1_b32 s12, s12, exec_lo
	s_delay_alu instid0(VALU_DEP_2) | instskip(NEXT) | instid1(SALU_CYCLE_1)
	s_and_b32 s11, s11, exec_lo
	s_or_b32 s12, s12, s11
	s_or_b32 exec_lo, exec_lo, s27
	s_and_saveexec_b32 s26, s12
	s_cbranch_execnz .LBB6_1917
	s_branch .LBB6_1918
.LBB6_2060:                             ;   in Loop: Header=BB6_1686 Depth=2
	s_mov_b32 s12, -1
	s_mov_b32 s28, exec_lo
                                        ; implicit-def: $sgpr26
	v_cmpx_eq_u16_e32 0x80, v48
; %bb.2061:                             ;   in Loop: Header=BB6_1686 Depth=2
	s_mov_b32 s26, 0x7f800001
	s_xor_b32 s12, exec_lo, -1
; %bb.2062:                             ;   in Loop: Header=BB6_1686 Depth=2
	s_or_b32 exec_lo, exec_lo, s28
	s_delay_alu instid0(SALU_CYCLE_1)
	s_and_b32 s12, s12, exec_lo
	s_or_saveexec_b32 s27, s27
	v_mov_b32_e32 v39, s26
	s_xor_b32 exec_lo, exec_lo, s27
	s_cbranch_execz .LBB6_1928
.LBB6_2063:                             ;   in Loop: Header=BB6_1686 Depth=2
	v_cmp_ne_u16_e64 s11, 0, v48
	v_mov_b32_e32 v39, 0
	s_and_not1_b32 s12, s12, exec_lo
	s_delay_alu instid0(VALU_DEP_2) | instskip(NEXT) | instid1(SALU_CYCLE_1)
	s_and_b32 s11, s11, exec_lo
	s_or_b32 s12, s12, s11
	s_or_b32 exec_lo, exec_lo, s27
	s_and_saveexec_b32 s26, s12
	s_cbranch_execnz .LBB6_1929
	s_branch .LBB6_1930
.LBB6_2064:                             ;   in Loop: Header=BB6_1686 Depth=2
	s_mov_b32 s12, -1
	s_mov_b32 s28, exec_lo
                                        ; implicit-def: $sgpr26
	v_cmpx_eq_u16_e32 0x80, v17
; %bb.2065:                             ;   in Loop: Header=BB6_1686 Depth=2
	s_mov_b32 s26, 0x7f800001
	s_xor_b32 s12, exec_lo, -1
; %bb.2066:                             ;   in Loop: Header=BB6_1686 Depth=2
	s_or_b32 exec_lo, exec_lo, s28
	s_delay_alu instid0(SALU_CYCLE_1)
	s_and_b32 s12, s12, exec_lo
	s_or_saveexec_b32 s27, s27
	v_mov_b32_e32 v48, s26
	s_xor_b32 exec_lo, exec_lo, s27
	s_cbranch_execz .LBB6_1932
.LBB6_2067:                             ;   in Loop: Header=BB6_1686 Depth=2
	v_cmp_ne_u16_e64 s11, 0, v17
	v_mov_b32_e32 v48, 0
	s_and_not1_b32 s12, s12, exec_lo
	s_delay_alu instid0(VALU_DEP_2) | instskip(NEXT) | instid1(SALU_CYCLE_1)
	s_and_b32 s11, s11, exec_lo
	s_or_b32 s12, s12, s11
	s_or_b32 exec_lo, exec_lo, s27
	s_and_saveexec_b32 s26, s12
	s_cbranch_execnz .LBB6_1933
	s_branch .LBB6_1934
.LBB6_2068:                             ;   in Loop: Header=BB6_53 Depth=1
	s_or_b32 exec_lo, exec_lo, s25
.LBB6_2069:                             ;   in Loop: Header=BB6_53 Depth=1
	s_delay_alu instid0(SALU_CYCLE_1) | instskip(SKIP_3) | instid1(VALU_DEP_1)
	s_or_b32 exec_lo, exec_lo, s24
	v_dual_mov_b32 v16, 0 :: v_dual_and_b32 v11, 15, v87
	s_mov_b32 s12, 0
	s_mov_b32 s24, exec_lo
                                        ; implicit-def: $vgpr18
                                        ; implicit-def: $vgpr10
	v_cndmask_b32_e32 v17, v25, v11, vcc_lo
	s_delay_alu instid0(VALU_DEP_1)
	v_cmpx_ne_u32_e32 0, v17
	s_cbranch_execz .LBB6_2071
; %bb.2070:                             ;   in Loop: Header=BB6_53 Depth=1
	v_cmp_lt_i32_e64 s11, 0, v26
	v_sub_nc_u32_e32 v11, v25, v11
	v_and_b32_e32 v12, 0x3ffffe00, v87
	s_mov_b32 s12, exec_lo
	s_delay_alu instid0(VALU_DEP_3) | instskip(NEXT) | instid1(VALU_DEP_1)
	v_cndmask_b32_e64 v10, 0, v115, s11
	v_sub_nc_u32_e32 v10, v10, v26
	s_delay_alu instid0(VALU_DEP_1) | instskip(NEXT) | instid1(VALU_DEP_1)
	v_lshl_add_u32 v18, v10, 5, v24
	v_ashrrev_i32_e32 v10, 31, v18
	s_delay_alu instid0(VALU_DEP_1) | instskip(NEXT) | instid1(VALU_DEP_1)
	v_lshrrev_b32_e32 v10, 27, v10
	v_dual_cndmask_b32 v11, 0, v11 :: v_dual_add_nc_u32 v10, v18, v10
	s_delay_alu instid0(VALU_DEP_1) | instskip(NEXT) | instid1(VALU_DEP_2)
	v_add_nc_u32_e32 v16, v11, v12
	v_ashrrev_i32_e32 v10, 5, v10
.LBB6_2071:                             ;   in Loop: Header=BB6_53 Depth=1
	s_or_b32 exec_lo, exec_lo, s24
	s_delay_alu instid0(SALU_CYCLE_1)
	s_and_b32 s11, s12, exec_lo
.LBB6_2072:                             ;   in Loop: Header=BB6_53 Depth=1
	s_or_b32 exec_lo, exec_lo, s23
.LBB6_2073:                             ;   in Loop: Header=BB6_53 Depth=1
	s_and_saveexec_b32 s12, s11
	s_cbranch_execz .LBB6_2876
; %bb.2074:                             ;   in Loop: Header=BB6_53 Depth=1
	s_delay_alu instid0(VALU_DEP_1) | instskip(SKIP_1) | instid1(VALU_DEP_1)
	v_ashrrev_i32_e32 v11, 31, v17
	s_mov_b32 s23, exec_lo
	v_lshrrev_b32_e32 v11, 22, v11
	s_delay_alu instid0(VALU_DEP_1) | instskip(NEXT) | instid1(VALU_DEP_1)
	v_add_nc_u32_e32 v11, v17, v11
	v_ashrrev_i32_e32 v20, 10, v11
	s_delay_alu instid0(VALU_DEP_1) | instskip(NEXT) | instid1(VALU_DEP_1)
	v_sub_nc_u32_e32 v19, v20, v10
	v_cmpx_lt_i32_e32 0, v19
	s_cbranch_execz .LBB6_2847
; %bb.2075:                             ;   in Loop: Header=BB6_53 Depth=1
	s_cbranch_execz .LBB6_2076
; %bb.6435:
	s_getpc_b64 s[34:35]
.Lpost_getpc71:
	s_add_u32 s34, s34, (.LBB6_6269-.Lpost_getpc71)&4294967295
	s_addc_u32 s35, s35, (.LBB6_6269-.Lpost_getpc71)>>32
	s_setpc_b64 s[34:35]
.LBB6_2076:                             ;   in Loop: Header=BB6_53 Depth=1
	v_ashrrev_i32_e32 v11, 31, v18
	ds_load_b64 v[21:22], v0
	v_lshlrev_b32_e32 v10, 10, v10
	s_mov_b32 s24, 0
	v_lshrrev_b32_e32 v11, 27, v11
	s_delay_alu instid0(VALU_DEP_1) | instskip(NEXT) | instid1(VALU_DEP_1)
	v_add_nc_u32_e32 v11, v18, v11
	v_and_b32_e32 v15, 0xffffffe0, v11
	ds_load_b128 v[11:14], v0
	v_sub_nc_u32_e32 v15, v18, v15
	s_waitcnt lgkmcnt(1)
	v_add_co_u32 v21, vcc_lo, 0x3e0, v21
	v_add_co_ci_u32_e32 v22, vcc_lo, 0, v22, vcc_lo
	s_delay_alu instid0(VALU_DEP_3) | instskip(NEXT) | instid1(VALU_DEP_1)
	v_add3_u32 v15, v16, v15, v10
	v_ashrrev_i32_e32 v23, 31, v15
	s_waitcnt lgkmcnt(0)
	v_add_co_u32 v10, vcc_lo, v11, v15
	s_delay_alu instid0(VALU_DEP_2)
	v_add_co_ci_u32_e32 v11, vcc_lo, v12, v23, vcc_lo
	v_add_co_u32 v12, vcc_lo, v13, v15
	v_add_co_ci_u32_e32 v13, vcc_lo, v14, v23, vcc_lo
	v_add_co_u32 v14, vcc_lo, v21, v15
	v_add_co_ci_u32_e32 v15, vcc_lo, v22, v23, vcc_lo
	s_branch .LBB6_2080
.LBB6_2077:                             ;   in Loop: Header=BB6_2080 Depth=2
	s_or_b32 exec_lo, exec_lo, s11
	s_delay_alu instid0(VALU_DEP_1) | instskip(NEXT) | instid1(VALU_DEP_2)
	v_lshrrev_b32_e32 v25, 21, v25
	v_cmp_gt_i32_e32 vcc_lo, 32, v21
	v_lshrrev_b32_e32 v22, 24, v22
	v_min_i32_e32 v28, 31, v21
	s_delay_alu instid0(VALU_DEP_2) | instskip(NEXT) | instid1(VALU_DEP_1)
	v_dual_cndmask_b32 v25, 3, v25 :: v_dual_and_b32 v22, 0x80, v22
	v_or_b32_e32 v21, v21, v25
	v_and_b32_e32 v33, 3, v25
	s_delay_alu instid0(VALU_DEP_2) | instskip(SKIP_1) | instid1(VALU_DEP_1)
	v_cmp_ne_u32_e32 vcc_lo, 0, v21
	v_lshlrev_b32_e32 v28, 2, v28
	v_or3_b32 v22, v28, v22, v33
	s_delay_alu instid0(VALU_DEP_1)
	v_cndmask_b32_e32 v21, 0, v22, vcc_lo
.LBB6_2078:                             ;   in Loop: Header=BB6_2080 Depth=2
	s_or_b32 exec_lo, exec_lo, s26
.LBB6_2079:                             ;   in Loop: Header=BB6_2080 Depth=2
	s_delay_alu instid0(SALU_CYCLE_1)
	s_or_b32 exec_lo, exec_lo, s25
	v_add_co_u32 v39, vcc_lo, 0xfffffc20, v14
	v_add_co_ci_u32_e32 v40, vcc_lo, -1, v15, vcc_lo
	v_add_co_u32 v22, vcc_lo, 0xfffffc40, v14
	v_sub_nc_u32_e32 v19, v19, v115
	flat_store_b8 v[39:40], v23 glc slc dlc
	v_add_co_ci_u32_e32 v23, vcc_lo, -1, v15, vcc_lo
	v_add_co_u32 v39, vcc_lo, 0xfffffc60, v14
	v_add_co_ci_u32_e32 v40, vcc_lo, -1, v15, vcc_lo
	v_add_co_u32 v41, vcc_lo, 0xfffffc80, v14
	v_add_co_ci_u32_e32 v42, vcc_lo, -1, v15, vcc_lo
	v_add_co_u32 v43, vcc_lo, 0xfffffca0, v14
	v_add_co_ci_u32_e32 v44, vcc_lo, -1, v15, vcc_lo
	v_add_co_u32 v45, vcc_lo, 0xfffffcc0, v14
	v_add_co_ci_u32_e32 v46, vcc_lo, -1, v15, vcc_lo
	flat_store_b8 v[22:23], v26 glc slc dlc
	flat_store_b8 v[39:40], v29 glc slc dlc
	flat_store_b8 v[41:42], v34 glc slc dlc
	flat_store_b8 v[43:44], v37 glc slc dlc
	flat_store_b8 v[45:46], v48 glc slc dlc
	v_add_co_u32 v22, vcc_lo, 0xfffffce0, v14
	v_add_co_ci_u32_e32 v23, vcc_lo, -1, v15, vcc_lo
	v_add_co_u32 v25, vcc_lo, 0xfffffd00, v14
	v_add_co_ci_u32_e32 v26, vcc_lo, -1, v15, vcc_lo
	v_add_co_u32 v28, vcc_lo, 0xfffffd20, v14
	v_add_co_ci_u32_e32 v29, vcc_lo, -1, v15, vcc_lo
	v_add_co_u32 v33, vcc_lo, 0xfffffd40, v14
	v_add_co_ci_u32_e32 v34, vcc_lo, -1, v15, vcc_lo
	v_add_co_u32 v36, vcc_lo, 0xfffffd60, v14
	v_add_co_ci_u32_e32 v37, vcc_lo, -1, v15, vcc_lo
	flat_store_b8 v[22:23], v51 glc slc dlc
	flat_store_b8 v[25:26], v99 glc slc dlc
	flat_store_b8 v[28:29], v102 glc slc dlc
	flat_store_b8 v[33:34], v148 glc slc dlc
	flat_store_b8 v[36:37], v151 glc slc dlc
	v_add_co_u32 v22, vcc_lo, 0xfffffd80, v14
	;; [unrolled: 15-line block ×5, first 2 shown]
	v_add_co_ci_u32_e32 v23, vcc_lo, -1, v15, vcc_lo
	v_add_co_u32 v25, vcc_lo, 0xffffff80, v14
	v_add_co_ci_u32_e32 v26, vcc_lo, -1, v15, vcc_lo
	v_add_co_u32 v28, vcc_lo, 0xffffffa0, v14
	v_add_co_ci_u32_e32 v29, vcc_lo, -1, v15, vcc_lo
	v_add_co_u32 v33, vcc_lo, 0xffffffc0, v14
	v_add_co_ci_u32_e32 v34, vcc_lo, -1, v15, vcc_lo
	v_add_co_u32 v36, vcc_lo, 0xffffffe0, v14
	v_add_co_ci_u32_e32 v37, vcc_lo, -1, v15, vcc_lo
	v_add_co_u32 v10, vcc_lo, v10, v134
	v_add_co_ci_u32_e32 v11, vcc_lo, v11, v135, vcc_lo
	v_add_co_u32 v12, vcc_lo, v12, v134
	v_add_co_ci_u32_e32 v13, vcc_lo, v13, v135, vcc_lo
	flat_store_b8 v[22:23], v38 glc slc dlc
	flat_store_b8 v[25:26], v35 glc slc dlc
	flat_store_b8 v[28:29], v32 glc slc dlc
	flat_store_b8 v[33:34], v27 glc slc dlc
	flat_store_b8 v[36:37], v24 glc slc dlc
	flat_store_b8 v[14:15], v21 glc slc dlc
	v_cmp_gt_i32_e32 vcc_lo, 1, v19
	v_add_co_u32 v14, s11, v14, v134
	s_delay_alu instid0(VALU_DEP_1) | instskip(SKIP_1) | instid1(SALU_CYCLE_1)
	v_add_co_ci_u32_e64 v15, s11, v15, v135, s11
	s_or_b32 s24, vcc_lo, s24
	s_and_not1_b32 exec_lo, exec_lo, s24
	s_cbranch_execz .LBB6_2846
.LBB6_2080:                             ;   Parent Loop BB6_53 Depth=1
                                        ; =>  This Inner Loop Header: Depth=2
	s_clause 0x1f
	flat_load_u8 v62, v[10:11] slc dlc
	flat_load_u8 v61, v[10:11] offset:32 slc dlc
	flat_load_u8 v60, v[10:11] offset:64 slc dlc
	;; [unrolled: 1-line block ×31, first 2 shown]
	s_clause 0x1f
	flat_load_u8 v23, v[12:13] slc dlc
	flat_load_u8 v26, v[12:13] offset:32 slc dlc
	flat_load_u8 v29, v[12:13] offset:64 slc dlc
	;; [unrolled: 1-line block ×31, first 2 shown]
	s_mov_b32 s11, 0
	s_mov_b32 s26, exec_lo
                                        ; implicit-def: $sgpr25
	s_waitcnt vmcnt(62) lgkmcnt(62)
	v_cmpx_lt_i16_e32 0x7f, v62
	s_xor_b32 s26, exec_lo, s26
	s_cbranch_execnz .LBB6_2590
; %bb.2081:                             ;   in Loop: Header=BB6_2080 Depth=2
	s_or_saveexec_b32 s26, s26
	v_mov_b32_e32 v63, s25
	s_xor_b32 exec_lo, exec_lo, s26
	s_cbranch_execnz .LBB6_2593
.LBB6_2082:                             ;   in Loop: Header=BB6_2080 Depth=2
	s_or_b32 exec_lo, exec_lo, s26
	s_and_saveexec_b32 s25, s11
	s_cbranch_execz .LBB6_2084
.LBB6_2083:                             ;   in Loop: Header=BB6_2080 Depth=2
	v_and_b32_e32 v63, 0xffff, v62
	v_lshlrev_b32_e32 v62, 24, v62
	s_delay_alu instid0(VALU_DEP_2) | instskip(NEXT) | instid1(VALU_DEP_2)
	v_and_b32_e32 v72, 3, v63
	v_and_b32_e32 v62, 0x80000000, v62
	s_delay_alu instid0(VALU_DEP_2) | instskip(NEXT) | instid1(VALU_DEP_1)
	v_clz_i32_u32_e32 v73, v72
	v_min_u32_e32 v73, 32, v73
	s_delay_alu instid0(VALU_DEP_1) | instskip(SKIP_1) | instid1(VALU_DEP_2)
	v_subrev_nc_u32_e32 v74, 29, v73
	v_sub_nc_u32_e32 v73, 30, v73
	v_lshlrev_b32_e32 v74, v74, v63
	v_bfe_u32 v63, v63, 2, 5
	s_delay_alu instid0(VALU_DEP_2) | instskip(NEXT) | instid1(VALU_DEP_2)
	v_and_b32_e32 v74, 3, v74
	v_cmp_eq_u32_e32 vcc_lo, 0, v63
	s_delay_alu instid0(VALU_DEP_2) | instskip(NEXT) | instid1(VALU_DEP_1)
	v_dual_cndmask_b32 v63, v63, v73 :: v_dual_cndmask_b32 v72, v72, v74
	v_lshl_add_u32 v63, v63, 23, 0x37800000
	s_delay_alu instid0(VALU_DEP_2) | instskip(NEXT) | instid1(VALU_DEP_1)
	v_lshlrev_b32_e32 v72, 21, v72
	v_or3_b32 v63, v62, v63, v72
.LBB6_2084:                             ;   in Loop: Header=BB6_2080 Depth=2
	s_or_b32 exec_lo, exec_lo, s25
	s_waitcnt vmcnt(31) lgkmcnt(31)
	v_and_b32_e32 v72, 0xff, v23
	s_mov_b32 s11, 0
	s_mov_b32 s26, exec_lo
                                        ; implicit-def: $sgpr25
	s_delay_alu instid0(VALU_DEP_1)
	v_cmpx_lt_i16_e32 0x7f, v72
	s_xor_b32 s26, exec_lo, s26
	s_cbranch_execnz .LBB6_2594
; %bb.2085:                             ;   in Loop: Header=BB6_2080 Depth=2
	s_or_saveexec_b32 s26, s26
	v_mov_b32_e32 v62, s25
	s_xor_b32 exec_lo, exec_lo, s26
	s_cbranch_execnz .LBB6_2597
.LBB6_2086:                             ;   in Loop: Header=BB6_2080 Depth=2
	s_or_b32 exec_lo, exec_lo, s26
	s_and_saveexec_b32 s25, s11
	s_cbranch_execz .LBB6_2088
.LBB6_2087:                             ;   in Loop: Header=BB6_2080 Depth=2
	v_and_b32_e32 v62, 3, v23
	v_lshrrev_b16 v74, 2, v23
	s_delay_alu instid0(VALU_DEP_2) | instskip(NEXT) | instid1(VALU_DEP_2)
	v_clz_i32_u32_e32 v72, v62
	v_and_b32_e32 v74, 31, v74
	s_delay_alu instid0(VALU_DEP_2) | instskip(NEXT) | instid1(VALU_DEP_2)
	v_min_u32_e32 v72, 32, v72
	v_cmp_eq_u32_e32 vcc_lo, 0, v74
	s_delay_alu instid0(VALU_DEP_2) | instskip(SKIP_1) | instid1(VALU_DEP_1)
	v_subrev_nc_u32_e32 v73, 29, v72
	v_sub_nc_u32_e32 v72, 30, v72
	v_dual_cndmask_b32 v72, v74, v72 :: v_dual_lshlrev_b32 v73, v73, v23
	s_delay_alu instid0(VALU_DEP_1) | instskip(SKIP_1) | instid1(VALU_DEP_3)
	v_and_b32_e32 v73, 3, v73
	v_lshlrev_b32_e32 v23, 24, v23
	v_lshl_add_u32 v72, v72, 23, 0x37800000
	s_delay_alu instid0(VALU_DEP_2) | instskip(NEXT) | instid1(VALU_DEP_1)
	v_dual_cndmask_b32 v62, v62, v73 :: v_dual_and_b32 v23, 0x80000000, v23
	v_lshlrev_b32_e32 v62, 21, v62
	s_delay_alu instid0(VALU_DEP_1)
	v_or3_b32 v62, v23, v72, v62
.LBB6_2088:                             ;   in Loop: Header=BB6_2080 Depth=2
	s_or_b32 exec_lo, exec_lo, s25
	s_delay_alu instid0(VALU_DEP_1) | instskip(NEXT) | instid1(VALU_DEP_1)
	v_mul_f32_e32 v62, v63, v62
	v_and_b32_e32 v23, 0x7f800000, v62
	s_delay_alu instid0(VALU_DEP_1)
	v_cmp_ne_u32_e32 vcc_lo, 0x7f800000, v23
	v_mov_b32_e32 v23, 0x80
	s_and_saveexec_b32 s25, vcc_lo
	s_cbranch_execz .LBB6_2096
; %bb.2089:                             ;   in Loop: Header=BB6_2080 Depth=2
	v_mov_b32_e32 v23, 0
	s_mov_b32 s26, exec_lo
	v_cmpx_ne_u32_e32 0, v62
	s_cbranch_execz .LBB6_2095
; %bb.2090:                             ;   in Loop: Header=BB6_2080 Depth=2
	v_bfe_u32 v23, v62, 23, 8
	s_delay_alu instid0(VALU_DEP_1) | instskip(SKIP_1) | instid1(VALU_DEP_2)
	v_sub_nc_u32_e32 v72, 0x70, v23
	v_cmp_gt_u32_e32 vcc_lo, 0x71, v23
	v_dual_cndmask_b32 v72, 0, v72 :: v_dual_and_b32 v63, 0x7fffff, v62
	s_delay_alu instid0(VALU_DEP_1) | instskip(SKIP_2) | instid1(VALU_DEP_4)
	v_or_b32_e32 v73, 0x800000, v63
	v_cmp_eq_u32_e32 vcc_lo, 0, v23
	v_add_nc_u32_e32 v23, 0xffffff91, v23
	v_cndmask_b32_e64 v72, v72, 0x6f, vcc_lo
	s_delay_alu instid0(VALU_DEP_4) | instskip(NEXT) | instid1(VALU_DEP_3)
	v_cndmask_b32_e32 v63, v73, v63, vcc_lo
	v_cndmask_b32_e64 v23, v23, 0xffffff92, vcc_lo
	s_delay_alu instid0(VALU_DEP_3) | instskip(NEXT) | instid1(VALU_DEP_3)
	v_lshl_add_u32 v73, 0x200000, v72, -1
	v_lshrrev_b32_e32 v74, v72, v63
	v_lshlrev_b32_e64 v76, v72, 0x100000
	s_delay_alu instid0(VALU_DEP_4) | instskip(NEXT) | instid1(VALU_DEP_4)
	v_add_nc_u32_e32 v72, v72, v23
	v_and_b32_e32 v63, v73, v63
	s_delay_alu instid0(VALU_DEP_4) | instskip(NEXT) | instid1(VALU_DEP_2)
	v_bfe_u32 v75, v74, 21, 1
	v_cmp_eq_u32_e64 s11, v63, v76
	s_delay_alu instid0(VALU_DEP_2) | instskip(NEXT) | instid1(VALU_DEP_1)
	v_add_nc_u32_e32 v73, -1, v75
	v_cndmask_b32_e64 v63, 0, v73, s11
	v_lshrrev_b32_e32 v73, 23, v74
	s_mov_b32 s11, exec_lo
	s_delay_alu instid0(VALU_DEP_2) | instskip(NEXT) | instid1(VALU_DEP_2)
	v_add_nc_u32_e32 v63, v63, v74
	v_xor_b32_e32 v73, 1, v73
	s_delay_alu instid0(VALU_DEP_2) | instskip(NEXT) | instid1(VALU_DEP_1)
	v_and_b32_e32 v23, 0x1fffff, v63
	v_add_nc_u32_e32 v63, v23, v74
                                        ; implicit-def: $vgpr23
	s_delay_alu instid0(VALU_DEP_3)
	v_cmpx_ne_u32_e64 v72, v73
	s_xor_b32 s11, exec_lo, s11
; %bb.2091:                             ;   in Loop: Header=BB6_2080 Depth=2
	s_delay_alu instid0(VALU_DEP_2) | instskip(SKIP_2) | instid1(VALU_DEP_2)
	v_cmp_lt_u32_e32 vcc_lo, 0xffffff, v63
	v_sub_nc_u32_e32 v23, v72, v73
	v_cndmask_b32_e64 v72, 0, 1, vcc_lo
	v_add_co_ci_u32_e32 v23, vcc_lo, 0, v23, vcc_lo
	s_delay_alu instid0(VALU_DEP_2)
	v_lshrrev_b32_e32 v63, v72, v63
; %bb.2092:                             ;   in Loop: Header=BB6_2080 Depth=2
	s_and_not1_saveexec_b32 s11, s11
; %bb.2093:                             ;   in Loop: Header=BB6_2080 Depth=2
	s_delay_alu instid0(VALU_DEP_1)
	v_bfe_u32 v23, v63, 23, 1
; %bb.2094:                             ;   in Loop: Header=BB6_2080 Depth=2
	s_or_b32 exec_lo, exec_lo, s11
	v_lshrrev_b32_e32 v63, 21, v63
	s_delay_alu instid0(VALU_DEP_2) | instskip(SKIP_2) | instid1(VALU_DEP_2)
	v_cmp_gt_i32_e32 vcc_lo, 32, v23
	v_lshrrev_b32_e32 v62, 24, v62
	v_min_i32_e32 v72, 31, v23
	v_dual_cndmask_b32 v63, 3, v63 :: v_dual_and_b32 v62, 0x80, v62
	s_delay_alu instid0(VALU_DEP_1) | instskip(SKIP_1) | instid1(VALU_DEP_2)
	v_or_b32_e32 v23, v23, v63
	v_and_b32_e32 v73, 3, v63
	v_cmp_ne_u32_e32 vcc_lo, 0, v23
	v_lshlrev_b32_e32 v72, 2, v72
	s_delay_alu instid0(VALU_DEP_1) | instskip(NEXT) | instid1(VALU_DEP_1)
	v_or3_b32 v62, v72, v62, v73
	v_cndmask_b32_e32 v23, 0, v62, vcc_lo
.LBB6_2095:                             ;   in Loop: Header=BB6_2080 Depth=2
	s_or_b32 exec_lo, exec_lo, s26
.LBB6_2096:                             ;   in Loop: Header=BB6_2080 Depth=2
	s_delay_alu instid0(SALU_CYCLE_1) | instskip(SKIP_3) | instid1(VALU_DEP_1)
	s_or_b32 exec_lo, exec_lo, s25
	v_and_b32_e32 v63, 0xff, v61
	s_mov_b32 s11, 0
	s_mov_b32 s26, exec_lo
                                        ; implicit-def: $sgpr25
	v_cmpx_lt_i16_e32 0x7f, v63
	s_xor_b32 s26, exec_lo, s26
	s_cbranch_execnz .LBB6_2598
; %bb.2097:                             ;   in Loop: Header=BB6_2080 Depth=2
	s_or_saveexec_b32 s26, s26
	v_mov_b32_e32 v62, s25
	s_xor_b32 exec_lo, exec_lo, s26
	s_cbranch_execnz .LBB6_2601
.LBB6_2098:                             ;   in Loop: Header=BB6_2080 Depth=2
	s_or_b32 exec_lo, exec_lo, s26
	s_and_saveexec_b32 s25, s11
	s_cbranch_execz .LBB6_2100
.LBB6_2099:                             ;   in Loop: Header=BB6_2080 Depth=2
	v_lshrrev_b16 v73, 2, v61
	s_delay_alu instid0(VALU_DEP_1) | instskip(NEXT) | instid1(VALU_DEP_1)
	v_and_b32_e32 v73, 31, v73
	v_cmp_eq_u32_e32 vcc_lo, 0, v73
	v_and_b32_e32 v62, 3, v61
	s_delay_alu instid0(VALU_DEP_1) | instskip(NEXT) | instid1(VALU_DEP_1)
	v_clz_i32_u32_e32 v63, v62
	v_min_u32_e32 v63, 32, v63
	s_delay_alu instid0(VALU_DEP_1) | instskip(SKIP_1) | instid1(VALU_DEP_1)
	v_subrev_nc_u32_e32 v72, 29, v63
	v_sub_nc_u32_e32 v63, 30, v63
	v_dual_cndmask_b32 v63, v73, v63 :: v_dual_lshlrev_b32 v72, v72, v61
	v_lshlrev_b32_e32 v61, 24, v61
	s_delay_alu instid0(VALU_DEP_2) | instskip(NEXT) | instid1(VALU_DEP_3)
	v_and_b32_e32 v72, 3, v72
	v_lshl_add_u32 v63, v63, 23, 0x37800000
	s_delay_alu instid0(VALU_DEP_2) | instskip(NEXT) | instid1(VALU_DEP_1)
	v_dual_cndmask_b32 v62, v62, v72 :: v_dual_and_b32 v61, 0x80000000, v61
	v_lshlrev_b32_e32 v62, 21, v62
	s_delay_alu instid0(VALU_DEP_1)
	v_or3_b32 v62, v61, v63, v62
.LBB6_2100:                             ;   in Loop: Header=BB6_2080 Depth=2
	s_or_b32 exec_lo, exec_lo, s25
	s_waitcnt vmcnt(30) lgkmcnt(30)
	v_and_b32_e32 v63, 0xff, v26
	s_mov_b32 s11, 0
	s_mov_b32 s26, exec_lo
                                        ; implicit-def: $sgpr25
	s_delay_alu instid0(VALU_DEP_1)
	v_cmpx_lt_i16_e32 0x7f, v63
	s_xor_b32 s26, exec_lo, s26
	s_cbranch_execnz .LBB6_2602
; %bb.2101:                             ;   in Loop: Header=BB6_2080 Depth=2
	s_or_saveexec_b32 s26, s26
	v_mov_b32_e32 v61, s25
	s_xor_b32 exec_lo, exec_lo, s26
	s_cbranch_execnz .LBB6_2605
.LBB6_2102:                             ;   in Loop: Header=BB6_2080 Depth=2
	s_or_b32 exec_lo, exec_lo, s26
	s_and_saveexec_b32 s25, s11
	s_cbranch_execz .LBB6_2104
.LBB6_2103:                             ;   in Loop: Header=BB6_2080 Depth=2
	v_and_b32_e32 v61, 3, v26
	v_lshrrev_b16 v73, 2, v26
	s_delay_alu instid0(VALU_DEP_2) | instskip(NEXT) | instid1(VALU_DEP_2)
	v_clz_i32_u32_e32 v63, v61
	v_and_b32_e32 v73, 31, v73
	s_delay_alu instid0(VALU_DEP_2) | instskip(NEXT) | instid1(VALU_DEP_2)
	v_min_u32_e32 v63, 32, v63
	v_cmp_eq_u32_e32 vcc_lo, 0, v73
	s_delay_alu instid0(VALU_DEP_2) | instskip(SKIP_1) | instid1(VALU_DEP_1)
	v_subrev_nc_u32_e32 v72, 29, v63
	v_sub_nc_u32_e32 v63, 30, v63
	v_dual_cndmask_b32 v63, v73, v63 :: v_dual_lshlrev_b32 v72, v72, v26
	s_delay_alu instid0(VALU_DEP_1) | instskip(SKIP_1) | instid1(VALU_DEP_3)
	v_and_b32_e32 v72, 3, v72
	v_lshlrev_b32_e32 v26, 24, v26
	v_lshl_add_u32 v63, v63, 23, 0x37800000
	s_delay_alu instid0(VALU_DEP_2) | instskip(NEXT) | instid1(VALU_DEP_1)
	v_dual_cndmask_b32 v61, v61, v72 :: v_dual_and_b32 v26, 0x80000000, v26
	v_lshlrev_b32_e32 v61, 21, v61
	s_delay_alu instid0(VALU_DEP_1)
	v_or3_b32 v61, v26, v63, v61
.LBB6_2104:                             ;   in Loop: Header=BB6_2080 Depth=2
	s_or_b32 exec_lo, exec_lo, s25
	s_delay_alu instid0(VALU_DEP_1) | instskip(NEXT) | instid1(VALU_DEP_1)
	v_mul_f32_e32 v61, v62, v61
	v_and_b32_e32 v26, 0x7f800000, v61
	s_delay_alu instid0(VALU_DEP_1)
	v_cmp_ne_u32_e32 vcc_lo, 0x7f800000, v26
	v_mov_b32_e32 v26, 0x80
	s_and_saveexec_b32 s25, vcc_lo
	s_cbranch_execz .LBB6_2112
; %bb.2105:                             ;   in Loop: Header=BB6_2080 Depth=2
	v_mov_b32_e32 v26, 0
	s_mov_b32 s26, exec_lo
	v_cmpx_ne_u32_e32 0, v61
	s_cbranch_execz .LBB6_2111
; %bb.2106:                             ;   in Loop: Header=BB6_2080 Depth=2
	v_bfe_u32 v26, v61, 23, 8
	s_delay_alu instid0(VALU_DEP_1) | instskip(SKIP_1) | instid1(VALU_DEP_2)
	v_sub_nc_u32_e32 v63, 0x70, v26
	v_cmp_gt_u32_e32 vcc_lo, 0x71, v26
	v_dual_cndmask_b32 v63, 0, v63 :: v_dual_and_b32 v62, 0x7fffff, v61
	s_delay_alu instid0(VALU_DEP_1) | instskip(SKIP_2) | instid1(VALU_DEP_4)
	v_or_b32_e32 v72, 0x800000, v62
	v_cmp_eq_u32_e32 vcc_lo, 0, v26
	v_add_nc_u32_e32 v26, 0xffffff91, v26
	v_cndmask_b32_e64 v63, v63, 0x6f, vcc_lo
	s_delay_alu instid0(VALU_DEP_4) | instskip(NEXT) | instid1(VALU_DEP_3)
	v_cndmask_b32_e32 v62, v72, v62, vcc_lo
	v_cndmask_b32_e64 v26, v26, 0xffffff92, vcc_lo
	s_delay_alu instid0(VALU_DEP_3) | instskip(NEXT) | instid1(VALU_DEP_3)
	v_lshl_add_u32 v72, 0x200000, v63, -1
	v_lshrrev_b32_e32 v73, v63, v62
	v_lshlrev_b32_e64 v75, v63, 0x100000
	s_delay_alu instid0(VALU_DEP_4) | instskip(NEXT) | instid1(VALU_DEP_4)
	v_add_nc_u32_e32 v63, v63, v26
	v_and_b32_e32 v62, v72, v62
	s_delay_alu instid0(VALU_DEP_4) | instskip(NEXT) | instid1(VALU_DEP_2)
	v_bfe_u32 v74, v73, 21, 1
	v_cmp_eq_u32_e64 s11, v62, v75
	s_delay_alu instid0(VALU_DEP_2) | instskip(NEXT) | instid1(VALU_DEP_1)
	v_add_nc_u32_e32 v72, -1, v74
	v_cndmask_b32_e64 v62, 0, v72, s11
	v_lshrrev_b32_e32 v72, 23, v73
	s_mov_b32 s11, exec_lo
	s_delay_alu instid0(VALU_DEP_2) | instskip(NEXT) | instid1(VALU_DEP_2)
	v_add_nc_u32_e32 v62, v62, v73
	v_xor_b32_e32 v72, 1, v72
	s_delay_alu instid0(VALU_DEP_2) | instskip(NEXT) | instid1(VALU_DEP_1)
	v_and_b32_e32 v26, 0x1fffff, v62
	v_add_nc_u32_e32 v62, v26, v73
                                        ; implicit-def: $vgpr26
	s_delay_alu instid0(VALU_DEP_3)
	v_cmpx_ne_u32_e64 v63, v72
	s_xor_b32 s11, exec_lo, s11
; %bb.2107:                             ;   in Loop: Header=BB6_2080 Depth=2
	s_delay_alu instid0(VALU_DEP_2) | instskip(SKIP_2) | instid1(VALU_DEP_2)
	v_cmp_lt_u32_e32 vcc_lo, 0xffffff, v62
	v_sub_nc_u32_e32 v26, v63, v72
	v_cndmask_b32_e64 v63, 0, 1, vcc_lo
	v_add_co_ci_u32_e32 v26, vcc_lo, 0, v26, vcc_lo
	s_delay_alu instid0(VALU_DEP_2)
	v_lshrrev_b32_e32 v62, v63, v62
; %bb.2108:                             ;   in Loop: Header=BB6_2080 Depth=2
	s_and_not1_saveexec_b32 s11, s11
; %bb.2109:                             ;   in Loop: Header=BB6_2080 Depth=2
	s_delay_alu instid0(VALU_DEP_1)
	v_bfe_u32 v26, v62, 23, 1
; %bb.2110:                             ;   in Loop: Header=BB6_2080 Depth=2
	s_or_b32 exec_lo, exec_lo, s11
	v_lshrrev_b32_e32 v62, 21, v62
	s_delay_alu instid0(VALU_DEP_2) | instskip(SKIP_2) | instid1(VALU_DEP_2)
	v_cmp_gt_i32_e32 vcc_lo, 32, v26
	v_lshrrev_b32_e32 v61, 24, v61
	v_min_i32_e32 v63, 31, v26
	v_dual_cndmask_b32 v62, 3, v62 :: v_dual_and_b32 v61, 0x80, v61
	s_delay_alu instid0(VALU_DEP_1) | instskip(SKIP_1) | instid1(VALU_DEP_2)
	v_or_b32_e32 v26, v26, v62
	v_and_b32_e32 v72, 3, v62
	v_cmp_ne_u32_e32 vcc_lo, 0, v26
	v_lshlrev_b32_e32 v63, 2, v63
	s_delay_alu instid0(VALU_DEP_1) | instskip(NEXT) | instid1(VALU_DEP_1)
	v_or3_b32 v61, v63, v61, v72
	v_cndmask_b32_e32 v26, 0, v61, vcc_lo
.LBB6_2111:                             ;   in Loop: Header=BB6_2080 Depth=2
	s_or_b32 exec_lo, exec_lo, s26
.LBB6_2112:                             ;   in Loop: Header=BB6_2080 Depth=2
	s_delay_alu instid0(SALU_CYCLE_1) | instskip(SKIP_3) | instid1(VALU_DEP_1)
	s_or_b32 exec_lo, exec_lo, s25
	v_and_b32_e32 v62, 0xff, v60
	s_mov_b32 s11, 0
	s_mov_b32 s26, exec_lo
                                        ; implicit-def: $sgpr25
	v_cmpx_lt_i16_e32 0x7f, v62
	s_xor_b32 s26, exec_lo, s26
	s_cbranch_execnz .LBB6_2606
; %bb.2113:                             ;   in Loop: Header=BB6_2080 Depth=2
	s_or_saveexec_b32 s26, s26
	v_mov_b32_e32 v61, s25
	s_xor_b32 exec_lo, exec_lo, s26
	s_cbranch_execnz .LBB6_2609
.LBB6_2114:                             ;   in Loop: Header=BB6_2080 Depth=2
	s_or_b32 exec_lo, exec_lo, s26
	s_and_saveexec_b32 s25, s11
	s_cbranch_execz .LBB6_2116
.LBB6_2115:                             ;   in Loop: Header=BB6_2080 Depth=2
	v_lshrrev_b16 v72, 2, v60
	s_delay_alu instid0(VALU_DEP_1) | instskip(NEXT) | instid1(VALU_DEP_1)
	v_and_b32_e32 v72, 31, v72
	v_cmp_eq_u32_e32 vcc_lo, 0, v72
	v_and_b32_e32 v61, 3, v60
	s_delay_alu instid0(VALU_DEP_1) | instskip(NEXT) | instid1(VALU_DEP_1)
	v_clz_i32_u32_e32 v62, v61
	v_min_u32_e32 v62, 32, v62
	s_delay_alu instid0(VALU_DEP_1) | instskip(SKIP_1) | instid1(VALU_DEP_1)
	v_subrev_nc_u32_e32 v63, 29, v62
	v_sub_nc_u32_e32 v62, 30, v62
	v_dual_cndmask_b32 v62, v72, v62 :: v_dual_lshlrev_b32 v63, v63, v60
	v_lshlrev_b32_e32 v60, 24, v60
	s_delay_alu instid0(VALU_DEP_2) | instskip(NEXT) | instid1(VALU_DEP_3)
	v_and_b32_e32 v63, 3, v63
	v_lshl_add_u32 v62, v62, 23, 0x37800000
	s_delay_alu instid0(VALU_DEP_2) | instskip(NEXT) | instid1(VALU_DEP_1)
	v_dual_cndmask_b32 v61, v61, v63 :: v_dual_and_b32 v60, 0x80000000, v60
	v_lshlrev_b32_e32 v61, 21, v61
	s_delay_alu instid0(VALU_DEP_1)
	v_or3_b32 v61, v60, v62, v61
.LBB6_2116:                             ;   in Loop: Header=BB6_2080 Depth=2
	s_or_b32 exec_lo, exec_lo, s25
	s_waitcnt vmcnt(29) lgkmcnt(29)
	v_and_b32_e32 v62, 0xff, v29
	s_mov_b32 s11, 0
	s_mov_b32 s26, exec_lo
                                        ; implicit-def: $sgpr25
	s_delay_alu instid0(VALU_DEP_1)
	v_cmpx_lt_i16_e32 0x7f, v62
	s_xor_b32 s26, exec_lo, s26
	s_cbranch_execnz .LBB6_2610
; %bb.2117:                             ;   in Loop: Header=BB6_2080 Depth=2
	s_or_saveexec_b32 s26, s26
	v_mov_b32_e32 v60, s25
	s_xor_b32 exec_lo, exec_lo, s26
	s_cbranch_execnz .LBB6_2613
.LBB6_2118:                             ;   in Loop: Header=BB6_2080 Depth=2
	s_or_b32 exec_lo, exec_lo, s26
	s_and_saveexec_b32 s25, s11
	s_cbranch_execz .LBB6_2120
.LBB6_2119:                             ;   in Loop: Header=BB6_2080 Depth=2
	v_and_b32_e32 v60, 3, v29
	v_lshrrev_b16 v72, 2, v29
	s_delay_alu instid0(VALU_DEP_2) | instskip(NEXT) | instid1(VALU_DEP_2)
	v_clz_i32_u32_e32 v62, v60
	v_and_b32_e32 v72, 31, v72
	s_delay_alu instid0(VALU_DEP_2) | instskip(NEXT) | instid1(VALU_DEP_2)
	v_min_u32_e32 v62, 32, v62
	v_cmp_eq_u32_e32 vcc_lo, 0, v72
	s_delay_alu instid0(VALU_DEP_2) | instskip(SKIP_1) | instid1(VALU_DEP_1)
	v_subrev_nc_u32_e32 v63, 29, v62
	v_sub_nc_u32_e32 v62, 30, v62
	v_dual_cndmask_b32 v62, v72, v62 :: v_dual_lshlrev_b32 v63, v63, v29
	s_delay_alu instid0(VALU_DEP_1) | instskip(SKIP_1) | instid1(VALU_DEP_3)
	v_and_b32_e32 v63, 3, v63
	v_lshlrev_b32_e32 v29, 24, v29
	v_lshl_add_u32 v62, v62, 23, 0x37800000
	s_delay_alu instid0(VALU_DEP_2) | instskip(NEXT) | instid1(VALU_DEP_1)
	v_dual_cndmask_b32 v60, v60, v63 :: v_dual_and_b32 v29, 0x80000000, v29
	v_lshlrev_b32_e32 v60, 21, v60
	s_delay_alu instid0(VALU_DEP_1)
	v_or3_b32 v60, v29, v62, v60
.LBB6_2120:                             ;   in Loop: Header=BB6_2080 Depth=2
	s_or_b32 exec_lo, exec_lo, s25
	s_delay_alu instid0(VALU_DEP_1) | instskip(NEXT) | instid1(VALU_DEP_1)
	v_mul_f32_e32 v60, v61, v60
	v_and_b32_e32 v29, 0x7f800000, v60
	s_delay_alu instid0(VALU_DEP_1)
	v_cmp_ne_u32_e32 vcc_lo, 0x7f800000, v29
	v_mov_b32_e32 v29, 0x80
	s_and_saveexec_b32 s25, vcc_lo
	s_cbranch_execz .LBB6_2128
; %bb.2121:                             ;   in Loop: Header=BB6_2080 Depth=2
	v_mov_b32_e32 v29, 0
	s_mov_b32 s26, exec_lo
	v_cmpx_ne_u32_e32 0, v60
	s_cbranch_execz .LBB6_2127
; %bb.2122:                             ;   in Loop: Header=BB6_2080 Depth=2
	v_bfe_u32 v29, v60, 23, 8
	s_delay_alu instid0(VALU_DEP_1) | instskip(SKIP_1) | instid1(VALU_DEP_2)
	v_sub_nc_u32_e32 v62, 0x70, v29
	v_cmp_gt_u32_e32 vcc_lo, 0x71, v29
	v_dual_cndmask_b32 v62, 0, v62 :: v_dual_and_b32 v61, 0x7fffff, v60
	s_delay_alu instid0(VALU_DEP_1) | instskip(SKIP_2) | instid1(VALU_DEP_4)
	v_or_b32_e32 v63, 0x800000, v61
	v_cmp_eq_u32_e32 vcc_lo, 0, v29
	v_add_nc_u32_e32 v29, 0xffffff91, v29
	v_cndmask_b32_e64 v62, v62, 0x6f, vcc_lo
	s_delay_alu instid0(VALU_DEP_4) | instskip(NEXT) | instid1(VALU_DEP_3)
	v_cndmask_b32_e32 v61, v63, v61, vcc_lo
	v_cndmask_b32_e64 v29, v29, 0xffffff92, vcc_lo
	s_delay_alu instid0(VALU_DEP_3) | instskip(NEXT) | instid1(VALU_DEP_3)
	v_lshl_add_u32 v63, 0x200000, v62, -1
	v_lshrrev_b32_e32 v72, v62, v61
	v_lshlrev_b32_e64 v74, v62, 0x100000
	s_delay_alu instid0(VALU_DEP_4) | instskip(NEXT) | instid1(VALU_DEP_4)
	v_add_nc_u32_e32 v62, v62, v29
	v_and_b32_e32 v61, v63, v61
	s_delay_alu instid0(VALU_DEP_4) | instskip(NEXT) | instid1(VALU_DEP_2)
	v_bfe_u32 v73, v72, 21, 1
	v_cmp_eq_u32_e64 s11, v61, v74
	s_delay_alu instid0(VALU_DEP_2) | instskip(NEXT) | instid1(VALU_DEP_1)
	v_add_nc_u32_e32 v63, -1, v73
	v_cndmask_b32_e64 v61, 0, v63, s11
	v_lshrrev_b32_e32 v63, 23, v72
	s_mov_b32 s11, exec_lo
	s_delay_alu instid0(VALU_DEP_2) | instskip(NEXT) | instid1(VALU_DEP_2)
	v_add_nc_u32_e32 v61, v61, v72
	v_xor_b32_e32 v63, 1, v63
	s_delay_alu instid0(VALU_DEP_2) | instskip(NEXT) | instid1(VALU_DEP_1)
	v_and_b32_e32 v29, 0x1fffff, v61
	v_add_nc_u32_e32 v61, v29, v72
                                        ; implicit-def: $vgpr29
	s_delay_alu instid0(VALU_DEP_3)
	v_cmpx_ne_u32_e64 v62, v63
	s_xor_b32 s11, exec_lo, s11
; %bb.2123:                             ;   in Loop: Header=BB6_2080 Depth=2
	s_delay_alu instid0(VALU_DEP_2) | instskip(SKIP_2) | instid1(VALU_DEP_2)
	v_cmp_lt_u32_e32 vcc_lo, 0xffffff, v61
	v_sub_nc_u32_e32 v29, v62, v63
	v_cndmask_b32_e64 v62, 0, 1, vcc_lo
	v_add_co_ci_u32_e32 v29, vcc_lo, 0, v29, vcc_lo
	s_delay_alu instid0(VALU_DEP_2)
	v_lshrrev_b32_e32 v61, v62, v61
; %bb.2124:                             ;   in Loop: Header=BB6_2080 Depth=2
	s_and_not1_saveexec_b32 s11, s11
; %bb.2125:                             ;   in Loop: Header=BB6_2080 Depth=2
	s_delay_alu instid0(VALU_DEP_1)
	v_bfe_u32 v29, v61, 23, 1
; %bb.2126:                             ;   in Loop: Header=BB6_2080 Depth=2
	s_or_b32 exec_lo, exec_lo, s11
	v_lshrrev_b32_e32 v61, 21, v61
	s_delay_alu instid0(VALU_DEP_2) | instskip(SKIP_2) | instid1(VALU_DEP_2)
	v_cmp_gt_i32_e32 vcc_lo, 32, v29
	v_lshrrev_b32_e32 v60, 24, v60
	v_min_i32_e32 v62, 31, v29
	v_dual_cndmask_b32 v61, 3, v61 :: v_dual_and_b32 v60, 0x80, v60
	s_delay_alu instid0(VALU_DEP_1) | instskip(SKIP_1) | instid1(VALU_DEP_2)
	v_or_b32_e32 v29, v29, v61
	v_and_b32_e32 v63, 3, v61
	v_cmp_ne_u32_e32 vcc_lo, 0, v29
	v_lshlrev_b32_e32 v62, 2, v62
	s_delay_alu instid0(VALU_DEP_1) | instskip(NEXT) | instid1(VALU_DEP_1)
	v_or3_b32 v60, v62, v60, v63
	v_cndmask_b32_e32 v29, 0, v60, vcc_lo
.LBB6_2127:                             ;   in Loop: Header=BB6_2080 Depth=2
	s_or_b32 exec_lo, exec_lo, s26
.LBB6_2128:                             ;   in Loop: Header=BB6_2080 Depth=2
	s_delay_alu instid0(SALU_CYCLE_1) | instskip(SKIP_3) | instid1(VALU_DEP_1)
	s_or_b32 exec_lo, exec_lo, s25
	v_and_b32_e32 v61, 0xff, v59
	s_mov_b32 s11, 0
	s_mov_b32 s26, exec_lo
                                        ; implicit-def: $sgpr25
	v_cmpx_lt_i16_e32 0x7f, v61
	s_xor_b32 s26, exec_lo, s26
	s_cbranch_execnz .LBB6_2614
; %bb.2129:                             ;   in Loop: Header=BB6_2080 Depth=2
	s_or_saveexec_b32 s26, s26
	v_mov_b32_e32 v60, s25
	s_xor_b32 exec_lo, exec_lo, s26
	s_cbranch_execnz .LBB6_2617
.LBB6_2130:                             ;   in Loop: Header=BB6_2080 Depth=2
	s_or_b32 exec_lo, exec_lo, s26
	s_and_saveexec_b32 s25, s11
	s_cbranch_execz .LBB6_2132
.LBB6_2131:                             ;   in Loop: Header=BB6_2080 Depth=2
	v_lshrrev_b16 v63, 2, v59
	s_delay_alu instid0(VALU_DEP_1) | instskip(NEXT) | instid1(VALU_DEP_1)
	v_and_b32_e32 v63, 31, v63
	v_cmp_eq_u32_e32 vcc_lo, 0, v63
	v_and_b32_e32 v60, 3, v59
	s_delay_alu instid0(VALU_DEP_1) | instskip(NEXT) | instid1(VALU_DEP_1)
	v_clz_i32_u32_e32 v61, v60
	v_min_u32_e32 v61, 32, v61
	s_delay_alu instid0(VALU_DEP_1) | instskip(SKIP_1) | instid1(VALU_DEP_1)
	v_subrev_nc_u32_e32 v62, 29, v61
	v_sub_nc_u32_e32 v61, 30, v61
	v_dual_cndmask_b32 v61, v63, v61 :: v_dual_lshlrev_b32 v62, v62, v59
	v_lshlrev_b32_e32 v59, 24, v59
	s_delay_alu instid0(VALU_DEP_2) | instskip(NEXT) | instid1(VALU_DEP_3)
	v_and_b32_e32 v62, 3, v62
	v_lshl_add_u32 v61, v61, 23, 0x37800000
	s_delay_alu instid0(VALU_DEP_2) | instskip(NEXT) | instid1(VALU_DEP_1)
	v_dual_cndmask_b32 v60, v60, v62 :: v_dual_and_b32 v59, 0x80000000, v59
	v_lshlrev_b32_e32 v60, 21, v60
	s_delay_alu instid0(VALU_DEP_1)
	v_or3_b32 v60, v59, v61, v60
.LBB6_2132:                             ;   in Loop: Header=BB6_2080 Depth=2
	s_or_b32 exec_lo, exec_lo, s25
	s_waitcnt vmcnt(28) lgkmcnt(28)
	v_and_b32_e32 v61, 0xff, v34
	s_mov_b32 s11, 0
	s_mov_b32 s26, exec_lo
                                        ; implicit-def: $sgpr25
	s_delay_alu instid0(VALU_DEP_1)
	v_cmpx_lt_i16_e32 0x7f, v61
	s_xor_b32 s26, exec_lo, s26
	s_cbranch_execnz .LBB6_2618
; %bb.2133:                             ;   in Loop: Header=BB6_2080 Depth=2
	s_or_saveexec_b32 s26, s26
	v_mov_b32_e32 v59, s25
	s_xor_b32 exec_lo, exec_lo, s26
	s_cbranch_execnz .LBB6_2621
.LBB6_2134:                             ;   in Loop: Header=BB6_2080 Depth=2
	s_or_b32 exec_lo, exec_lo, s26
	s_and_saveexec_b32 s25, s11
	s_cbranch_execz .LBB6_2136
.LBB6_2135:                             ;   in Loop: Header=BB6_2080 Depth=2
	v_and_b32_e32 v59, 3, v34
	v_lshrrev_b16 v63, 2, v34
	s_delay_alu instid0(VALU_DEP_2) | instskip(NEXT) | instid1(VALU_DEP_2)
	v_clz_i32_u32_e32 v61, v59
	v_and_b32_e32 v63, 31, v63
	s_delay_alu instid0(VALU_DEP_2) | instskip(NEXT) | instid1(VALU_DEP_2)
	v_min_u32_e32 v61, 32, v61
	v_cmp_eq_u32_e32 vcc_lo, 0, v63
	s_delay_alu instid0(VALU_DEP_2) | instskip(SKIP_1) | instid1(VALU_DEP_1)
	v_subrev_nc_u32_e32 v62, 29, v61
	v_sub_nc_u32_e32 v61, 30, v61
	v_dual_cndmask_b32 v61, v63, v61 :: v_dual_lshlrev_b32 v62, v62, v34
	v_lshlrev_b32_e32 v34, 24, v34
	s_delay_alu instid0(VALU_DEP_2) | instskip(NEXT) | instid1(VALU_DEP_3)
	v_and_b32_e32 v62, 3, v62
	v_lshl_add_u32 v61, v61, 23, 0x37800000
	s_delay_alu instid0(VALU_DEP_3) | instskip(NEXT) | instid1(VALU_DEP_3)
	v_and_b32_e32 v34, 0x80000000, v34
	v_cndmask_b32_e32 v59, v59, v62, vcc_lo
	s_delay_alu instid0(VALU_DEP_1) | instskip(NEXT) | instid1(VALU_DEP_1)
	v_lshlrev_b32_e32 v59, 21, v59
	v_or3_b32 v59, v34, v61, v59
.LBB6_2136:                             ;   in Loop: Header=BB6_2080 Depth=2
	s_or_b32 exec_lo, exec_lo, s25
	s_delay_alu instid0(VALU_DEP_1) | instskip(NEXT) | instid1(VALU_DEP_1)
	v_mul_f32_e32 v59, v60, v59
	v_and_b32_e32 v34, 0x7f800000, v59
	s_delay_alu instid0(VALU_DEP_1)
	v_cmp_ne_u32_e32 vcc_lo, 0x7f800000, v34
	v_mov_b32_e32 v34, 0x80
	s_and_saveexec_b32 s25, vcc_lo
	s_cbranch_execz .LBB6_2144
; %bb.2137:                             ;   in Loop: Header=BB6_2080 Depth=2
	v_mov_b32_e32 v34, 0
	s_mov_b32 s26, exec_lo
	v_cmpx_ne_u32_e32 0, v59
	s_cbranch_execz .LBB6_2143
; %bb.2138:                             ;   in Loop: Header=BB6_2080 Depth=2
	v_bfe_u32 v34, v59, 23, 8
	s_delay_alu instid0(VALU_DEP_1) | instskip(SKIP_1) | instid1(VALU_DEP_2)
	v_sub_nc_u32_e32 v61, 0x70, v34
	v_cmp_gt_u32_e32 vcc_lo, 0x71, v34
	v_dual_cndmask_b32 v61, 0, v61 :: v_dual_and_b32 v60, 0x7fffff, v59
	s_delay_alu instid0(VALU_DEP_1) | instskip(SKIP_2) | instid1(VALU_DEP_4)
	v_or_b32_e32 v62, 0x800000, v60
	v_cmp_eq_u32_e32 vcc_lo, 0, v34
	v_add_nc_u32_e32 v34, 0xffffff91, v34
	v_cndmask_b32_e64 v61, v61, 0x6f, vcc_lo
	s_delay_alu instid0(VALU_DEP_2) | instskip(SKIP_1) | instid1(VALU_DEP_3)
	v_cndmask_b32_e64 v34, v34, 0xffffff92, vcc_lo
	v_cndmask_b32_e32 v60, v62, v60, vcc_lo
	v_lshl_add_u32 v62, 0x200000, v61, -1
	v_lshlrev_b32_e64 v73, v61, 0x100000
	s_delay_alu instid0(VALU_DEP_3) | instskip(SKIP_1) | instid1(VALU_DEP_4)
	v_lshrrev_b32_e32 v63, v61, v60
	v_add_nc_u32_e32 v61, v61, v34
	v_and_b32_e32 v60, v62, v60
	s_delay_alu instid0(VALU_DEP_3) | instskip(NEXT) | instid1(VALU_DEP_2)
	v_bfe_u32 v72, v63, 21, 1
	v_cmp_eq_u32_e64 s11, v60, v73
	s_delay_alu instid0(VALU_DEP_2) | instskip(NEXT) | instid1(VALU_DEP_1)
	v_add_nc_u32_e32 v62, -1, v72
	v_cndmask_b32_e64 v60, 0, v62, s11
	v_lshrrev_b32_e32 v62, 23, v63
	s_mov_b32 s11, exec_lo
	s_delay_alu instid0(VALU_DEP_2) | instskip(NEXT) | instid1(VALU_DEP_2)
	v_add_nc_u32_e32 v60, v60, v63
	v_xor_b32_e32 v62, 1, v62
	s_delay_alu instid0(VALU_DEP_2) | instskip(NEXT) | instid1(VALU_DEP_1)
	v_and_b32_e32 v34, 0x1fffff, v60
	v_add_nc_u32_e32 v60, v34, v63
                                        ; implicit-def: $vgpr34
	s_delay_alu instid0(VALU_DEP_3)
	v_cmpx_ne_u32_e64 v61, v62
	s_xor_b32 s11, exec_lo, s11
; %bb.2139:                             ;   in Loop: Header=BB6_2080 Depth=2
	s_delay_alu instid0(VALU_DEP_2) | instskip(SKIP_2) | instid1(VALU_DEP_2)
	v_cmp_lt_u32_e32 vcc_lo, 0xffffff, v60
	v_sub_nc_u32_e32 v34, v61, v62
	v_cndmask_b32_e64 v61, 0, 1, vcc_lo
	v_add_co_ci_u32_e32 v34, vcc_lo, 0, v34, vcc_lo
	s_delay_alu instid0(VALU_DEP_2)
	v_lshrrev_b32_e32 v60, v61, v60
; %bb.2140:                             ;   in Loop: Header=BB6_2080 Depth=2
	s_and_not1_saveexec_b32 s11, s11
; %bb.2141:                             ;   in Loop: Header=BB6_2080 Depth=2
	s_delay_alu instid0(VALU_DEP_1)
	v_bfe_u32 v34, v60, 23, 1
; %bb.2142:                             ;   in Loop: Header=BB6_2080 Depth=2
	s_or_b32 exec_lo, exec_lo, s11
	v_lshrrev_b32_e32 v60, 21, v60
	s_delay_alu instid0(VALU_DEP_2) | instskip(SKIP_2) | instid1(VALU_DEP_2)
	v_cmp_gt_i32_e32 vcc_lo, 32, v34
	v_lshrrev_b32_e32 v59, 24, v59
	v_min_i32_e32 v61, 31, v34
	v_dual_cndmask_b32 v60, 3, v60 :: v_dual_and_b32 v59, 0x80, v59
	s_delay_alu instid0(VALU_DEP_1) | instskip(SKIP_1) | instid1(VALU_DEP_2)
	v_or_b32_e32 v34, v34, v60
	v_and_b32_e32 v62, 3, v60
	v_cmp_ne_u32_e32 vcc_lo, 0, v34
	v_lshlrev_b32_e32 v61, 2, v61
	s_delay_alu instid0(VALU_DEP_1) | instskip(NEXT) | instid1(VALU_DEP_1)
	v_or3_b32 v59, v61, v59, v62
	v_cndmask_b32_e32 v34, 0, v59, vcc_lo
.LBB6_2143:                             ;   in Loop: Header=BB6_2080 Depth=2
	s_or_b32 exec_lo, exec_lo, s26
.LBB6_2144:                             ;   in Loop: Header=BB6_2080 Depth=2
	s_delay_alu instid0(SALU_CYCLE_1) | instskip(SKIP_3) | instid1(VALU_DEP_1)
	s_or_b32 exec_lo, exec_lo, s25
	v_and_b32_e32 v60, 0xff, v58
	s_mov_b32 s11, 0
	s_mov_b32 s26, exec_lo
                                        ; implicit-def: $sgpr25
	v_cmpx_lt_i16_e32 0x7f, v60
	s_xor_b32 s26, exec_lo, s26
	s_cbranch_execnz .LBB6_2622
; %bb.2145:                             ;   in Loop: Header=BB6_2080 Depth=2
	s_or_saveexec_b32 s26, s26
	v_mov_b32_e32 v59, s25
	s_xor_b32 exec_lo, exec_lo, s26
	s_cbranch_execnz .LBB6_2625
.LBB6_2146:                             ;   in Loop: Header=BB6_2080 Depth=2
	s_or_b32 exec_lo, exec_lo, s26
	s_and_saveexec_b32 s25, s11
	s_cbranch_execz .LBB6_2148
.LBB6_2147:                             ;   in Loop: Header=BB6_2080 Depth=2
	v_lshrrev_b16 v62, 2, v58
	s_delay_alu instid0(VALU_DEP_1) | instskip(NEXT) | instid1(VALU_DEP_1)
	v_and_b32_e32 v62, 31, v62
	v_cmp_eq_u32_e32 vcc_lo, 0, v62
	v_and_b32_e32 v59, 3, v58
	s_delay_alu instid0(VALU_DEP_1) | instskip(NEXT) | instid1(VALU_DEP_1)
	v_clz_i32_u32_e32 v60, v59
	v_min_u32_e32 v60, 32, v60
	s_delay_alu instid0(VALU_DEP_1) | instskip(SKIP_1) | instid1(VALU_DEP_1)
	v_subrev_nc_u32_e32 v61, 29, v60
	v_sub_nc_u32_e32 v60, 30, v60
	v_dual_cndmask_b32 v60, v62, v60 :: v_dual_lshlrev_b32 v61, v61, v58
	v_lshlrev_b32_e32 v58, 24, v58
	s_delay_alu instid0(VALU_DEP_2) | instskip(NEXT) | instid1(VALU_DEP_3)
	v_and_b32_e32 v61, 3, v61
	v_lshl_add_u32 v60, v60, 23, 0x37800000
	s_delay_alu instid0(VALU_DEP_2) | instskip(NEXT) | instid1(VALU_DEP_1)
	v_dual_cndmask_b32 v59, v59, v61 :: v_dual_and_b32 v58, 0x80000000, v58
	v_lshlrev_b32_e32 v59, 21, v59
	s_delay_alu instid0(VALU_DEP_1)
	v_or3_b32 v59, v58, v60, v59
.LBB6_2148:                             ;   in Loop: Header=BB6_2080 Depth=2
	s_or_b32 exec_lo, exec_lo, s25
	s_waitcnt vmcnt(27) lgkmcnt(27)
	v_and_b32_e32 v60, 0xff, v37
	s_mov_b32 s11, 0
	s_mov_b32 s26, exec_lo
                                        ; implicit-def: $sgpr25
	s_delay_alu instid0(VALU_DEP_1)
	v_cmpx_lt_i16_e32 0x7f, v60
	s_xor_b32 s26, exec_lo, s26
	s_cbranch_execnz .LBB6_2626
; %bb.2149:                             ;   in Loop: Header=BB6_2080 Depth=2
	s_or_saveexec_b32 s26, s26
	v_mov_b32_e32 v58, s25
	s_xor_b32 exec_lo, exec_lo, s26
	s_cbranch_execnz .LBB6_2629
.LBB6_2150:                             ;   in Loop: Header=BB6_2080 Depth=2
	s_or_b32 exec_lo, exec_lo, s26
	s_and_saveexec_b32 s25, s11
	s_cbranch_execz .LBB6_2152
.LBB6_2151:                             ;   in Loop: Header=BB6_2080 Depth=2
	v_and_b32_e32 v58, 3, v37
	v_lshrrev_b16 v62, 2, v37
	s_delay_alu instid0(VALU_DEP_2) | instskip(NEXT) | instid1(VALU_DEP_2)
	v_clz_i32_u32_e32 v60, v58
	v_and_b32_e32 v62, 31, v62
	s_delay_alu instid0(VALU_DEP_2) | instskip(NEXT) | instid1(VALU_DEP_2)
	v_min_u32_e32 v60, 32, v60
	v_cmp_eq_u32_e32 vcc_lo, 0, v62
	s_delay_alu instid0(VALU_DEP_2) | instskip(SKIP_1) | instid1(VALU_DEP_1)
	v_subrev_nc_u32_e32 v61, 29, v60
	v_sub_nc_u32_e32 v60, 30, v60
	v_dual_cndmask_b32 v60, v62, v60 :: v_dual_lshlrev_b32 v61, v61, v37
	v_lshlrev_b32_e32 v37, 24, v37
	s_delay_alu instid0(VALU_DEP_2) | instskip(NEXT) | instid1(VALU_DEP_3)
	v_and_b32_e32 v61, 3, v61
	v_lshl_add_u32 v60, v60, 23, 0x37800000
	s_delay_alu instid0(VALU_DEP_3) | instskip(NEXT) | instid1(VALU_DEP_3)
	v_and_b32_e32 v37, 0x80000000, v37
	v_cndmask_b32_e32 v58, v58, v61, vcc_lo
	s_delay_alu instid0(VALU_DEP_1) | instskip(NEXT) | instid1(VALU_DEP_1)
	v_lshlrev_b32_e32 v58, 21, v58
	v_or3_b32 v58, v37, v60, v58
.LBB6_2152:                             ;   in Loop: Header=BB6_2080 Depth=2
	s_or_b32 exec_lo, exec_lo, s25
	s_delay_alu instid0(VALU_DEP_1) | instskip(NEXT) | instid1(VALU_DEP_1)
	v_mul_f32_e32 v58, v59, v58
	v_and_b32_e32 v37, 0x7f800000, v58
	s_delay_alu instid0(VALU_DEP_1)
	v_cmp_ne_u32_e32 vcc_lo, 0x7f800000, v37
	v_mov_b32_e32 v37, 0x80
	s_and_saveexec_b32 s25, vcc_lo
	s_cbranch_execz .LBB6_2160
; %bb.2153:                             ;   in Loop: Header=BB6_2080 Depth=2
	v_mov_b32_e32 v37, 0
	s_mov_b32 s26, exec_lo
	v_cmpx_ne_u32_e32 0, v58
	s_cbranch_execz .LBB6_2159
; %bb.2154:                             ;   in Loop: Header=BB6_2080 Depth=2
	v_bfe_u32 v37, v58, 23, 8
	s_delay_alu instid0(VALU_DEP_1) | instskip(SKIP_1) | instid1(VALU_DEP_2)
	v_sub_nc_u32_e32 v60, 0x70, v37
	v_cmp_gt_u32_e32 vcc_lo, 0x71, v37
	v_dual_cndmask_b32 v60, 0, v60 :: v_dual_and_b32 v59, 0x7fffff, v58
	s_delay_alu instid0(VALU_DEP_1) | instskip(SKIP_2) | instid1(VALU_DEP_4)
	v_or_b32_e32 v61, 0x800000, v59
	v_cmp_eq_u32_e32 vcc_lo, 0, v37
	v_add_nc_u32_e32 v37, 0xffffff91, v37
	v_cndmask_b32_e64 v60, v60, 0x6f, vcc_lo
	s_delay_alu instid0(VALU_DEP_2) | instskip(SKIP_1) | instid1(VALU_DEP_3)
	v_cndmask_b32_e64 v37, v37, 0xffffff92, vcc_lo
	v_cndmask_b32_e32 v59, v61, v59, vcc_lo
	v_lshl_add_u32 v61, 0x200000, v60, -1
	v_lshlrev_b32_e64 v72, v60, 0x100000
	s_delay_alu instid0(VALU_DEP_3) | instskip(SKIP_1) | instid1(VALU_DEP_4)
	v_lshrrev_b32_e32 v62, v60, v59
	v_add_nc_u32_e32 v60, v60, v37
	v_and_b32_e32 v59, v61, v59
	s_delay_alu instid0(VALU_DEP_3) | instskip(NEXT) | instid1(VALU_DEP_2)
	v_bfe_u32 v63, v62, 21, 1
	v_cmp_eq_u32_e64 s11, v59, v72
	s_delay_alu instid0(VALU_DEP_2) | instskip(NEXT) | instid1(VALU_DEP_1)
	v_add_nc_u32_e32 v61, -1, v63
	v_cndmask_b32_e64 v59, 0, v61, s11
	v_lshrrev_b32_e32 v61, 23, v62
	s_mov_b32 s11, exec_lo
	s_delay_alu instid0(VALU_DEP_2) | instskip(NEXT) | instid1(VALU_DEP_2)
	v_add_nc_u32_e32 v59, v59, v62
	v_xor_b32_e32 v61, 1, v61
	s_delay_alu instid0(VALU_DEP_2) | instskip(NEXT) | instid1(VALU_DEP_1)
	v_and_b32_e32 v37, 0x1fffff, v59
	v_add_nc_u32_e32 v59, v37, v62
                                        ; implicit-def: $vgpr37
	s_delay_alu instid0(VALU_DEP_3)
	v_cmpx_ne_u32_e64 v60, v61
	s_xor_b32 s11, exec_lo, s11
; %bb.2155:                             ;   in Loop: Header=BB6_2080 Depth=2
	s_delay_alu instid0(VALU_DEP_2) | instskip(SKIP_2) | instid1(VALU_DEP_2)
	v_cmp_lt_u32_e32 vcc_lo, 0xffffff, v59
	v_sub_nc_u32_e32 v37, v60, v61
	v_cndmask_b32_e64 v60, 0, 1, vcc_lo
	v_add_co_ci_u32_e32 v37, vcc_lo, 0, v37, vcc_lo
	s_delay_alu instid0(VALU_DEP_2)
	v_lshrrev_b32_e32 v59, v60, v59
; %bb.2156:                             ;   in Loop: Header=BB6_2080 Depth=2
	s_and_not1_saveexec_b32 s11, s11
; %bb.2157:                             ;   in Loop: Header=BB6_2080 Depth=2
	s_delay_alu instid0(VALU_DEP_1)
	v_bfe_u32 v37, v59, 23, 1
; %bb.2158:                             ;   in Loop: Header=BB6_2080 Depth=2
	s_or_b32 exec_lo, exec_lo, s11
	v_lshrrev_b32_e32 v59, 21, v59
	s_delay_alu instid0(VALU_DEP_2) | instskip(SKIP_2) | instid1(VALU_DEP_2)
	v_cmp_gt_i32_e32 vcc_lo, 32, v37
	v_lshrrev_b32_e32 v58, 24, v58
	v_min_i32_e32 v60, 31, v37
	v_dual_cndmask_b32 v59, 3, v59 :: v_dual_and_b32 v58, 0x80, v58
	s_delay_alu instid0(VALU_DEP_1) | instskip(SKIP_1) | instid1(VALU_DEP_2)
	v_or_b32_e32 v37, v37, v59
	v_and_b32_e32 v61, 3, v59
	v_cmp_ne_u32_e32 vcc_lo, 0, v37
	v_lshlrev_b32_e32 v60, 2, v60
	s_delay_alu instid0(VALU_DEP_1) | instskip(NEXT) | instid1(VALU_DEP_1)
	v_or3_b32 v58, v60, v58, v61
	v_cndmask_b32_e32 v37, 0, v58, vcc_lo
.LBB6_2159:                             ;   in Loop: Header=BB6_2080 Depth=2
	s_or_b32 exec_lo, exec_lo, s26
.LBB6_2160:                             ;   in Loop: Header=BB6_2080 Depth=2
	s_delay_alu instid0(SALU_CYCLE_1) | instskip(SKIP_3) | instid1(VALU_DEP_1)
	s_or_b32 exec_lo, exec_lo, s25
	v_and_b32_e32 v59, 0xff, v57
	s_mov_b32 s11, 0
	s_mov_b32 s26, exec_lo
                                        ; implicit-def: $sgpr25
	v_cmpx_lt_i16_e32 0x7f, v59
	s_xor_b32 s26, exec_lo, s26
	s_cbranch_execnz .LBB6_2630
; %bb.2161:                             ;   in Loop: Header=BB6_2080 Depth=2
	s_or_saveexec_b32 s26, s26
	v_mov_b32_e32 v58, s25
	s_xor_b32 exec_lo, exec_lo, s26
	s_cbranch_execnz .LBB6_2633
.LBB6_2162:                             ;   in Loop: Header=BB6_2080 Depth=2
	s_or_b32 exec_lo, exec_lo, s26
	s_and_saveexec_b32 s25, s11
	s_cbranch_execz .LBB6_2164
.LBB6_2163:                             ;   in Loop: Header=BB6_2080 Depth=2
	v_lshrrev_b16 v61, 2, v57
	s_delay_alu instid0(VALU_DEP_1) | instskip(NEXT) | instid1(VALU_DEP_1)
	v_and_b32_e32 v61, 31, v61
	v_cmp_eq_u32_e32 vcc_lo, 0, v61
	v_and_b32_e32 v58, 3, v57
	s_delay_alu instid0(VALU_DEP_1) | instskip(NEXT) | instid1(VALU_DEP_1)
	v_clz_i32_u32_e32 v59, v58
	v_min_u32_e32 v59, 32, v59
	s_delay_alu instid0(VALU_DEP_1) | instskip(SKIP_1) | instid1(VALU_DEP_1)
	v_subrev_nc_u32_e32 v60, 29, v59
	v_sub_nc_u32_e32 v59, 30, v59
	v_dual_cndmask_b32 v59, v61, v59 :: v_dual_lshlrev_b32 v60, v60, v57
	v_lshlrev_b32_e32 v57, 24, v57
	s_delay_alu instid0(VALU_DEP_2) | instskip(NEXT) | instid1(VALU_DEP_3)
	v_and_b32_e32 v60, 3, v60
	v_lshl_add_u32 v59, v59, 23, 0x37800000
	s_delay_alu instid0(VALU_DEP_2) | instskip(NEXT) | instid1(VALU_DEP_1)
	v_dual_cndmask_b32 v58, v58, v60 :: v_dual_and_b32 v57, 0x80000000, v57
	v_lshlrev_b32_e32 v58, 21, v58
	s_delay_alu instid0(VALU_DEP_1)
	v_or3_b32 v58, v57, v59, v58
.LBB6_2164:                             ;   in Loop: Header=BB6_2080 Depth=2
	s_or_b32 exec_lo, exec_lo, s25
	s_waitcnt vmcnt(26) lgkmcnt(26)
	v_and_b32_e32 v59, 0xff, v48
	s_mov_b32 s11, 0
	s_mov_b32 s26, exec_lo
                                        ; implicit-def: $sgpr25
	s_delay_alu instid0(VALU_DEP_1)
	v_cmpx_lt_i16_e32 0x7f, v59
	s_xor_b32 s26, exec_lo, s26
	s_cbranch_execnz .LBB6_2634
; %bb.2165:                             ;   in Loop: Header=BB6_2080 Depth=2
	s_or_saveexec_b32 s26, s26
	v_mov_b32_e32 v57, s25
	s_xor_b32 exec_lo, exec_lo, s26
	s_cbranch_execnz .LBB6_2637
.LBB6_2166:                             ;   in Loop: Header=BB6_2080 Depth=2
	s_or_b32 exec_lo, exec_lo, s26
	s_and_saveexec_b32 s25, s11
	s_cbranch_execz .LBB6_2168
.LBB6_2167:                             ;   in Loop: Header=BB6_2080 Depth=2
	v_and_b32_e32 v57, 3, v48
	v_lshrrev_b16 v61, 2, v48
	s_delay_alu instid0(VALU_DEP_2) | instskip(NEXT) | instid1(VALU_DEP_2)
	v_clz_i32_u32_e32 v59, v57
	v_and_b32_e32 v61, 31, v61
	s_delay_alu instid0(VALU_DEP_2) | instskip(NEXT) | instid1(VALU_DEP_2)
	v_min_u32_e32 v59, 32, v59
	v_cmp_eq_u32_e32 vcc_lo, 0, v61
	s_delay_alu instid0(VALU_DEP_2) | instskip(SKIP_1) | instid1(VALU_DEP_1)
	v_subrev_nc_u32_e32 v60, 29, v59
	v_sub_nc_u32_e32 v59, 30, v59
	v_dual_cndmask_b32 v59, v61, v59 :: v_dual_lshlrev_b32 v60, v60, v48
	v_lshlrev_b32_e32 v48, 24, v48
	s_delay_alu instid0(VALU_DEP_2) | instskip(NEXT) | instid1(VALU_DEP_3)
	v_and_b32_e32 v60, 3, v60
	v_lshl_add_u32 v59, v59, 23, 0x37800000
	s_delay_alu instid0(VALU_DEP_3) | instskip(NEXT) | instid1(VALU_DEP_3)
	v_and_b32_e32 v48, 0x80000000, v48
	v_cndmask_b32_e32 v57, v57, v60, vcc_lo
	s_delay_alu instid0(VALU_DEP_1) | instskip(NEXT) | instid1(VALU_DEP_1)
	v_lshlrev_b32_e32 v57, 21, v57
	v_or3_b32 v57, v48, v59, v57
.LBB6_2168:                             ;   in Loop: Header=BB6_2080 Depth=2
	s_or_b32 exec_lo, exec_lo, s25
	s_delay_alu instid0(VALU_DEP_1) | instskip(NEXT) | instid1(VALU_DEP_1)
	v_mul_f32_e32 v57, v58, v57
	v_and_b32_e32 v48, 0x7f800000, v57
	s_delay_alu instid0(VALU_DEP_1)
	v_cmp_ne_u32_e32 vcc_lo, 0x7f800000, v48
	v_mov_b32_e32 v48, 0x80
	s_and_saveexec_b32 s25, vcc_lo
	s_cbranch_execz .LBB6_2176
; %bb.2169:                             ;   in Loop: Header=BB6_2080 Depth=2
	v_mov_b32_e32 v48, 0
	s_mov_b32 s26, exec_lo
	v_cmpx_ne_u32_e32 0, v57
	s_cbranch_execz .LBB6_2175
; %bb.2170:                             ;   in Loop: Header=BB6_2080 Depth=2
	v_bfe_u32 v48, v57, 23, 8
	s_delay_alu instid0(VALU_DEP_1) | instskip(SKIP_1) | instid1(VALU_DEP_2)
	v_sub_nc_u32_e32 v59, 0x70, v48
	v_cmp_gt_u32_e32 vcc_lo, 0x71, v48
	v_dual_cndmask_b32 v59, 0, v59 :: v_dual_and_b32 v58, 0x7fffff, v57
	s_delay_alu instid0(VALU_DEP_1) | instskip(SKIP_2) | instid1(VALU_DEP_4)
	v_or_b32_e32 v60, 0x800000, v58
	v_cmp_eq_u32_e32 vcc_lo, 0, v48
	v_add_nc_u32_e32 v48, 0xffffff91, v48
	v_cndmask_b32_e64 v59, v59, 0x6f, vcc_lo
	s_delay_alu instid0(VALU_DEP_2) | instskip(SKIP_1) | instid1(VALU_DEP_3)
	v_cndmask_b32_e64 v48, v48, 0xffffff92, vcc_lo
	v_cndmask_b32_e32 v58, v60, v58, vcc_lo
	v_lshl_add_u32 v60, 0x200000, v59, -1
	v_lshlrev_b32_e64 v63, v59, 0x100000
	s_delay_alu instid0(VALU_DEP_3) | instskip(SKIP_1) | instid1(VALU_DEP_4)
	v_lshrrev_b32_e32 v61, v59, v58
	v_add_nc_u32_e32 v59, v59, v48
	v_and_b32_e32 v58, v60, v58
	s_delay_alu instid0(VALU_DEP_3) | instskip(NEXT) | instid1(VALU_DEP_2)
	v_bfe_u32 v62, v61, 21, 1
	v_cmp_eq_u32_e64 s11, v58, v63
	s_delay_alu instid0(VALU_DEP_2) | instskip(NEXT) | instid1(VALU_DEP_1)
	v_add_nc_u32_e32 v60, -1, v62
	v_cndmask_b32_e64 v58, 0, v60, s11
	v_lshrrev_b32_e32 v60, 23, v61
	s_mov_b32 s11, exec_lo
	s_delay_alu instid0(VALU_DEP_2) | instskip(NEXT) | instid1(VALU_DEP_2)
	v_add_nc_u32_e32 v58, v58, v61
	v_xor_b32_e32 v60, 1, v60
	s_delay_alu instid0(VALU_DEP_2) | instskip(NEXT) | instid1(VALU_DEP_1)
	v_and_b32_e32 v48, 0x1fffff, v58
	v_add_nc_u32_e32 v58, v48, v61
                                        ; implicit-def: $vgpr48
	s_delay_alu instid0(VALU_DEP_3)
	v_cmpx_ne_u32_e64 v59, v60
	s_xor_b32 s11, exec_lo, s11
; %bb.2171:                             ;   in Loop: Header=BB6_2080 Depth=2
	s_delay_alu instid0(VALU_DEP_2) | instskip(SKIP_2) | instid1(VALU_DEP_2)
	v_cmp_lt_u32_e32 vcc_lo, 0xffffff, v58
	v_sub_nc_u32_e32 v48, v59, v60
	v_cndmask_b32_e64 v59, 0, 1, vcc_lo
	v_add_co_ci_u32_e32 v48, vcc_lo, 0, v48, vcc_lo
	s_delay_alu instid0(VALU_DEP_2)
	v_lshrrev_b32_e32 v58, v59, v58
; %bb.2172:                             ;   in Loop: Header=BB6_2080 Depth=2
	s_and_not1_saveexec_b32 s11, s11
; %bb.2173:                             ;   in Loop: Header=BB6_2080 Depth=2
	s_delay_alu instid0(VALU_DEP_1)
	v_bfe_u32 v48, v58, 23, 1
; %bb.2174:                             ;   in Loop: Header=BB6_2080 Depth=2
	s_or_b32 exec_lo, exec_lo, s11
	v_lshrrev_b32_e32 v58, 21, v58
	s_delay_alu instid0(VALU_DEP_2) | instskip(SKIP_2) | instid1(VALU_DEP_2)
	v_cmp_gt_i32_e32 vcc_lo, 32, v48
	v_lshrrev_b32_e32 v57, 24, v57
	v_min_i32_e32 v59, 31, v48
	v_dual_cndmask_b32 v58, 3, v58 :: v_dual_and_b32 v57, 0x80, v57
	s_delay_alu instid0(VALU_DEP_1) | instskip(SKIP_1) | instid1(VALU_DEP_2)
	v_or_b32_e32 v48, v48, v58
	v_and_b32_e32 v60, 3, v58
	v_cmp_ne_u32_e32 vcc_lo, 0, v48
	v_lshlrev_b32_e32 v59, 2, v59
	s_delay_alu instid0(VALU_DEP_1) | instskip(NEXT) | instid1(VALU_DEP_1)
	v_or3_b32 v57, v59, v57, v60
	v_cndmask_b32_e32 v48, 0, v57, vcc_lo
.LBB6_2175:                             ;   in Loop: Header=BB6_2080 Depth=2
	s_or_b32 exec_lo, exec_lo, s26
.LBB6_2176:                             ;   in Loop: Header=BB6_2080 Depth=2
	s_delay_alu instid0(SALU_CYCLE_1) | instskip(SKIP_3) | instid1(VALU_DEP_1)
	s_or_b32 exec_lo, exec_lo, s25
	v_and_b32_e32 v58, 0xff, v56
	s_mov_b32 s11, 0
	s_mov_b32 s26, exec_lo
                                        ; implicit-def: $sgpr25
	v_cmpx_lt_i16_e32 0x7f, v58
	s_xor_b32 s26, exec_lo, s26
	s_cbranch_execnz .LBB6_2638
; %bb.2177:                             ;   in Loop: Header=BB6_2080 Depth=2
	s_or_saveexec_b32 s26, s26
	v_mov_b32_e32 v57, s25
	s_xor_b32 exec_lo, exec_lo, s26
	s_cbranch_execnz .LBB6_2641
.LBB6_2178:                             ;   in Loop: Header=BB6_2080 Depth=2
	s_or_b32 exec_lo, exec_lo, s26
	s_and_saveexec_b32 s25, s11
	s_cbranch_execz .LBB6_2180
.LBB6_2179:                             ;   in Loop: Header=BB6_2080 Depth=2
	v_lshrrev_b16 v60, 2, v56
	s_delay_alu instid0(VALU_DEP_1) | instskip(NEXT) | instid1(VALU_DEP_1)
	v_and_b32_e32 v60, 31, v60
	v_cmp_eq_u32_e32 vcc_lo, 0, v60
	v_and_b32_e32 v57, 3, v56
	s_delay_alu instid0(VALU_DEP_1) | instskip(NEXT) | instid1(VALU_DEP_1)
	v_clz_i32_u32_e32 v58, v57
	v_min_u32_e32 v58, 32, v58
	s_delay_alu instid0(VALU_DEP_1) | instskip(SKIP_1) | instid1(VALU_DEP_1)
	v_subrev_nc_u32_e32 v59, 29, v58
	v_sub_nc_u32_e32 v58, 30, v58
	v_dual_cndmask_b32 v58, v60, v58 :: v_dual_lshlrev_b32 v59, v59, v56
	v_lshlrev_b32_e32 v56, 24, v56
	s_delay_alu instid0(VALU_DEP_2) | instskip(NEXT) | instid1(VALU_DEP_3)
	v_and_b32_e32 v59, 3, v59
	v_lshl_add_u32 v58, v58, 23, 0x37800000
	s_delay_alu instid0(VALU_DEP_2) | instskip(NEXT) | instid1(VALU_DEP_1)
	v_dual_cndmask_b32 v57, v57, v59 :: v_dual_and_b32 v56, 0x80000000, v56
	v_lshlrev_b32_e32 v57, 21, v57
	s_delay_alu instid0(VALU_DEP_1)
	v_or3_b32 v57, v56, v58, v57
.LBB6_2180:                             ;   in Loop: Header=BB6_2080 Depth=2
	s_or_b32 exec_lo, exec_lo, s25
	s_waitcnt vmcnt(25) lgkmcnt(25)
	v_and_b32_e32 v58, 0xff, v51
	s_mov_b32 s11, 0
	s_mov_b32 s26, exec_lo
                                        ; implicit-def: $sgpr25
	s_delay_alu instid0(VALU_DEP_1)
	v_cmpx_lt_i16_e32 0x7f, v58
	s_xor_b32 s26, exec_lo, s26
	s_cbranch_execnz .LBB6_2642
; %bb.2181:                             ;   in Loop: Header=BB6_2080 Depth=2
	s_or_saveexec_b32 s26, s26
	v_mov_b32_e32 v56, s25
	s_xor_b32 exec_lo, exec_lo, s26
	s_cbranch_execnz .LBB6_2645
.LBB6_2182:                             ;   in Loop: Header=BB6_2080 Depth=2
	s_or_b32 exec_lo, exec_lo, s26
	s_and_saveexec_b32 s25, s11
	s_cbranch_execz .LBB6_2184
.LBB6_2183:                             ;   in Loop: Header=BB6_2080 Depth=2
	v_and_b32_e32 v56, 3, v51
	v_lshrrev_b16 v60, 2, v51
	s_delay_alu instid0(VALU_DEP_2) | instskip(NEXT) | instid1(VALU_DEP_2)
	v_clz_i32_u32_e32 v58, v56
	v_and_b32_e32 v60, 31, v60
	s_delay_alu instid0(VALU_DEP_2) | instskip(NEXT) | instid1(VALU_DEP_2)
	v_min_u32_e32 v58, 32, v58
	v_cmp_eq_u32_e32 vcc_lo, 0, v60
	s_delay_alu instid0(VALU_DEP_2) | instskip(SKIP_1) | instid1(VALU_DEP_1)
	v_subrev_nc_u32_e32 v59, 29, v58
	v_sub_nc_u32_e32 v58, 30, v58
	v_dual_cndmask_b32 v58, v60, v58 :: v_dual_lshlrev_b32 v59, v59, v51
	v_lshlrev_b32_e32 v51, 24, v51
	s_delay_alu instid0(VALU_DEP_2) | instskip(NEXT) | instid1(VALU_DEP_3)
	v_and_b32_e32 v59, 3, v59
	v_lshl_add_u32 v58, v58, 23, 0x37800000
	s_delay_alu instid0(VALU_DEP_3) | instskip(NEXT) | instid1(VALU_DEP_3)
	v_and_b32_e32 v51, 0x80000000, v51
	v_cndmask_b32_e32 v56, v56, v59, vcc_lo
	s_delay_alu instid0(VALU_DEP_1) | instskip(NEXT) | instid1(VALU_DEP_1)
	v_lshlrev_b32_e32 v56, 21, v56
	v_or3_b32 v56, v51, v58, v56
.LBB6_2184:                             ;   in Loop: Header=BB6_2080 Depth=2
	s_or_b32 exec_lo, exec_lo, s25
	s_delay_alu instid0(VALU_DEP_1) | instskip(NEXT) | instid1(VALU_DEP_1)
	v_mul_f32_e32 v56, v57, v56
	v_and_b32_e32 v51, 0x7f800000, v56
	s_delay_alu instid0(VALU_DEP_1)
	v_cmp_ne_u32_e32 vcc_lo, 0x7f800000, v51
	v_mov_b32_e32 v51, 0x80
	s_and_saveexec_b32 s25, vcc_lo
	s_cbranch_execz .LBB6_2192
; %bb.2185:                             ;   in Loop: Header=BB6_2080 Depth=2
	v_mov_b32_e32 v51, 0
	s_mov_b32 s26, exec_lo
	v_cmpx_ne_u32_e32 0, v56
	s_cbranch_execz .LBB6_2191
; %bb.2186:                             ;   in Loop: Header=BB6_2080 Depth=2
	v_bfe_u32 v51, v56, 23, 8
	s_delay_alu instid0(VALU_DEP_1) | instskip(SKIP_1) | instid1(VALU_DEP_2)
	v_sub_nc_u32_e32 v58, 0x70, v51
	v_cmp_gt_u32_e32 vcc_lo, 0x71, v51
	v_dual_cndmask_b32 v58, 0, v58 :: v_dual_and_b32 v57, 0x7fffff, v56
	s_delay_alu instid0(VALU_DEP_1) | instskip(SKIP_2) | instid1(VALU_DEP_4)
	v_or_b32_e32 v59, 0x800000, v57
	v_cmp_eq_u32_e32 vcc_lo, 0, v51
	v_add_nc_u32_e32 v51, 0xffffff91, v51
	v_cndmask_b32_e64 v58, v58, 0x6f, vcc_lo
	s_delay_alu instid0(VALU_DEP_2) | instskip(SKIP_1) | instid1(VALU_DEP_3)
	v_cndmask_b32_e64 v51, v51, 0xffffff92, vcc_lo
	v_cndmask_b32_e32 v57, v59, v57, vcc_lo
	v_lshl_add_u32 v59, 0x200000, v58, -1
	v_lshlrev_b32_e64 v62, v58, 0x100000
	s_delay_alu instid0(VALU_DEP_3) | instskip(SKIP_1) | instid1(VALU_DEP_4)
	v_lshrrev_b32_e32 v60, v58, v57
	v_add_nc_u32_e32 v58, v58, v51
	v_and_b32_e32 v57, v59, v57
	s_delay_alu instid0(VALU_DEP_3) | instskip(NEXT) | instid1(VALU_DEP_2)
	v_bfe_u32 v61, v60, 21, 1
	v_cmp_eq_u32_e64 s11, v57, v62
	s_delay_alu instid0(VALU_DEP_2) | instskip(NEXT) | instid1(VALU_DEP_1)
	v_add_nc_u32_e32 v59, -1, v61
	v_cndmask_b32_e64 v57, 0, v59, s11
	v_lshrrev_b32_e32 v59, 23, v60
	s_mov_b32 s11, exec_lo
	s_delay_alu instid0(VALU_DEP_2) | instskip(NEXT) | instid1(VALU_DEP_2)
	v_add_nc_u32_e32 v57, v57, v60
	v_xor_b32_e32 v59, 1, v59
	s_delay_alu instid0(VALU_DEP_2) | instskip(NEXT) | instid1(VALU_DEP_1)
	v_and_b32_e32 v51, 0x1fffff, v57
	v_add_nc_u32_e32 v57, v51, v60
                                        ; implicit-def: $vgpr51
	s_delay_alu instid0(VALU_DEP_3)
	v_cmpx_ne_u32_e64 v58, v59
	s_xor_b32 s11, exec_lo, s11
; %bb.2187:                             ;   in Loop: Header=BB6_2080 Depth=2
	s_delay_alu instid0(VALU_DEP_2) | instskip(SKIP_2) | instid1(VALU_DEP_2)
	v_cmp_lt_u32_e32 vcc_lo, 0xffffff, v57
	v_sub_nc_u32_e32 v51, v58, v59
	v_cndmask_b32_e64 v58, 0, 1, vcc_lo
	v_add_co_ci_u32_e32 v51, vcc_lo, 0, v51, vcc_lo
	s_delay_alu instid0(VALU_DEP_2)
	v_lshrrev_b32_e32 v57, v58, v57
; %bb.2188:                             ;   in Loop: Header=BB6_2080 Depth=2
	s_and_not1_saveexec_b32 s11, s11
; %bb.2189:                             ;   in Loop: Header=BB6_2080 Depth=2
	s_delay_alu instid0(VALU_DEP_1)
	v_bfe_u32 v51, v57, 23, 1
; %bb.2190:                             ;   in Loop: Header=BB6_2080 Depth=2
	s_or_b32 exec_lo, exec_lo, s11
	v_lshrrev_b32_e32 v57, 21, v57
	s_delay_alu instid0(VALU_DEP_2) | instskip(SKIP_2) | instid1(VALU_DEP_2)
	v_cmp_gt_i32_e32 vcc_lo, 32, v51
	v_lshrrev_b32_e32 v56, 24, v56
	v_min_i32_e32 v58, 31, v51
	v_dual_cndmask_b32 v57, 3, v57 :: v_dual_and_b32 v56, 0x80, v56
	s_delay_alu instid0(VALU_DEP_1) | instskip(SKIP_1) | instid1(VALU_DEP_2)
	v_or_b32_e32 v51, v51, v57
	v_and_b32_e32 v59, 3, v57
	v_cmp_ne_u32_e32 vcc_lo, 0, v51
	v_lshlrev_b32_e32 v58, 2, v58
	s_delay_alu instid0(VALU_DEP_1) | instskip(NEXT) | instid1(VALU_DEP_1)
	v_or3_b32 v56, v58, v56, v59
	v_cndmask_b32_e32 v51, 0, v56, vcc_lo
.LBB6_2191:                             ;   in Loop: Header=BB6_2080 Depth=2
	s_or_b32 exec_lo, exec_lo, s26
.LBB6_2192:                             ;   in Loop: Header=BB6_2080 Depth=2
	s_delay_alu instid0(SALU_CYCLE_1) | instskip(SKIP_3) | instid1(VALU_DEP_1)
	s_or_b32 exec_lo, exec_lo, s25
	v_and_b32_e32 v57, 0xff, v47
	s_mov_b32 s11, 0
	s_mov_b32 s26, exec_lo
                                        ; implicit-def: $sgpr25
	v_cmpx_lt_i16_e32 0x7f, v57
	s_xor_b32 s26, exec_lo, s26
	s_cbranch_execnz .LBB6_2646
; %bb.2193:                             ;   in Loop: Header=BB6_2080 Depth=2
	s_or_saveexec_b32 s26, s26
	v_mov_b32_e32 v56, s25
	s_xor_b32 exec_lo, exec_lo, s26
	s_cbranch_execnz .LBB6_2649
.LBB6_2194:                             ;   in Loop: Header=BB6_2080 Depth=2
	s_or_b32 exec_lo, exec_lo, s26
	s_and_saveexec_b32 s25, s11
	s_cbranch_execz .LBB6_2196
.LBB6_2195:                             ;   in Loop: Header=BB6_2080 Depth=2
	v_lshrrev_b16 v59, 2, v47
	s_delay_alu instid0(VALU_DEP_1) | instskip(NEXT) | instid1(VALU_DEP_1)
	v_and_b32_e32 v59, 31, v59
	v_cmp_eq_u32_e32 vcc_lo, 0, v59
	v_and_b32_e32 v56, 3, v47
	s_delay_alu instid0(VALU_DEP_1) | instskip(NEXT) | instid1(VALU_DEP_1)
	v_clz_i32_u32_e32 v57, v56
	v_min_u32_e32 v57, 32, v57
	s_delay_alu instid0(VALU_DEP_1) | instskip(SKIP_1) | instid1(VALU_DEP_1)
	v_subrev_nc_u32_e32 v58, 29, v57
	v_sub_nc_u32_e32 v57, 30, v57
	v_dual_cndmask_b32 v57, v59, v57 :: v_dual_lshlrev_b32 v58, v58, v47
	v_lshlrev_b32_e32 v47, 24, v47
	s_delay_alu instid0(VALU_DEP_2) | instskip(NEXT) | instid1(VALU_DEP_3)
	v_and_b32_e32 v58, 3, v58
	v_lshl_add_u32 v57, v57, 23, 0x37800000
	s_delay_alu instid0(VALU_DEP_2) | instskip(NEXT) | instid1(VALU_DEP_1)
	v_dual_cndmask_b32 v56, v56, v58 :: v_dual_and_b32 v47, 0x80000000, v47
	v_lshlrev_b32_e32 v56, 21, v56
	s_delay_alu instid0(VALU_DEP_1)
	v_or3_b32 v56, v47, v57, v56
.LBB6_2196:                             ;   in Loop: Header=BB6_2080 Depth=2
	s_or_b32 exec_lo, exec_lo, s25
	s_waitcnt vmcnt(24) lgkmcnt(24)
	v_and_b32_e32 v57, 0xff, v99
	s_mov_b32 s11, 0
	s_mov_b32 s26, exec_lo
                                        ; implicit-def: $sgpr25
	s_delay_alu instid0(VALU_DEP_1)
	v_cmpx_lt_i16_e32 0x7f, v57
	s_xor_b32 s26, exec_lo, s26
	s_cbranch_execnz .LBB6_2650
; %bb.2197:                             ;   in Loop: Header=BB6_2080 Depth=2
	s_or_saveexec_b32 s26, s26
	v_mov_b32_e32 v47, s25
	s_xor_b32 exec_lo, exec_lo, s26
	s_cbranch_execnz .LBB6_2653
.LBB6_2198:                             ;   in Loop: Header=BB6_2080 Depth=2
	s_or_b32 exec_lo, exec_lo, s26
	s_and_saveexec_b32 s25, s11
	s_cbranch_execz .LBB6_2200
.LBB6_2199:                             ;   in Loop: Header=BB6_2080 Depth=2
	v_and_b32_e32 v47, 3, v99
	v_lshrrev_b16 v59, 2, v99
	s_delay_alu instid0(VALU_DEP_2) | instskip(NEXT) | instid1(VALU_DEP_2)
	v_clz_i32_u32_e32 v57, v47
	v_and_b32_e32 v59, 31, v59
	s_delay_alu instid0(VALU_DEP_2) | instskip(NEXT) | instid1(VALU_DEP_2)
	v_min_u32_e32 v57, 32, v57
	v_cmp_eq_u32_e32 vcc_lo, 0, v59
	s_delay_alu instid0(VALU_DEP_2) | instskip(SKIP_1) | instid1(VALU_DEP_1)
	v_subrev_nc_u32_e32 v58, 29, v57
	v_sub_nc_u32_e32 v57, 30, v57
	v_dual_cndmask_b32 v57, v59, v57 :: v_dual_lshlrev_b32 v58, v58, v99
	v_lshlrev_b32_e32 v99, 24, v99
	s_delay_alu instid0(VALU_DEP_2) | instskip(NEXT) | instid1(VALU_DEP_3)
	v_and_b32_e32 v58, 3, v58
	v_lshl_add_u32 v57, v57, 23, 0x37800000
	s_delay_alu instid0(VALU_DEP_3) | instskip(NEXT) | instid1(VALU_DEP_3)
	v_and_b32_e32 v99, 0x80000000, v99
	v_cndmask_b32_e32 v47, v47, v58, vcc_lo
	s_delay_alu instid0(VALU_DEP_1) | instskip(NEXT) | instid1(VALU_DEP_1)
	v_lshlrev_b32_e32 v47, 21, v47
	v_or3_b32 v47, v99, v57, v47
.LBB6_2200:                             ;   in Loop: Header=BB6_2080 Depth=2
	s_or_b32 exec_lo, exec_lo, s25
	s_delay_alu instid0(VALU_DEP_1) | instskip(NEXT) | instid1(VALU_DEP_1)
	v_mul_f32_e32 v47, v56, v47
	v_and_b32_e32 v99, 0x7f800000, v47
	s_delay_alu instid0(VALU_DEP_1)
	v_cmp_ne_u32_e32 vcc_lo, 0x7f800000, v99
	v_mov_b32_e32 v99, 0x80
	s_and_saveexec_b32 s25, vcc_lo
	s_cbranch_execz .LBB6_2208
; %bb.2201:                             ;   in Loop: Header=BB6_2080 Depth=2
	v_mov_b32_e32 v99, 0
	s_mov_b32 s26, exec_lo
	v_cmpx_ne_u32_e32 0, v47
	s_cbranch_execz .LBB6_2207
; %bb.2202:                             ;   in Loop: Header=BB6_2080 Depth=2
	v_bfe_u32 v99, v47, 23, 8
	s_delay_alu instid0(VALU_DEP_1) | instskip(SKIP_1) | instid1(VALU_DEP_2)
	v_sub_nc_u32_e32 v57, 0x70, v99
	v_cmp_gt_u32_e32 vcc_lo, 0x71, v99
	v_dual_cndmask_b32 v57, 0, v57 :: v_dual_and_b32 v56, 0x7fffff, v47
	s_delay_alu instid0(VALU_DEP_1) | instskip(SKIP_2) | instid1(VALU_DEP_4)
	v_or_b32_e32 v58, 0x800000, v56
	v_cmp_eq_u32_e32 vcc_lo, 0, v99
	v_add_nc_u32_e32 v99, 0xffffff91, v99
	v_cndmask_b32_e64 v57, v57, 0x6f, vcc_lo
	s_delay_alu instid0(VALU_DEP_4) | instskip(NEXT) | instid1(VALU_DEP_3)
	v_cndmask_b32_e32 v56, v58, v56, vcc_lo
	v_cndmask_b32_e64 v99, v99, 0xffffff92, vcc_lo
	s_delay_alu instid0(VALU_DEP_3) | instskip(NEXT) | instid1(VALU_DEP_3)
	v_lshl_add_u32 v58, 0x200000, v57, -1
	v_lshrrev_b32_e32 v59, v57, v56
	v_lshlrev_b32_e64 v61, v57, 0x100000
	s_delay_alu instid0(VALU_DEP_4) | instskip(NEXT) | instid1(VALU_DEP_4)
	v_add_nc_u32_e32 v57, v57, v99
	v_and_b32_e32 v56, v58, v56
	s_delay_alu instid0(VALU_DEP_4) | instskip(NEXT) | instid1(VALU_DEP_2)
	v_bfe_u32 v60, v59, 21, 1
	v_cmp_eq_u32_e64 s11, v56, v61
	s_delay_alu instid0(VALU_DEP_2) | instskip(NEXT) | instid1(VALU_DEP_1)
	v_add_nc_u32_e32 v58, -1, v60
	v_cndmask_b32_e64 v56, 0, v58, s11
	v_lshrrev_b32_e32 v58, 23, v59
	s_mov_b32 s11, exec_lo
	s_delay_alu instid0(VALU_DEP_2) | instskip(NEXT) | instid1(VALU_DEP_2)
	v_add_nc_u32_e32 v56, v56, v59
	v_xor_b32_e32 v58, 1, v58
	s_delay_alu instid0(VALU_DEP_2) | instskip(NEXT) | instid1(VALU_DEP_1)
	v_and_b32_e32 v99, 0x1fffff, v56
	v_add_nc_u32_e32 v56, v99, v59
                                        ; implicit-def: $vgpr99
	s_delay_alu instid0(VALU_DEP_3)
	v_cmpx_ne_u32_e64 v57, v58
	s_xor_b32 s11, exec_lo, s11
; %bb.2203:                             ;   in Loop: Header=BB6_2080 Depth=2
	s_delay_alu instid0(VALU_DEP_2) | instskip(SKIP_2) | instid1(VALU_DEP_2)
	v_cmp_lt_u32_e32 vcc_lo, 0xffffff, v56
	v_sub_nc_u32_e32 v99, v57, v58
	v_cndmask_b32_e64 v57, 0, 1, vcc_lo
	v_add_co_ci_u32_e32 v99, vcc_lo, 0, v99, vcc_lo
	s_delay_alu instid0(VALU_DEP_2)
	v_lshrrev_b32_e32 v56, v57, v56
; %bb.2204:                             ;   in Loop: Header=BB6_2080 Depth=2
	s_and_not1_saveexec_b32 s11, s11
; %bb.2205:                             ;   in Loop: Header=BB6_2080 Depth=2
	s_delay_alu instid0(VALU_DEP_1)
	v_bfe_u32 v99, v56, 23, 1
; %bb.2206:                             ;   in Loop: Header=BB6_2080 Depth=2
	s_or_b32 exec_lo, exec_lo, s11
	v_lshrrev_b32_e32 v56, 21, v56
	s_delay_alu instid0(VALU_DEP_2) | instskip(SKIP_2) | instid1(VALU_DEP_2)
	v_cmp_gt_i32_e32 vcc_lo, 32, v99
	v_lshrrev_b32_e32 v47, 24, v47
	v_min_i32_e32 v57, 31, v99
	v_dual_cndmask_b32 v56, 3, v56 :: v_dual_and_b32 v47, 0x80, v47
	s_delay_alu instid0(VALU_DEP_2) | instskip(NEXT) | instid1(VALU_DEP_2)
	v_lshlrev_b32_e32 v57, 2, v57
	v_or_b32_e32 v99, v99, v56
	s_delay_alu instid0(VALU_DEP_1) | instskip(SKIP_1) | instid1(VALU_DEP_1)
	v_cmp_ne_u32_e32 vcc_lo, 0, v99
	v_and_b32_e32 v58, 3, v56
	v_or3_b32 v47, v57, v47, v58
	s_delay_alu instid0(VALU_DEP_1)
	v_cndmask_b32_e32 v99, 0, v47, vcc_lo
.LBB6_2207:                             ;   in Loop: Header=BB6_2080 Depth=2
	s_or_b32 exec_lo, exec_lo, s26
.LBB6_2208:                             ;   in Loop: Header=BB6_2080 Depth=2
	s_delay_alu instid0(SALU_CYCLE_1) | instskip(SKIP_3) | instid1(VALU_DEP_1)
	s_or_b32 exec_lo, exec_lo, s25
	v_and_b32_e32 v56, 0xff, v46
	s_mov_b32 s11, 0
	s_mov_b32 s26, exec_lo
                                        ; implicit-def: $sgpr25
	v_cmpx_lt_i16_e32 0x7f, v56
	s_xor_b32 s26, exec_lo, s26
	s_cbranch_execnz .LBB6_2654
; %bb.2209:                             ;   in Loop: Header=BB6_2080 Depth=2
	s_or_saveexec_b32 s26, s26
	v_mov_b32_e32 v47, s25
	s_xor_b32 exec_lo, exec_lo, s26
	s_cbranch_execnz .LBB6_2657
.LBB6_2210:                             ;   in Loop: Header=BB6_2080 Depth=2
	s_or_b32 exec_lo, exec_lo, s26
	s_and_saveexec_b32 s25, s11
	s_cbranch_execz .LBB6_2212
.LBB6_2211:                             ;   in Loop: Header=BB6_2080 Depth=2
	v_lshrrev_b16 v58, 2, v46
	s_delay_alu instid0(VALU_DEP_1) | instskip(NEXT) | instid1(VALU_DEP_1)
	v_and_b32_e32 v58, 31, v58
	v_cmp_eq_u32_e32 vcc_lo, 0, v58
	v_and_b32_e32 v47, 3, v46
	s_delay_alu instid0(VALU_DEP_1) | instskip(NEXT) | instid1(VALU_DEP_1)
	v_clz_i32_u32_e32 v56, v47
	v_min_u32_e32 v56, 32, v56
	s_delay_alu instid0(VALU_DEP_1) | instskip(SKIP_1) | instid1(VALU_DEP_1)
	v_subrev_nc_u32_e32 v57, 29, v56
	v_sub_nc_u32_e32 v56, 30, v56
	v_dual_cndmask_b32 v56, v58, v56 :: v_dual_lshlrev_b32 v57, v57, v46
	v_lshlrev_b32_e32 v46, 24, v46
	s_delay_alu instid0(VALU_DEP_2) | instskip(NEXT) | instid1(VALU_DEP_3)
	v_and_b32_e32 v57, 3, v57
	v_lshl_add_u32 v56, v56, 23, 0x37800000
	s_delay_alu instid0(VALU_DEP_2) | instskip(NEXT) | instid1(VALU_DEP_1)
	v_dual_cndmask_b32 v47, v47, v57 :: v_dual_and_b32 v46, 0x80000000, v46
	v_lshlrev_b32_e32 v47, 21, v47
	s_delay_alu instid0(VALU_DEP_1)
	v_or3_b32 v47, v46, v56, v47
.LBB6_2212:                             ;   in Loop: Header=BB6_2080 Depth=2
	s_or_b32 exec_lo, exec_lo, s25
	s_waitcnt vmcnt(23) lgkmcnt(23)
	v_and_b32_e32 v56, 0xff, v102
	s_mov_b32 s11, 0
	s_mov_b32 s26, exec_lo
                                        ; implicit-def: $sgpr25
	s_delay_alu instid0(VALU_DEP_1)
	v_cmpx_lt_i16_e32 0x7f, v56
	s_xor_b32 s26, exec_lo, s26
	s_cbranch_execnz .LBB6_2658
; %bb.2213:                             ;   in Loop: Header=BB6_2080 Depth=2
	s_or_saveexec_b32 s26, s26
	v_mov_b32_e32 v46, s25
	s_xor_b32 exec_lo, exec_lo, s26
	s_cbranch_execnz .LBB6_2661
.LBB6_2214:                             ;   in Loop: Header=BB6_2080 Depth=2
	s_or_b32 exec_lo, exec_lo, s26
	s_and_saveexec_b32 s25, s11
	s_cbranch_execz .LBB6_2216
.LBB6_2215:                             ;   in Loop: Header=BB6_2080 Depth=2
	v_and_b32_e32 v46, 3, v102
	v_lshrrev_b16 v58, 2, v102
	s_delay_alu instid0(VALU_DEP_2) | instskip(NEXT) | instid1(VALU_DEP_2)
	v_clz_i32_u32_e32 v56, v46
	v_and_b32_e32 v58, 31, v58
	s_delay_alu instid0(VALU_DEP_2) | instskip(NEXT) | instid1(VALU_DEP_2)
	v_min_u32_e32 v56, 32, v56
	v_cmp_eq_u32_e32 vcc_lo, 0, v58
	s_delay_alu instid0(VALU_DEP_2) | instskip(SKIP_1) | instid1(VALU_DEP_1)
	v_subrev_nc_u32_e32 v57, 29, v56
	v_sub_nc_u32_e32 v56, 30, v56
	v_dual_cndmask_b32 v56, v58, v56 :: v_dual_lshlrev_b32 v57, v57, v102
	v_lshlrev_b32_e32 v102, 24, v102
	s_delay_alu instid0(VALU_DEP_2) | instskip(NEXT) | instid1(VALU_DEP_3)
	v_and_b32_e32 v57, 3, v57
	v_lshl_add_u32 v56, v56, 23, 0x37800000
	s_delay_alu instid0(VALU_DEP_3) | instskip(NEXT) | instid1(VALU_DEP_3)
	v_and_b32_e32 v102, 0x80000000, v102
	v_cndmask_b32_e32 v46, v46, v57, vcc_lo
	s_delay_alu instid0(VALU_DEP_1) | instskip(NEXT) | instid1(VALU_DEP_1)
	v_lshlrev_b32_e32 v46, 21, v46
	v_or3_b32 v46, v102, v56, v46
.LBB6_2216:                             ;   in Loop: Header=BB6_2080 Depth=2
	s_or_b32 exec_lo, exec_lo, s25
	s_delay_alu instid0(VALU_DEP_1) | instskip(NEXT) | instid1(VALU_DEP_1)
	v_mul_f32_e32 v46, v47, v46
	v_and_b32_e32 v102, 0x7f800000, v46
	s_delay_alu instid0(VALU_DEP_1)
	v_cmp_ne_u32_e32 vcc_lo, 0x7f800000, v102
	v_mov_b32_e32 v102, 0x80
	s_and_saveexec_b32 s25, vcc_lo
	s_cbranch_execz .LBB6_2224
; %bb.2217:                             ;   in Loop: Header=BB6_2080 Depth=2
	v_mov_b32_e32 v102, 0
	s_mov_b32 s26, exec_lo
	v_cmpx_ne_u32_e32 0, v46
	s_cbranch_execz .LBB6_2223
; %bb.2218:                             ;   in Loop: Header=BB6_2080 Depth=2
	v_bfe_u32 v102, v46, 23, 8
	s_delay_alu instid0(VALU_DEP_1) | instskip(SKIP_1) | instid1(VALU_DEP_2)
	v_sub_nc_u32_e32 v56, 0x70, v102
	v_cmp_gt_u32_e32 vcc_lo, 0x71, v102
	v_dual_cndmask_b32 v56, 0, v56 :: v_dual_and_b32 v47, 0x7fffff, v46
	s_delay_alu instid0(VALU_DEP_1) | instskip(SKIP_2) | instid1(VALU_DEP_4)
	v_or_b32_e32 v57, 0x800000, v47
	v_cmp_eq_u32_e32 vcc_lo, 0, v102
	v_add_nc_u32_e32 v102, 0xffffff91, v102
	v_cndmask_b32_e64 v56, v56, 0x6f, vcc_lo
	s_delay_alu instid0(VALU_DEP_4) | instskip(NEXT) | instid1(VALU_DEP_3)
	v_cndmask_b32_e32 v47, v57, v47, vcc_lo
	v_cndmask_b32_e64 v102, v102, 0xffffff92, vcc_lo
	s_delay_alu instid0(VALU_DEP_3) | instskip(NEXT) | instid1(VALU_DEP_3)
	v_lshl_add_u32 v57, 0x200000, v56, -1
	v_lshrrev_b32_e32 v58, v56, v47
	v_lshlrev_b32_e64 v60, v56, 0x100000
	s_delay_alu instid0(VALU_DEP_4) | instskip(NEXT) | instid1(VALU_DEP_4)
	v_add_nc_u32_e32 v56, v56, v102
	v_and_b32_e32 v47, v57, v47
	s_delay_alu instid0(VALU_DEP_4) | instskip(NEXT) | instid1(VALU_DEP_2)
	v_bfe_u32 v59, v58, 21, 1
	v_cmp_eq_u32_e64 s11, v47, v60
	s_delay_alu instid0(VALU_DEP_2) | instskip(NEXT) | instid1(VALU_DEP_1)
	v_add_nc_u32_e32 v57, -1, v59
	v_cndmask_b32_e64 v47, 0, v57, s11
	v_lshrrev_b32_e32 v57, 23, v58
	s_mov_b32 s11, exec_lo
	s_delay_alu instid0(VALU_DEP_2) | instskip(NEXT) | instid1(VALU_DEP_2)
	v_add_nc_u32_e32 v47, v47, v58
	v_xor_b32_e32 v57, 1, v57
	s_delay_alu instid0(VALU_DEP_2) | instskip(NEXT) | instid1(VALU_DEP_1)
	v_and_b32_e32 v102, 0x1fffff, v47
	v_add_nc_u32_e32 v47, v102, v58
                                        ; implicit-def: $vgpr102
	s_delay_alu instid0(VALU_DEP_3)
	v_cmpx_ne_u32_e64 v56, v57
	s_xor_b32 s11, exec_lo, s11
; %bb.2219:                             ;   in Loop: Header=BB6_2080 Depth=2
	s_delay_alu instid0(VALU_DEP_2) | instskip(SKIP_2) | instid1(VALU_DEP_2)
	v_cmp_lt_u32_e32 vcc_lo, 0xffffff, v47
	v_sub_nc_u32_e32 v102, v56, v57
	v_cndmask_b32_e64 v56, 0, 1, vcc_lo
	v_add_co_ci_u32_e32 v102, vcc_lo, 0, v102, vcc_lo
	s_delay_alu instid0(VALU_DEP_2)
	v_lshrrev_b32_e32 v47, v56, v47
; %bb.2220:                             ;   in Loop: Header=BB6_2080 Depth=2
	s_and_not1_saveexec_b32 s11, s11
; %bb.2221:                             ;   in Loop: Header=BB6_2080 Depth=2
	s_delay_alu instid0(VALU_DEP_1)
	v_bfe_u32 v102, v47, 23, 1
; %bb.2222:                             ;   in Loop: Header=BB6_2080 Depth=2
	s_or_b32 exec_lo, exec_lo, s11
	v_lshrrev_b32_e32 v47, 21, v47
	s_delay_alu instid0(VALU_DEP_2) | instskip(SKIP_2) | instid1(VALU_DEP_2)
	v_cmp_gt_i32_e32 vcc_lo, 32, v102
	v_lshrrev_b32_e32 v46, 24, v46
	v_min_i32_e32 v56, 31, v102
	v_dual_cndmask_b32 v47, 3, v47 :: v_dual_and_b32 v46, 0x80, v46
	s_delay_alu instid0(VALU_DEP_2) | instskip(NEXT) | instid1(VALU_DEP_2)
	v_lshlrev_b32_e32 v56, 2, v56
	v_or_b32_e32 v102, v102, v47
	s_delay_alu instid0(VALU_DEP_1) | instskip(SKIP_1) | instid1(VALU_DEP_1)
	v_cmp_ne_u32_e32 vcc_lo, 0, v102
	v_and_b32_e32 v57, 3, v47
	v_or3_b32 v46, v56, v46, v57
	s_delay_alu instid0(VALU_DEP_1)
	v_cndmask_b32_e32 v102, 0, v46, vcc_lo
.LBB6_2223:                             ;   in Loop: Header=BB6_2080 Depth=2
	s_or_b32 exec_lo, exec_lo, s26
.LBB6_2224:                             ;   in Loop: Header=BB6_2080 Depth=2
	s_delay_alu instid0(SALU_CYCLE_1) | instskip(SKIP_3) | instid1(VALU_DEP_1)
	s_or_b32 exec_lo, exec_lo, s25
	v_and_b32_e32 v47, 0xff, v45
	s_mov_b32 s11, 0
	s_mov_b32 s26, exec_lo
                                        ; implicit-def: $sgpr25
	v_cmpx_lt_i16_e32 0x7f, v47
	s_xor_b32 s26, exec_lo, s26
	s_cbranch_execnz .LBB6_2662
; %bb.2225:                             ;   in Loop: Header=BB6_2080 Depth=2
	s_or_saveexec_b32 s26, s26
	v_mov_b32_e32 v46, s25
	s_xor_b32 exec_lo, exec_lo, s26
	s_cbranch_execnz .LBB6_2665
.LBB6_2226:                             ;   in Loop: Header=BB6_2080 Depth=2
	s_or_b32 exec_lo, exec_lo, s26
	s_and_saveexec_b32 s25, s11
	s_cbranch_execz .LBB6_2228
.LBB6_2227:                             ;   in Loop: Header=BB6_2080 Depth=2
	v_lshrrev_b16 v57, 2, v45
	s_delay_alu instid0(VALU_DEP_1) | instskip(NEXT) | instid1(VALU_DEP_1)
	v_and_b32_e32 v57, 31, v57
	v_cmp_eq_u32_e32 vcc_lo, 0, v57
	v_and_b32_e32 v46, 3, v45
	s_delay_alu instid0(VALU_DEP_1) | instskip(NEXT) | instid1(VALU_DEP_1)
	v_clz_i32_u32_e32 v47, v46
	v_min_u32_e32 v47, 32, v47
	s_delay_alu instid0(VALU_DEP_1) | instskip(SKIP_1) | instid1(VALU_DEP_1)
	v_subrev_nc_u32_e32 v56, 29, v47
	v_sub_nc_u32_e32 v47, 30, v47
	v_dual_cndmask_b32 v47, v57, v47 :: v_dual_lshlrev_b32 v56, v56, v45
	v_lshlrev_b32_e32 v45, 24, v45
	s_delay_alu instid0(VALU_DEP_2) | instskip(NEXT) | instid1(VALU_DEP_3)
	v_and_b32_e32 v56, 3, v56
	v_lshl_add_u32 v47, v47, 23, 0x37800000
	s_delay_alu instid0(VALU_DEP_2) | instskip(NEXT) | instid1(VALU_DEP_1)
	v_dual_cndmask_b32 v46, v46, v56 :: v_dual_and_b32 v45, 0x80000000, v45
	v_lshlrev_b32_e32 v46, 21, v46
	s_delay_alu instid0(VALU_DEP_1)
	v_or3_b32 v46, v45, v47, v46
.LBB6_2228:                             ;   in Loop: Header=BB6_2080 Depth=2
	s_or_b32 exec_lo, exec_lo, s25
	s_waitcnt vmcnt(22) lgkmcnt(22)
	v_and_b32_e32 v47, 0xff, v148
	s_mov_b32 s11, 0
	s_mov_b32 s26, exec_lo
                                        ; implicit-def: $sgpr25
	s_delay_alu instid0(VALU_DEP_1)
	v_cmpx_lt_i16_e32 0x7f, v47
	s_xor_b32 s26, exec_lo, s26
	s_cbranch_execnz .LBB6_2666
; %bb.2229:                             ;   in Loop: Header=BB6_2080 Depth=2
	s_or_saveexec_b32 s26, s26
	v_mov_b32_e32 v45, s25
	s_xor_b32 exec_lo, exec_lo, s26
	s_cbranch_execnz .LBB6_2669
.LBB6_2230:                             ;   in Loop: Header=BB6_2080 Depth=2
	s_or_b32 exec_lo, exec_lo, s26
	s_and_saveexec_b32 s25, s11
	s_cbranch_execz .LBB6_2232
.LBB6_2231:                             ;   in Loop: Header=BB6_2080 Depth=2
	v_and_b32_e32 v45, 3, v148
	v_lshrrev_b16 v57, 2, v148
	s_delay_alu instid0(VALU_DEP_2) | instskip(NEXT) | instid1(VALU_DEP_2)
	v_clz_i32_u32_e32 v47, v45
	v_and_b32_e32 v57, 31, v57
	s_delay_alu instid0(VALU_DEP_2) | instskip(NEXT) | instid1(VALU_DEP_2)
	v_min_u32_e32 v47, 32, v47
	v_cmp_eq_u32_e32 vcc_lo, 0, v57
	s_delay_alu instid0(VALU_DEP_2) | instskip(SKIP_1) | instid1(VALU_DEP_1)
	v_subrev_nc_u32_e32 v56, 29, v47
	v_sub_nc_u32_e32 v47, 30, v47
	v_dual_cndmask_b32 v47, v57, v47 :: v_dual_lshlrev_b32 v56, v56, v148
	v_lshlrev_b32_e32 v148, 24, v148
	s_delay_alu instid0(VALU_DEP_2) | instskip(NEXT) | instid1(VALU_DEP_3)
	v_and_b32_e32 v56, 3, v56
	v_lshl_add_u32 v47, v47, 23, 0x37800000
	s_delay_alu instid0(VALU_DEP_3) | instskip(NEXT) | instid1(VALU_DEP_3)
	v_and_b32_e32 v148, 0x80000000, v148
	v_cndmask_b32_e32 v45, v45, v56, vcc_lo
	s_delay_alu instid0(VALU_DEP_1) | instskip(NEXT) | instid1(VALU_DEP_1)
	v_lshlrev_b32_e32 v45, 21, v45
	v_or3_b32 v45, v148, v47, v45
.LBB6_2232:                             ;   in Loop: Header=BB6_2080 Depth=2
	s_or_b32 exec_lo, exec_lo, s25
	s_delay_alu instid0(VALU_DEP_1) | instskip(NEXT) | instid1(VALU_DEP_1)
	v_mul_f32_e32 v45, v46, v45
	v_and_b32_e32 v148, 0x7f800000, v45
	s_delay_alu instid0(VALU_DEP_1)
	v_cmp_ne_u32_e32 vcc_lo, 0x7f800000, v148
	v_mov_b32_e32 v148, 0x80
	s_and_saveexec_b32 s25, vcc_lo
	s_cbranch_execz .LBB6_2240
; %bb.2233:                             ;   in Loop: Header=BB6_2080 Depth=2
	v_mov_b32_e32 v148, 0
	s_mov_b32 s26, exec_lo
	v_cmpx_ne_u32_e32 0, v45
	s_cbranch_execz .LBB6_2239
; %bb.2234:                             ;   in Loop: Header=BB6_2080 Depth=2
	v_bfe_u32 v148, v45, 23, 8
	s_delay_alu instid0(VALU_DEP_1) | instskip(SKIP_1) | instid1(VALU_DEP_2)
	v_sub_nc_u32_e32 v47, 0x70, v148
	v_cmp_gt_u32_e32 vcc_lo, 0x71, v148
	v_dual_cndmask_b32 v47, 0, v47 :: v_dual_and_b32 v46, 0x7fffff, v45
	s_delay_alu instid0(VALU_DEP_1) | instskip(SKIP_2) | instid1(VALU_DEP_4)
	v_or_b32_e32 v56, 0x800000, v46
	v_cmp_eq_u32_e32 vcc_lo, 0, v148
	v_add_nc_u32_e32 v148, 0xffffff91, v148
	v_cndmask_b32_e64 v47, v47, 0x6f, vcc_lo
	s_delay_alu instid0(VALU_DEP_2) | instskip(SKIP_1) | instid1(VALU_DEP_3)
	v_cndmask_b32_e64 v148, v148, 0xffffff92, vcc_lo
	v_cndmask_b32_e32 v46, v56, v46, vcc_lo
	v_lshl_add_u32 v56, 0x200000, v47, -1
	v_lshlrev_b32_e64 v59, v47, 0x100000
	s_delay_alu instid0(VALU_DEP_3) | instskip(SKIP_1) | instid1(VALU_DEP_4)
	v_lshrrev_b32_e32 v57, v47, v46
	v_add_nc_u32_e32 v47, v47, v148
	v_and_b32_e32 v46, v56, v46
	s_delay_alu instid0(VALU_DEP_3) | instskip(NEXT) | instid1(VALU_DEP_2)
	v_bfe_u32 v58, v57, 21, 1
	v_cmp_eq_u32_e64 s11, v46, v59
	s_delay_alu instid0(VALU_DEP_2) | instskip(NEXT) | instid1(VALU_DEP_1)
	v_add_nc_u32_e32 v56, -1, v58
	v_cndmask_b32_e64 v46, 0, v56, s11
	v_lshrrev_b32_e32 v56, 23, v57
	s_mov_b32 s11, exec_lo
	s_delay_alu instid0(VALU_DEP_2) | instskip(NEXT) | instid1(VALU_DEP_2)
	v_add_nc_u32_e32 v46, v46, v57
	v_xor_b32_e32 v56, 1, v56
	s_delay_alu instid0(VALU_DEP_2) | instskip(NEXT) | instid1(VALU_DEP_1)
	v_and_b32_e32 v148, 0x1fffff, v46
	v_add_nc_u32_e32 v46, v148, v57
                                        ; implicit-def: $vgpr148
	s_delay_alu instid0(VALU_DEP_3)
	v_cmpx_ne_u32_e64 v47, v56
	s_xor_b32 s11, exec_lo, s11
; %bb.2235:                             ;   in Loop: Header=BB6_2080 Depth=2
	s_delay_alu instid0(VALU_DEP_2) | instskip(SKIP_2) | instid1(VALU_DEP_2)
	v_cmp_lt_u32_e32 vcc_lo, 0xffffff, v46
	v_sub_nc_u32_e32 v148, v47, v56
	v_cndmask_b32_e64 v47, 0, 1, vcc_lo
	v_add_co_ci_u32_e32 v148, vcc_lo, 0, v148, vcc_lo
	s_delay_alu instid0(VALU_DEP_2)
	v_lshrrev_b32_e32 v46, v47, v46
; %bb.2236:                             ;   in Loop: Header=BB6_2080 Depth=2
	s_and_not1_saveexec_b32 s11, s11
; %bb.2237:                             ;   in Loop: Header=BB6_2080 Depth=2
	s_delay_alu instid0(VALU_DEP_1)
	v_bfe_u32 v148, v46, 23, 1
; %bb.2238:                             ;   in Loop: Header=BB6_2080 Depth=2
	s_or_b32 exec_lo, exec_lo, s11
	v_lshrrev_b32_e32 v46, 21, v46
	s_delay_alu instid0(VALU_DEP_2) | instskip(SKIP_2) | instid1(VALU_DEP_2)
	v_cmp_gt_i32_e32 vcc_lo, 32, v148
	v_lshrrev_b32_e32 v45, 24, v45
	v_min_i32_e32 v47, 31, v148
	v_dual_cndmask_b32 v46, 3, v46 :: v_dual_and_b32 v45, 0x80, v45
	s_delay_alu instid0(VALU_DEP_1) | instskip(SKIP_1) | instid1(VALU_DEP_2)
	v_or_b32_e32 v148, v148, v46
	v_and_b32_e32 v56, 3, v46
	v_cmp_ne_u32_e32 vcc_lo, 0, v148
	v_lshlrev_b32_e32 v47, 2, v47
	s_delay_alu instid0(VALU_DEP_1) | instskip(NEXT) | instid1(VALU_DEP_1)
	v_or3_b32 v45, v47, v45, v56
	v_cndmask_b32_e32 v148, 0, v45, vcc_lo
.LBB6_2239:                             ;   in Loop: Header=BB6_2080 Depth=2
	s_or_b32 exec_lo, exec_lo, s26
.LBB6_2240:                             ;   in Loop: Header=BB6_2080 Depth=2
	s_delay_alu instid0(SALU_CYCLE_1) | instskip(SKIP_3) | instid1(VALU_DEP_1)
	s_or_b32 exec_lo, exec_lo, s25
	v_and_b32_e32 v46, 0xff, v44
	s_mov_b32 s11, 0
	s_mov_b32 s26, exec_lo
                                        ; implicit-def: $sgpr25
	v_cmpx_lt_i16_e32 0x7f, v46
	s_xor_b32 s26, exec_lo, s26
	s_cbranch_execnz .LBB6_2670
; %bb.2241:                             ;   in Loop: Header=BB6_2080 Depth=2
	s_or_saveexec_b32 s26, s26
	v_mov_b32_e32 v45, s25
	s_xor_b32 exec_lo, exec_lo, s26
	s_cbranch_execnz .LBB6_2673
.LBB6_2242:                             ;   in Loop: Header=BB6_2080 Depth=2
	s_or_b32 exec_lo, exec_lo, s26
	s_and_saveexec_b32 s25, s11
	s_cbranch_execz .LBB6_2244
.LBB6_2243:                             ;   in Loop: Header=BB6_2080 Depth=2
	v_lshrrev_b16 v56, 2, v44
	s_delay_alu instid0(VALU_DEP_1) | instskip(NEXT) | instid1(VALU_DEP_1)
	v_and_b32_e32 v56, 31, v56
	v_cmp_eq_u32_e32 vcc_lo, 0, v56
	v_and_b32_e32 v45, 3, v44
	s_delay_alu instid0(VALU_DEP_1) | instskip(NEXT) | instid1(VALU_DEP_1)
	v_clz_i32_u32_e32 v46, v45
	v_min_u32_e32 v46, 32, v46
	s_delay_alu instid0(VALU_DEP_1) | instskip(SKIP_1) | instid1(VALU_DEP_1)
	v_subrev_nc_u32_e32 v47, 29, v46
	v_sub_nc_u32_e32 v46, 30, v46
	v_dual_cndmask_b32 v46, v56, v46 :: v_dual_lshlrev_b32 v47, v47, v44
	v_lshlrev_b32_e32 v44, 24, v44
	s_delay_alu instid0(VALU_DEP_2) | instskip(NEXT) | instid1(VALU_DEP_3)
	v_and_b32_e32 v47, 3, v47
	v_lshl_add_u32 v46, v46, 23, 0x37800000
	s_delay_alu instid0(VALU_DEP_2) | instskip(NEXT) | instid1(VALU_DEP_1)
	v_dual_cndmask_b32 v45, v45, v47 :: v_dual_and_b32 v44, 0x80000000, v44
	v_lshlrev_b32_e32 v45, 21, v45
	s_delay_alu instid0(VALU_DEP_1)
	v_or3_b32 v45, v44, v46, v45
.LBB6_2244:                             ;   in Loop: Header=BB6_2080 Depth=2
	s_or_b32 exec_lo, exec_lo, s25
	s_waitcnt vmcnt(21) lgkmcnt(21)
	v_and_b32_e32 v46, 0xff, v151
	s_mov_b32 s11, 0
	s_mov_b32 s26, exec_lo
                                        ; implicit-def: $sgpr25
	s_delay_alu instid0(VALU_DEP_1)
	v_cmpx_lt_i16_e32 0x7f, v46
	s_xor_b32 s26, exec_lo, s26
	s_cbranch_execnz .LBB6_2674
; %bb.2245:                             ;   in Loop: Header=BB6_2080 Depth=2
	s_or_saveexec_b32 s26, s26
	v_mov_b32_e32 v44, s25
	s_xor_b32 exec_lo, exec_lo, s26
	s_cbranch_execnz .LBB6_2677
.LBB6_2246:                             ;   in Loop: Header=BB6_2080 Depth=2
	s_or_b32 exec_lo, exec_lo, s26
	s_and_saveexec_b32 s25, s11
	s_cbranch_execz .LBB6_2248
.LBB6_2247:                             ;   in Loop: Header=BB6_2080 Depth=2
	v_and_b32_e32 v44, 3, v151
	v_lshrrev_b16 v56, 2, v151
	s_delay_alu instid0(VALU_DEP_2) | instskip(NEXT) | instid1(VALU_DEP_2)
	v_clz_i32_u32_e32 v46, v44
	v_and_b32_e32 v56, 31, v56
	s_delay_alu instid0(VALU_DEP_2) | instskip(NEXT) | instid1(VALU_DEP_2)
	v_min_u32_e32 v46, 32, v46
	v_cmp_eq_u32_e32 vcc_lo, 0, v56
	s_delay_alu instid0(VALU_DEP_2) | instskip(SKIP_1) | instid1(VALU_DEP_1)
	v_subrev_nc_u32_e32 v47, 29, v46
	v_sub_nc_u32_e32 v46, 30, v46
	v_dual_cndmask_b32 v46, v56, v46 :: v_dual_lshlrev_b32 v47, v47, v151
	v_lshlrev_b32_e32 v151, 24, v151
	s_delay_alu instid0(VALU_DEP_2) | instskip(NEXT) | instid1(VALU_DEP_3)
	v_and_b32_e32 v47, 3, v47
	v_lshl_add_u32 v46, v46, 23, 0x37800000
	s_delay_alu instid0(VALU_DEP_3) | instskip(NEXT) | instid1(VALU_DEP_3)
	v_and_b32_e32 v151, 0x80000000, v151
	v_cndmask_b32_e32 v44, v44, v47, vcc_lo
	s_delay_alu instid0(VALU_DEP_1) | instskip(NEXT) | instid1(VALU_DEP_1)
	v_lshlrev_b32_e32 v44, 21, v44
	v_or3_b32 v44, v151, v46, v44
.LBB6_2248:                             ;   in Loop: Header=BB6_2080 Depth=2
	s_or_b32 exec_lo, exec_lo, s25
	s_delay_alu instid0(VALU_DEP_1) | instskip(NEXT) | instid1(VALU_DEP_1)
	v_mul_f32_e32 v44, v45, v44
	v_and_b32_e32 v151, 0x7f800000, v44
	s_delay_alu instid0(VALU_DEP_1)
	v_cmp_ne_u32_e32 vcc_lo, 0x7f800000, v151
	v_mov_b32_e32 v151, 0x80
	s_and_saveexec_b32 s25, vcc_lo
	s_cbranch_execz .LBB6_2256
; %bb.2249:                             ;   in Loop: Header=BB6_2080 Depth=2
	v_mov_b32_e32 v151, 0
	s_mov_b32 s26, exec_lo
	v_cmpx_ne_u32_e32 0, v44
	s_cbranch_execz .LBB6_2255
; %bb.2250:                             ;   in Loop: Header=BB6_2080 Depth=2
	v_bfe_u32 v151, v44, 23, 8
	s_delay_alu instid0(VALU_DEP_1) | instskip(SKIP_1) | instid1(VALU_DEP_2)
	v_sub_nc_u32_e32 v46, 0x70, v151
	v_cmp_gt_u32_e32 vcc_lo, 0x71, v151
	v_dual_cndmask_b32 v46, 0, v46 :: v_dual_and_b32 v45, 0x7fffff, v44
	s_delay_alu instid0(VALU_DEP_1) | instskip(SKIP_2) | instid1(VALU_DEP_4)
	v_or_b32_e32 v47, 0x800000, v45
	v_cmp_eq_u32_e32 vcc_lo, 0, v151
	v_add_nc_u32_e32 v151, 0xffffff91, v151
	v_cndmask_b32_e64 v46, v46, 0x6f, vcc_lo
	s_delay_alu instid0(VALU_DEP_2) | instskip(SKIP_1) | instid1(VALU_DEP_3)
	v_cndmask_b32_e64 v151, v151, 0xffffff92, vcc_lo
	v_cndmask_b32_e32 v45, v47, v45, vcc_lo
	v_lshl_add_u32 v47, 0x200000, v46, -1
	v_lshlrev_b32_e64 v58, v46, 0x100000
	s_delay_alu instid0(VALU_DEP_3) | instskip(SKIP_1) | instid1(VALU_DEP_4)
	v_lshrrev_b32_e32 v56, v46, v45
	v_add_nc_u32_e32 v46, v46, v151
	v_and_b32_e32 v45, v47, v45
	s_delay_alu instid0(VALU_DEP_3) | instskip(NEXT) | instid1(VALU_DEP_2)
	v_bfe_u32 v57, v56, 21, 1
	v_cmp_eq_u32_e64 s11, v45, v58
	s_delay_alu instid0(VALU_DEP_2) | instskip(NEXT) | instid1(VALU_DEP_1)
	v_add_nc_u32_e32 v47, -1, v57
	v_cndmask_b32_e64 v45, 0, v47, s11
	v_lshrrev_b32_e32 v47, 23, v56
	s_mov_b32 s11, exec_lo
	s_delay_alu instid0(VALU_DEP_2) | instskip(NEXT) | instid1(VALU_DEP_2)
	v_add_nc_u32_e32 v45, v45, v56
	v_xor_b32_e32 v47, 1, v47
	s_delay_alu instid0(VALU_DEP_2) | instskip(NEXT) | instid1(VALU_DEP_1)
	v_and_b32_e32 v151, 0x1fffff, v45
	v_add_nc_u32_e32 v45, v151, v56
                                        ; implicit-def: $vgpr151
	s_delay_alu instid0(VALU_DEP_3)
	v_cmpx_ne_u32_e64 v46, v47
	s_xor_b32 s11, exec_lo, s11
; %bb.2251:                             ;   in Loop: Header=BB6_2080 Depth=2
	s_delay_alu instid0(VALU_DEP_2) | instskip(SKIP_2) | instid1(VALU_DEP_2)
	v_cmp_lt_u32_e32 vcc_lo, 0xffffff, v45
	v_sub_nc_u32_e32 v151, v46, v47
	v_cndmask_b32_e64 v46, 0, 1, vcc_lo
	v_add_co_ci_u32_e32 v151, vcc_lo, 0, v151, vcc_lo
	s_delay_alu instid0(VALU_DEP_2)
	v_lshrrev_b32_e32 v45, v46, v45
; %bb.2252:                             ;   in Loop: Header=BB6_2080 Depth=2
	s_and_not1_saveexec_b32 s11, s11
; %bb.2253:                             ;   in Loop: Header=BB6_2080 Depth=2
	s_delay_alu instid0(VALU_DEP_1)
	v_bfe_u32 v151, v45, 23, 1
; %bb.2254:                             ;   in Loop: Header=BB6_2080 Depth=2
	s_or_b32 exec_lo, exec_lo, s11
	v_lshrrev_b32_e32 v45, 21, v45
	s_delay_alu instid0(VALU_DEP_2) | instskip(SKIP_2) | instid1(VALU_DEP_2)
	v_cmp_gt_i32_e32 vcc_lo, 32, v151
	v_lshrrev_b32_e32 v44, 24, v44
	v_min_i32_e32 v46, 31, v151
	v_dual_cndmask_b32 v45, 3, v45 :: v_dual_and_b32 v44, 0x80, v44
	s_delay_alu instid0(VALU_DEP_1) | instskip(SKIP_1) | instid1(VALU_DEP_2)
	v_or_b32_e32 v151, v151, v45
	v_and_b32_e32 v47, 3, v45
	v_cmp_ne_u32_e32 vcc_lo, 0, v151
	v_lshlrev_b32_e32 v46, 2, v46
	s_delay_alu instid0(VALU_DEP_1) | instskip(NEXT) | instid1(VALU_DEP_1)
	v_or3_b32 v44, v46, v44, v47
	v_cndmask_b32_e32 v151, 0, v44, vcc_lo
.LBB6_2255:                             ;   in Loop: Header=BB6_2080 Depth=2
	s_or_b32 exec_lo, exec_lo, s26
.LBB6_2256:                             ;   in Loop: Header=BB6_2080 Depth=2
	s_delay_alu instid0(SALU_CYCLE_1) | instskip(SKIP_3) | instid1(VALU_DEP_1)
	s_or_b32 exec_lo, exec_lo, s25
	v_and_b32_e32 v45, 0xff, v43
	s_mov_b32 s11, 0
	s_mov_b32 s26, exec_lo
                                        ; implicit-def: $sgpr25
	v_cmpx_lt_i16_e32 0x7f, v45
	s_xor_b32 s26, exec_lo, s26
	s_cbranch_execnz .LBB6_2678
; %bb.2257:                             ;   in Loop: Header=BB6_2080 Depth=2
	s_or_saveexec_b32 s26, s26
	v_mov_b32_e32 v44, s25
	s_xor_b32 exec_lo, exec_lo, s26
	s_cbranch_execnz .LBB6_2681
.LBB6_2258:                             ;   in Loop: Header=BB6_2080 Depth=2
	s_or_b32 exec_lo, exec_lo, s26
	s_and_saveexec_b32 s25, s11
	s_cbranch_execz .LBB6_2260
.LBB6_2259:                             ;   in Loop: Header=BB6_2080 Depth=2
	v_lshrrev_b16 v47, 2, v43
	s_delay_alu instid0(VALU_DEP_1) | instskip(NEXT) | instid1(VALU_DEP_1)
	v_and_b32_e32 v47, 31, v47
	v_cmp_eq_u32_e32 vcc_lo, 0, v47
	v_and_b32_e32 v44, 3, v43
	s_delay_alu instid0(VALU_DEP_1) | instskip(NEXT) | instid1(VALU_DEP_1)
	v_clz_i32_u32_e32 v45, v44
	v_min_u32_e32 v45, 32, v45
	s_delay_alu instid0(VALU_DEP_1) | instskip(SKIP_1) | instid1(VALU_DEP_1)
	v_subrev_nc_u32_e32 v46, 29, v45
	v_sub_nc_u32_e32 v45, 30, v45
	v_dual_cndmask_b32 v45, v47, v45 :: v_dual_lshlrev_b32 v46, v46, v43
	v_lshlrev_b32_e32 v43, 24, v43
	s_delay_alu instid0(VALU_DEP_2) | instskip(NEXT) | instid1(VALU_DEP_3)
	v_and_b32_e32 v46, 3, v46
	v_lshl_add_u32 v45, v45, 23, 0x37800000
	s_delay_alu instid0(VALU_DEP_2) | instskip(NEXT) | instid1(VALU_DEP_1)
	v_dual_cndmask_b32 v44, v44, v46 :: v_dual_and_b32 v43, 0x80000000, v43
	v_lshlrev_b32_e32 v44, 21, v44
	s_delay_alu instid0(VALU_DEP_1)
	v_or3_b32 v44, v43, v45, v44
.LBB6_2260:                             ;   in Loop: Header=BB6_2080 Depth=2
	s_or_b32 exec_lo, exec_lo, s25
	s_waitcnt vmcnt(20) lgkmcnt(20)
	v_and_b32_e32 v45, 0xff, v162
	s_mov_b32 s11, 0
	s_mov_b32 s26, exec_lo
                                        ; implicit-def: $sgpr25
	s_delay_alu instid0(VALU_DEP_1)
	v_cmpx_lt_i16_e32 0x7f, v45
	s_xor_b32 s26, exec_lo, s26
	s_cbranch_execnz .LBB6_2682
; %bb.2261:                             ;   in Loop: Header=BB6_2080 Depth=2
	s_or_saveexec_b32 s26, s26
	v_mov_b32_e32 v43, s25
	s_xor_b32 exec_lo, exec_lo, s26
	s_cbranch_execnz .LBB6_2685
.LBB6_2262:                             ;   in Loop: Header=BB6_2080 Depth=2
	s_or_b32 exec_lo, exec_lo, s26
	s_and_saveexec_b32 s25, s11
	s_cbranch_execz .LBB6_2264
.LBB6_2263:                             ;   in Loop: Header=BB6_2080 Depth=2
	v_and_b32_e32 v43, 3, v162
	v_lshrrev_b16 v47, 2, v162
	s_delay_alu instid0(VALU_DEP_2) | instskip(NEXT) | instid1(VALU_DEP_2)
	v_clz_i32_u32_e32 v45, v43
	v_and_b32_e32 v47, 31, v47
	s_delay_alu instid0(VALU_DEP_2) | instskip(NEXT) | instid1(VALU_DEP_2)
	v_min_u32_e32 v45, 32, v45
	v_cmp_eq_u32_e32 vcc_lo, 0, v47
	s_delay_alu instid0(VALU_DEP_2) | instskip(SKIP_1) | instid1(VALU_DEP_1)
	v_subrev_nc_u32_e32 v46, 29, v45
	v_sub_nc_u32_e32 v45, 30, v45
	v_dual_cndmask_b32 v45, v47, v45 :: v_dual_lshlrev_b32 v46, v46, v162
	v_lshlrev_b32_e32 v162, 24, v162
	s_delay_alu instid0(VALU_DEP_2) | instskip(NEXT) | instid1(VALU_DEP_3)
	v_and_b32_e32 v46, 3, v46
	v_lshl_add_u32 v45, v45, 23, 0x37800000
	s_delay_alu instid0(VALU_DEP_3) | instskip(NEXT) | instid1(VALU_DEP_3)
	v_and_b32_e32 v162, 0x80000000, v162
	v_cndmask_b32_e32 v43, v43, v46, vcc_lo
	s_delay_alu instid0(VALU_DEP_1) | instskip(NEXT) | instid1(VALU_DEP_1)
	v_lshlrev_b32_e32 v43, 21, v43
	v_or3_b32 v43, v162, v45, v43
.LBB6_2264:                             ;   in Loop: Header=BB6_2080 Depth=2
	s_or_b32 exec_lo, exec_lo, s25
	s_delay_alu instid0(VALU_DEP_1) | instskip(NEXT) | instid1(VALU_DEP_1)
	v_mul_f32_e32 v43, v44, v43
	v_and_b32_e32 v162, 0x7f800000, v43
	s_delay_alu instid0(VALU_DEP_1)
	v_cmp_ne_u32_e32 vcc_lo, 0x7f800000, v162
	v_mov_b32_e32 v162, 0x80
	s_and_saveexec_b32 s25, vcc_lo
	s_cbranch_execz .LBB6_2272
; %bb.2265:                             ;   in Loop: Header=BB6_2080 Depth=2
	v_mov_b32_e32 v162, 0
	s_mov_b32 s26, exec_lo
	v_cmpx_ne_u32_e32 0, v43
	s_cbranch_execz .LBB6_2271
; %bb.2266:                             ;   in Loop: Header=BB6_2080 Depth=2
	v_bfe_u32 v162, v43, 23, 8
	s_delay_alu instid0(VALU_DEP_1) | instskip(SKIP_1) | instid1(VALU_DEP_2)
	v_sub_nc_u32_e32 v45, 0x70, v162
	v_cmp_gt_u32_e32 vcc_lo, 0x71, v162
	v_dual_cndmask_b32 v45, 0, v45 :: v_dual_and_b32 v44, 0x7fffff, v43
	s_delay_alu instid0(VALU_DEP_1) | instskip(SKIP_2) | instid1(VALU_DEP_4)
	v_or_b32_e32 v46, 0x800000, v44
	v_cmp_eq_u32_e32 vcc_lo, 0, v162
	v_add_nc_u32_e32 v162, 0xffffff91, v162
	v_cndmask_b32_e64 v45, v45, 0x6f, vcc_lo
	s_delay_alu instid0(VALU_DEP_2) | instskip(SKIP_1) | instid1(VALU_DEP_3)
	v_cndmask_b32_e64 v162, v162, 0xffffff92, vcc_lo
	v_cndmask_b32_e32 v44, v46, v44, vcc_lo
	v_lshl_add_u32 v46, 0x200000, v45, -1
	v_lshlrev_b32_e64 v57, v45, 0x100000
	s_delay_alu instid0(VALU_DEP_3) | instskip(SKIP_1) | instid1(VALU_DEP_4)
	v_lshrrev_b32_e32 v47, v45, v44
	v_add_nc_u32_e32 v45, v45, v162
	v_and_b32_e32 v44, v46, v44
	s_delay_alu instid0(VALU_DEP_3) | instskip(NEXT) | instid1(VALU_DEP_2)
	v_bfe_u32 v56, v47, 21, 1
	v_cmp_eq_u32_e64 s11, v44, v57
	s_delay_alu instid0(VALU_DEP_2) | instskip(NEXT) | instid1(VALU_DEP_1)
	v_add_nc_u32_e32 v46, -1, v56
	v_cndmask_b32_e64 v44, 0, v46, s11
	v_lshrrev_b32_e32 v46, 23, v47
	s_mov_b32 s11, exec_lo
	s_delay_alu instid0(VALU_DEP_2) | instskip(NEXT) | instid1(VALU_DEP_2)
	v_add_nc_u32_e32 v44, v44, v47
	v_xor_b32_e32 v46, 1, v46
	s_delay_alu instid0(VALU_DEP_2) | instskip(NEXT) | instid1(VALU_DEP_1)
	v_and_b32_e32 v162, 0x1fffff, v44
	v_add_nc_u32_e32 v44, v162, v47
                                        ; implicit-def: $vgpr162
	s_delay_alu instid0(VALU_DEP_3)
	v_cmpx_ne_u32_e64 v45, v46
	s_xor_b32 s11, exec_lo, s11
; %bb.2267:                             ;   in Loop: Header=BB6_2080 Depth=2
	s_delay_alu instid0(VALU_DEP_2) | instskip(SKIP_2) | instid1(VALU_DEP_2)
	v_cmp_lt_u32_e32 vcc_lo, 0xffffff, v44
	v_sub_nc_u32_e32 v162, v45, v46
	v_cndmask_b32_e64 v45, 0, 1, vcc_lo
	v_add_co_ci_u32_e32 v162, vcc_lo, 0, v162, vcc_lo
	s_delay_alu instid0(VALU_DEP_2)
	v_lshrrev_b32_e32 v44, v45, v44
; %bb.2268:                             ;   in Loop: Header=BB6_2080 Depth=2
	s_and_not1_saveexec_b32 s11, s11
; %bb.2269:                             ;   in Loop: Header=BB6_2080 Depth=2
	s_delay_alu instid0(VALU_DEP_1)
	v_bfe_u32 v162, v44, 23, 1
; %bb.2270:                             ;   in Loop: Header=BB6_2080 Depth=2
	s_or_b32 exec_lo, exec_lo, s11
	v_lshrrev_b32_e32 v44, 21, v44
	s_delay_alu instid0(VALU_DEP_2) | instskip(SKIP_2) | instid1(VALU_DEP_2)
	v_cmp_gt_i32_e32 vcc_lo, 32, v162
	v_lshrrev_b32_e32 v43, 24, v43
	v_min_i32_e32 v45, 31, v162
	v_dual_cndmask_b32 v44, 3, v44 :: v_dual_and_b32 v43, 0x80, v43
	s_delay_alu instid0(VALU_DEP_1) | instskip(SKIP_1) | instid1(VALU_DEP_2)
	v_or_b32_e32 v162, v162, v44
	v_and_b32_e32 v46, 3, v44
	v_cmp_ne_u32_e32 vcc_lo, 0, v162
	v_lshlrev_b32_e32 v45, 2, v45
	s_delay_alu instid0(VALU_DEP_1) | instskip(NEXT) | instid1(VALU_DEP_1)
	v_or3_b32 v43, v45, v43, v46
	v_cndmask_b32_e32 v162, 0, v43, vcc_lo
.LBB6_2271:                             ;   in Loop: Header=BB6_2080 Depth=2
	s_or_b32 exec_lo, exec_lo, s26
.LBB6_2272:                             ;   in Loop: Header=BB6_2080 Depth=2
	s_delay_alu instid0(SALU_CYCLE_1) | instskip(SKIP_3) | instid1(VALU_DEP_1)
	s_or_b32 exec_lo, exec_lo, s25
	v_and_b32_e32 v44, 0xff, v42
	s_mov_b32 s11, 0
	s_mov_b32 s26, exec_lo
                                        ; implicit-def: $sgpr25
	v_cmpx_lt_i16_e32 0x7f, v44
	s_xor_b32 s26, exec_lo, s26
	s_cbranch_execnz .LBB6_2686
; %bb.2273:                             ;   in Loop: Header=BB6_2080 Depth=2
	s_or_saveexec_b32 s26, s26
	v_mov_b32_e32 v43, s25
	s_xor_b32 exec_lo, exec_lo, s26
	s_cbranch_execnz .LBB6_2689
.LBB6_2274:                             ;   in Loop: Header=BB6_2080 Depth=2
	s_or_b32 exec_lo, exec_lo, s26
	s_and_saveexec_b32 s25, s11
	s_cbranch_execz .LBB6_2276
.LBB6_2275:                             ;   in Loop: Header=BB6_2080 Depth=2
	v_lshrrev_b16 v46, 2, v42
	s_delay_alu instid0(VALU_DEP_1) | instskip(NEXT) | instid1(VALU_DEP_1)
	v_and_b32_e32 v46, 31, v46
	v_cmp_eq_u32_e32 vcc_lo, 0, v46
	v_and_b32_e32 v43, 3, v42
	s_delay_alu instid0(VALU_DEP_1) | instskip(NEXT) | instid1(VALU_DEP_1)
	v_clz_i32_u32_e32 v44, v43
	v_min_u32_e32 v44, 32, v44
	s_delay_alu instid0(VALU_DEP_1) | instskip(SKIP_1) | instid1(VALU_DEP_1)
	v_subrev_nc_u32_e32 v45, 29, v44
	v_sub_nc_u32_e32 v44, 30, v44
	v_dual_cndmask_b32 v44, v46, v44 :: v_dual_lshlrev_b32 v45, v45, v42
	v_lshlrev_b32_e32 v42, 24, v42
	s_delay_alu instid0(VALU_DEP_2) | instskip(NEXT) | instid1(VALU_DEP_3)
	v_and_b32_e32 v45, 3, v45
	v_lshl_add_u32 v44, v44, 23, 0x37800000
	s_delay_alu instid0(VALU_DEP_2) | instskip(NEXT) | instid1(VALU_DEP_1)
	v_dual_cndmask_b32 v43, v43, v45 :: v_dual_and_b32 v42, 0x80000000, v42
	v_lshlrev_b32_e32 v43, 21, v43
	s_delay_alu instid0(VALU_DEP_1)
	v_or3_b32 v43, v42, v44, v43
.LBB6_2276:                             ;   in Loop: Header=BB6_2080 Depth=2
	s_or_b32 exec_lo, exec_lo, s25
	s_waitcnt vmcnt(19) lgkmcnt(19)
	v_and_b32_e32 v44, 0xff, v165
	s_mov_b32 s11, 0
	s_mov_b32 s26, exec_lo
                                        ; implicit-def: $sgpr25
	s_delay_alu instid0(VALU_DEP_1)
	v_cmpx_lt_i16_e32 0x7f, v44
	s_xor_b32 s26, exec_lo, s26
	s_cbranch_execnz .LBB6_2690
; %bb.2277:                             ;   in Loop: Header=BB6_2080 Depth=2
	s_or_saveexec_b32 s26, s26
	v_mov_b32_e32 v42, s25
	s_xor_b32 exec_lo, exec_lo, s26
	s_cbranch_execnz .LBB6_2693
.LBB6_2278:                             ;   in Loop: Header=BB6_2080 Depth=2
	s_or_b32 exec_lo, exec_lo, s26
	s_and_saveexec_b32 s25, s11
	s_cbranch_execz .LBB6_2280
.LBB6_2279:                             ;   in Loop: Header=BB6_2080 Depth=2
	v_and_b32_e32 v42, 3, v165
	v_lshrrev_b16 v46, 2, v165
	s_delay_alu instid0(VALU_DEP_2) | instskip(NEXT) | instid1(VALU_DEP_2)
	v_clz_i32_u32_e32 v44, v42
	v_and_b32_e32 v46, 31, v46
	s_delay_alu instid0(VALU_DEP_2) | instskip(NEXT) | instid1(VALU_DEP_2)
	v_min_u32_e32 v44, 32, v44
	v_cmp_eq_u32_e32 vcc_lo, 0, v46
	s_delay_alu instid0(VALU_DEP_2) | instskip(SKIP_1) | instid1(VALU_DEP_1)
	v_subrev_nc_u32_e32 v45, 29, v44
	v_sub_nc_u32_e32 v44, 30, v44
	v_dual_cndmask_b32 v44, v46, v44 :: v_dual_lshlrev_b32 v45, v45, v165
	v_lshlrev_b32_e32 v165, 24, v165
	s_delay_alu instid0(VALU_DEP_2) | instskip(NEXT) | instid1(VALU_DEP_3)
	v_and_b32_e32 v45, 3, v45
	v_lshl_add_u32 v44, v44, 23, 0x37800000
	s_delay_alu instid0(VALU_DEP_3) | instskip(NEXT) | instid1(VALU_DEP_3)
	v_and_b32_e32 v165, 0x80000000, v165
	v_cndmask_b32_e32 v42, v42, v45, vcc_lo
	s_delay_alu instid0(VALU_DEP_1) | instskip(NEXT) | instid1(VALU_DEP_1)
	v_lshlrev_b32_e32 v42, 21, v42
	v_or3_b32 v42, v165, v44, v42
.LBB6_2280:                             ;   in Loop: Header=BB6_2080 Depth=2
	s_or_b32 exec_lo, exec_lo, s25
	s_delay_alu instid0(VALU_DEP_1) | instskip(NEXT) | instid1(VALU_DEP_1)
	v_mul_f32_e32 v42, v43, v42
	v_and_b32_e32 v165, 0x7f800000, v42
	s_delay_alu instid0(VALU_DEP_1)
	v_cmp_ne_u32_e32 vcc_lo, 0x7f800000, v165
	v_mov_b32_e32 v165, 0x80
	s_and_saveexec_b32 s25, vcc_lo
	s_cbranch_execz .LBB6_2288
; %bb.2281:                             ;   in Loop: Header=BB6_2080 Depth=2
	v_mov_b32_e32 v165, 0
	s_mov_b32 s26, exec_lo
	v_cmpx_ne_u32_e32 0, v42
	s_cbranch_execz .LBB6_2287
; %bb.2282:                             ;   in Loop: Header=BB6_2080 Depth=2
	v_bfe_u32 v165, v42, 23, 8
	s_delay_alu instid0(VALU_DEP_1) | instskip(SKIP_1) | instid1(VALU_DEP_2)
	v_sub_nc_u32_e32 v44, 0x70, v165
	v_cmp_gt_u32_e32 vcc_lo, 0x71, v165
	v_dual_cndmask_b32 v44, 0, v44 :: v_dual_and_b32 v43, 0x7fffff, v42
	s_delay_alu instid0(VALU_DEP_1) | instskip(SKIP_2) | instid1(VALU_DEP_4)
	v_or_b32_e32 v45, 0x800000, v43
	v_cmp_eq_u32_e32 vcc_lo, 0, v165
	v_add_nc_u32_e32 v165, 0xffffff91, v165
	v_cndmask_b32_e64 v44, v44, 0x6f, vcc_lo
	s_delay_alu instid0(VALU_DEP_2) | instskip(SKIP_1) | instid1(VALU_DEP_3)
	v_cndmask_b32_e64 v165, v165, 0xffffff92, vcc_lo
	v_cndmask_b32_e32 v43, v45, v43, vcc_lo
	v_lshl_add_u32 v45, 0x200000, v44, -1
	v_lshlrev_b32_e64 v56, v44, 0x100000
	s_delay_alu instid0(VALU_DEP_3) | instskip(SKIP_1) | instid1(VALU_DEP_4)
	v_lshrrev_b32_e32 v46, v44, v43
	v_add_nc_u32_e32 v44, v44, v165
	v_and_b32_e32 v43, v45, v43
	s_delay_alu instid0(VALU_DEP_3) | instskip(NEXT) | instid1(VALU_DEP_2)
	v_bfe_u32 v47, v46, 21, 1
	v_cmp_eq_u32_e64 s11, v43, v56
	s_delay_alu instid0(VALU_DEP_2) | instskip(NEXT) | instid1(VALU_DEP_1)
	v_add_nc_u32_e32 v45, -1, v47
	v_cndmask_b32_e64 v43, 0, v45, s11
	v_lshrrev_b32_e32 v45, 23, v46
	s_mov_b32 s11, exec_lo
	s_delay_alu instid0(VALU_DEP_2) | instskip(NEXT) | instid1(VALU_DEP_2)
	v_add_nc_u32_e32 v43, v43, v46
	v_xor_b32_e32 v45, 1, v45
	s_delay_alu instid0(VALU_DEP_2) | instskip(NEXT) | instid1(VALU_DEP_1)
	v_and_b32_e32 v165, 0x1fffff, v43
	v_add_nc_u32_e32 v43, v165, v46
                                        ; implicit-def: $vgpr165
	s_delay_alu instid0(VALU_DEP_3)
	v_cmpx_ne_u32_e64 v44, v45
	s_xor_b32 s11, exec_lo, s11
; %bb.2283:                             ;   in Loop: Header=BB6_2080 Depth=2
	s_delay_alu instid0(VALU_DEP_2) | instskip(SKIP_2) | instid1(VALU_DEP_2)
	v_cmp_lt_u32_e32 vcc_lo, 0xffffff, v43
	v_sub_nc_u32_e32 v165, v44, v45
	v_cndmask_b32_e64 v44, 0, 1, vcc_lo
	v_add_co_ci_u32_e32 v165, vcc_lo, 0, v165, vcc_lo
	s_delay_alu instid0(VALU_DEP_2)
	v_lshrrev_b32_e32 v43, v44, v43
; %bb.2284:                             ;   in Loop: Header=BB6_2080 Depth=2
	s_and_not1_saveexec_b32 s11, s11
; %bb.2285:                             ;   in Loop: Header=BB6_2080 Depth=2
	s_delay_alu instid0(VALU_DEP_1)
	v_bfe_u32 v165, v43, 23, 1
; %bb.2286:                             ;   in Loop: Header=BB6_2080 Depth=2
	s_or_b32 exec_lo, exec_lo, s11
	v_lshrrev_b32_e32 v43, 21, v43
	s_delay_alu instid0(VALU_DEP_2) | instskip(SKIP_2) | instid1(VALU_DEP_2)
	v_cmp_gt_i32_e32 vcc_lo, 32, v165
	v_lshrrev_b32_e32 v42, 24, v42
	v_min_i32_e32 v44, 31, v165
	v_dual_cndmask_b32 v43, 3, v43 :: v_dual_and_b32 v42, 0x80, v42
	s_delay_alu instid0(VALU_DEP_1) | instskip(SKIP_1) | instid1(VALU_DEP_2)
	v_or_b32_e32 v165, v165, v43
	v_and_b32_e32 v45, 3, v43
	v_cmp_ne_u32_e32 vcc_lo, 0, v165
	v_lshlrev_b32_e32 v44, 2, v44
	s_delay_alu instid0(VALU_DEP_1) | instskip(NEXT) | instid1(VALU_DEP_1)
	v_or3_b32 v42, v44, v42, v45
	v_cndmask_b32_e32 v165, 0, v42, vcc_lo
.LBB6_2287:                             ;   in Loop: Header=BB6_2080 Depth=2
	s_or_b32 exec_lo, exec_lo, s26
.LBB6_2288:                             ;   in Loop: Header=BB6_2080 Depth=2
	s_delay_alu instid0(SALU_CYCLE_1) | instskip(SKIP_3) | instid1(VALU_DEP_1)
	s_or_b32 exec_lo, exec_lo, s25
	v_and_b32_e32 v43, 0xff, v41
	s_mov_b32 s11, 0
	s_mov_b32 s26, exec_lo
                                        ; implicit-def: $sgpr25
	v_cmpx_lt_i16_e32 0x7f, v43
	s_xor_b32 s26, exec_lo, s26
	s_cbranch_execnz .LBB6_2694
; %bb.2289:                             ;   in Loop: Header=BB6_2080 Depth=2
	s_or_saveexec_b32 s26, s26
	v_mov_b32_e32 v42, s25
	s_xor_b32 exec_lo, exec_lo, s26
	s_cbranch_execnz .LBB6_2697
.LBB6_2290:                             ;   in Loop: Header=BB6_2080 Depth=2
	s_or_b32 exec_lo, exec_lo, s26
	s_and_saveexec_b32 s25, s11
	s_cbranch_execz .LBB6_2292
.LBB6_2291:                             ;   in Loop: Header=BB6_2080 Depth=2
	v_lshrrev_b16 v45, 2, v41
	s_delay_alu instid0(VALU_DEP_1) | instskip(NEXT) | instid1(VALU_DEP_1)
	v_and_b32_e32 v45, 31, v45
	v_cmp_eq_u32_e32 vcc_lo, 0, v45
	v_and_b32_e32 v42, 3, v41
	s_delay_alu instid0(VALU_DEP_1) | instskip(NEXT) | instid1(VALU_DEP_1)
	v_clz_i32_u32_e32 v43, v42
	v_min_u32_e32 v43, 32, v43
	s_delay_alu instid0(VALU_DEP_1) | instskip(SKIP_1) | instid1(VALU_DEP_1)
	v_subrev_nc_u32_e32 v44, 29, v43
	v_sub_nc_u32_e32 v43, 30, v43
	v_dual_cndmask_b32 v43, v45, v43 :: v_dual_lshlrev_b32 v44, v44, v41
	v_lshlrev_b32_e32 v41, 24, v41
	s_delay_alu instid0(VALU_DEP_2) | instskip(NEXT) | instid1(VALU_DEP_3)
	v_and_b32_e32 v44, 3, v44
	v_lshl_add_u32 v43, v43, 23, 0x37800000
	s_delay_alu instid0(VALU_DEP_2) | instskip(NEXT) | instid1(VALU_DEP_1)
	v_dual_cndmask_b32 v42, v42, v44 :: v_dual_and_b32 v41, 0x80000000, v41
	v_lshlrev_b32_e32 v42, 21, v42
	s_delay_alu instid0(VALU_DEP_1)
	v_or3_b32 v42, v41, v43, v42
.LBB6_2292:                             ;   in Loop: Header=BB6_2080 Depth=2
	s_or_b32 exec_lo, exec_lo, s25
	s_waitcnt vmcnt(18) lgkmcnt(18)
	v_and_b32_e32 v43, 0xff, v176
	s_mov_b32 s11, 0
	s_mov_b32 s26, exec_lo
                                        ; implicit-def: $sgpr25
	s_delay_alu instid0(VALU_DEP_1)
	v_cmpx_lt_i16_e32 0x7f, v43
	s_xor_b32 s26, exec_lo, s26
	s_cbranch_execnz .LBB6_2698
; %bb.2293:                             ;   in Loop: Header=BB6_2080 Depth=2
	s_or_saveexec_b32 s26, s26
	v_mov_b32_e32 v41, s25
	s_xor_b32 exec_lo, exec_lo, s26
	s_cbranch_execnz .LBB6_2701
.LBB6_2294:                             ;   in Loop: Header=BB6_2080 Depth=2
	s_or_b32 exec_lo, exec_lo, s26
	s_and_saveexec_b32 s25, s11
	s_cbranch_execz .LBB6_2296
.LBB6_2295:                             ;   in Loop: Header=BB6_2080 Depth=2
	v_and_b32_e32 v41, 3, v176
	v_lshrrev_b16 v45, 2, v176
	s_delay_alu instid0(VALU_DEP_2) | instskip(NEXT) | instid1(VALU_DEP_2)
	v_clz_i32_u32_e32 v43, v41
	v_and_b32_e32 v45, 31, v45
	s_delay_alu instid0(VALU_DEP_2) | instskip(NEXT) | instid1(VALU_DEP_2)
	v_min_u32_e32 v43, 32, v43
	v_cmp_eq_u32_e32 vcc_lo, 0, v45
	s_delay_alu instid0(VALU_DEP_2) | instskip(SKIP_1) | instid1(VALU_DEP_1)
	v_subrev_nc_u32_e32 v44, 29, v43
	v_sub_nc_u32_e32 v43, 30, v43
	v_dual_cndmask_b32 v43, v45, v43 :: v_dual_lshlrev_b32 v44, v44, v176
	v_lshlrev_b32_e32 v176, 24, v176
	s_delay_alu instid0(VALU_DEP_2) | instskip(NEXT) | instid1(VALU_DEP_3)
	v_and_b32_e32 v44, 3, v44
	v_lshl_add_u32 v43, v43, 23, 0x37800000
	s_delay_alu instid0(VALU_DEP_3) | instskip(NEXT) | instid1(VALU_DEP_3)
	v_and_b32_e32 v176, 0x80000000, v176
	v_cndmask_b32_e32 v41, v41, v44, vcc_lo
	s_delay_alu instid0(VALU_DEP_1) | instskip(NEXT) | instid1(VALU_DEP_1)
	v_lshlrev_b32_e32 v41, 21, v41
	v_or3_b32 v41, v176, v43, v41
.LBB6_2296:                             ;   in Loop: Header=BB6_2080 Depth=2
	s_or_b32 exec_lo, exec_lo, s25
	s_delay_alu instid0(VALU_DEP_1) | instskip(NEXT) | instid1(VALU_DEP_1)
	v_mul_f32_e32 v41, v42, v41
	v_and_b32_e32 v176, 0x7f800000, v41
	s_delay_alu instid0(VALU_DEP_1)
	v_cmp_ne_u32_e32 vcc_lo, 0x7f800000, v176
	v_mov_b32_e32 v176, 0x80
	s_and_saveexec_b32 s25, vcc_lo
	s_cbranch_execz .LBB6_2304
; %bb.2297:                             ;   in Loop: Header=BB6_2080 Depth=2
	v_mov_b32_e32 v176, 0
	s_mov_b32 s26, exec_lo
	v_cmpx_ne_u32_e32 0, v41
	s_cbranch_execz .LBB6_2303
; %bb.2298:                             ;   in Loop: Header=BB6_2080 Depth=2
	v_bfe_u32 v176, v41, 23, 8
	s_delay_alu instid0(VALU_DEP_1) | instskip(SKIP_1) | instid1(VALU_DEP_2)
	v_sub_nc_u32_e32 v43, 0x70, v176
	v_cmp_gt_u32_e32 vcc_lo, 0x71, v176
	v_dual_cndmask_b32 v43, 0, v43 :: v_dual_and_b32 v42, 0x7fffff, v41
	s_delay_alu instid0(VALU_DEP_1) | instskip(SKIP_2) | instid1(VALU_DEP_4)
	v_or_b32_e32 v44, 0x800000, v42
	v_cmp_eq_u32_e32 vcc_lo, 0, v176
	v_add_nc_u32_e32 v176, 0xffffff91, v176
	v_cndmask_b32_e64 v43, v43, 0x6f, vcc_lo
	s_delay_alu instid0(VALU_DEP_2) | instskip(SKIP_1) | instid1(VALU_DEP_3)
	v_cndmask_b32_e64 v176, v176, 0xffffff92, vcc_lo
	v_cndmask_b32_e32 v42, v44, v42, vcc_lo
	v_lshl_add_u32 v44, 0x200000, v43, -1
	v_lshlrev_b32_e64 v47, v43, 0x100000
	s_delay_alu instid0(VALU_DEP_3) | instskip(SKIP_1) | instid1(VALU_DEP_4)
	v_lshrrev_b32_e32 v45, v43, v42
	v_add_nc_u32_e32 v43, v43, v176
	v_and_b32_e32 v42, v44, v42
	s_delay_alu instid0(VALU_DEP_3) | instskip(NEXT) | instid1(VALU_DEP_2)
	v_bfe_u32 v46, v45, 21, 1
	v_cmp_eq_u32_e64 s11, v42, v47
	s_delay_alu instid0(VALU_DEP_2) | instskip(NEXT) | instid1(VALU_DEP_1)
	v_add_nc_u32_e32 v44, -1, v46
	v_cndmask_b32_e64 v42, 0, v44, s11
	v_lshrrev_b32_e32 v44, 23, v45
	s_mov_b32 s11, exec_lo
	s_delay_alu instid0(VALU_DEP_2) | instskip(NEXT) | instid1(VALU_DEP_2)
	v_add_nc_u32_e32 v42, v42, v45
	v_xor_b32_e32 v44, 1, v44
	s_delay_alu instid0(VALU_DEP_2) | instskip(NEXT) | instid1(VALU_DEP_1)
	v_and_b32_e32 v176, 0x1fffff, v42
	v_add_nc_u32_e32 v42, v176, v45
                                        ; implicit-def: $vgpr176
	s_delay_alu instid0(VALU_DEP_3)
	v_cmpx_ne_u32_e64 v43, v44
	s_xor_b32 s11, exec_lo, s11
; %bb.2299:                             ;   in Loop: Header=BB6_2080 Depth=2
	s_delay_alu instid0(VALU_DEP_2) | instskip(SKIP_2) | instid1(VALU_DEP_2)
	v_cmp_lt_u32_e32 vcc_lo, 0xffffff, v42
	v_sub_nc_u32_e32 v176, v43, v44
	v_cndmask_b32_e64 v43, 0, 1, vcc_lo
	v_add_co_ci_u32_e32 v176, vcc_lo, 0, v176, vcc_lo
	s_delay_alu instid0(VALU_DEP_2)
	v_lshrrev_b32_e32 v42, v43, v42
; %bb.2300:                             ;   in Loop: Header=BB6_2080 Depth=2
	s_and_not1_saveexec_b32 s11, s11
; %bb.2301:                             ;   in Loop: Header=BB6_2080 Depth=2
	s_delay_alu instid0(VALU_DEP_1)
	v_bfe_u32 v176, v42, 23, 1
; %bb.2302:                             ;   in Loop: Header=BB6_2080 Depth=2
	s_or_b32 exec_lo, exec_lo, s11
	v_lshrrev_b32_e32 v42, 21, v42
	s_delay_alu instid0(VALU_DEP_2) | instskip(SKIP_2) | instid1(VALU_DEP_2)
	v_cmp_gt_i32_e32 vcc_lo, 32, v176
	v_lshrrev_b32_e32 v41, 24, v41
	v_min_i32_e32 v43, 31, v176
	v_dual_cndmask_b32 v42, 3, v42 :: v_dual_and_b32 v41, 0x80, v41
	s_delay_alu instid0(VALU_DEP_1) | instskip(SKIP_1) | instid1(VALU_DEP_2)
	v_or_b32_e32 v176, v176, v42
	v_and_b32_e32 v44, 3, v42
	v_cmp_ne_u32_e32 vcc_lo, 0, v176
	v_lshlrev_b32_e32 v43, 2, v43
	s_delay_alu instid0(VALU_DEP_1) | instskip(NEXT) | instid1(VALU_DEP_1)
	v_or3_b32 v41, v43, v41, v44
	v_cndmask_b32_e32 v176, 0, v41, vcc_lo
.LBB6_2303:                             ;   in Loop: Header=BB6_2080 Depth=2
	s_or_b32 exec_lo, exec_lo, s26
.LBB6_2304:                             ;   in Loop: Header=BB6_2080 Depth=2
	s_delay_alu instid0(SALU_CYCLE_1) | instskip(SKIP_3) | instid1(VALU_DEP_1)
	s_or_b32 exec_lo, exec_lo, s25
	v_and_b32_e32 v42, 0xff, v40
	s_mov_b32 s11, 0
	s_mov_b32 s26, exec_lo
                                        ; implicit-def: $sgpr25
	v_cmpx_lt_i16_e32 0x7f, v42
	s_xor_b32 s26, exec_lo, s26
	s_cbranch_execnz .LBB6_2702
; %bb.2305:                             ;   in Loop: Header=BB6_2080 Depth=2
	s_or_saveexec_b32 s26, s26
	v_mov_b32_e32 v41, s25
	s_xor_b32 exec_lo, exec_lo, s26
	s_cbranch_execnz .LBB6_2705
.LBB6_2306:                             ;   in Loop: Header=BB6_2080 Depth=2
	s_or_b32 exec_lo, exec_lo, s26
	s_and_saveexec_b32 s25, s11
	s_cbranch_execz .LBB6_2308
.LBB6_2307:                             ;   in Loop: Header=BB6_2080 Depth=2
	v_lshrrev_b16 v44, 2, v40
	s_delay_alu instid0(VALU_DEP_1) | instskip(NEXT) | instid1(VALU_DEP_1)
	v_and_b32_e32 v44, 31, v44
	v_cmp_eq_u32_e32 vcc_lo, 0, v44
	v_and_b32_e32 v41, 3, v40
	s_delay_alu instid0(VALU_DEP_1) | instskip(NEXT) | instid1(VALU_DEP_1)
	v_clz_i32_u32_e32 v42, v41
	v_min_u32_e32 v42, 32, v42
	s_delay_alu instid0(VALU_DEP_1) | instskip(SKIP_1) | instid1(VALU_DEP_1)
	v_subrev_nc_u32_e32 v43, 29, v42
	v_sub_nc_u32_e32 v42, 30, v42
	v_dual_cndmask_b32 v42, v44, v42 :: v_dual_lshlrev_b32 v43, v43, v40
	v_lshlrev_b32_e32 v40, 24, v40
	s_delay_alu instid0(VALU_DEP_2) | instskip(NEXT) | instid1(VALU_DEP_3)
	v_and_b32_e32 v43, 3, v43
	v_lshl_add_u32 v42, v42, 23, 0x37800000
	s_delay_alu instid0(VALU_DEP_2) | instskip(NEXT) | instid1(VALU_DEP_1)
	v_dual_cndmask_b32 v41, v41, v43 :: v_dual_and_b32 v40, 0x80000000, v40
	v_lshlrev_b32_e32 v41, 21, v41
	s_delay_alu instid0(VALU_DEP_1)
	v_or3_b32 v41, v40, v42, v41
.LBB6_2308:                             ;   in Loop: Header=BB6_2080 Depth=2
	s_or_b32 exec_lo, exec_lo, s25
	s_waitcnt vmcnt(17) lgkmcnt(17)
	v_and_b32_e32 v42, 0xff, v179
	s_mov_b32 s11, 0
	s_mov_b32 s26, exec_lo
                                        ; implicit-def: $sgpr25
	s_delay_alu instid0(VALU_DEP_1)
	v_cmpx_lt_i16_e32 0x7f, v42
	s_xor_b32 s26, exec_lo, s26
	s_cbranch_execnz .LBB6_2706
; %bb.2309:                             ;   in Loop: Header=BB6_2080 Depth=2
	s_or_saveexec_b32 s26, s26
	v_mov_b32_e32 v40, s25
	s_xor_b32 exec_lo, exec_lo, s26
	s_cbranch_execnz .LBB6_2709
.LBB6_2310:                             ;   in Loop: Header=BB6_2080 Depth=2
	s_or_b32 exec_lo, exec_lo, s26
	s_and_saveexec_b32 s25, s11
	s_cbranch_execz .LBB6_2312
.LBB6_2311:                             ;   in Loop: Header=BB6_2080 Depth=2
	v_and_b32_e32 v40, 3, v179
	v_lshrrev_b16 v44, 2, v179
	s_delay_alu instid0(VALU_DEP_2) | instskip(NEXT) | instid1(VALU_DEP_2)
	v_clz_i32_u32_e32 v42, v40
	v_and_b32_e32 v44, 31, v44
	s_delay_alu instid0(VALU_DEP_2) | instskip(NEXT) | instid1(VALU_DEP_2)
	v_min_u32_e32 v42, 32, v42
	v_cmp_eq_u32_e32 vcc_lo, 0, v44
	s_delay_alu instid0(VALU_DEP_2) | instskip(SKIP_1) | instid1(VALU_DEP_1)
	v_subrev_nc_u32_e32 v43, 29, v42
	v_sub_nc_u32_e32 v42, 30, v42
	v_dual_cndmask_b32 v42, v44, v42 :: v_dual_lshlrev_b32 v43, v43, v179
	v_lshlrev_b32_e32 v179, 24, v179
	s_delay_alu instid0(VALU_DEP_2) | instskip(NEXT) | instid1(VALU_DEP_3)
	v_and_b32_e32 v43, 3, v43
	v_lshl_add_u32 v42, v42, 23, 0x37800000
	s_delay_alu instid0(VALU_DEP_3) | instskip(NEXT) | instid1(VALU_DEP_3)
	v_and_b32_e32 v179, 0x80000000, v179
	v_cndmask_b32_e32 v40, v40, v43, vcc_lo
	s_delay_alu instid0(VALU_DEP_1) | instskip(NEXT) | instid1(VALU_DEP_1)
	v_lshlrev_b32_e32 v40, 21, v40
	v_or3_b32 v40, v179, v42, v40
.LBB6_2312:                             ;   in Loop: Header=BB6_2080 Depth=2
	s_or_b32 exec_lo, exec_lo, s25
	s_delay_alu instid0(VALU_DEP_1) | instskip(NEXT) | instid1(VALU_DEP_1)
	v_mul_f32_e32 v40, v41, v40
	v_and_b32_e32 v179, 0x7f800000, v40
	s_delay_alu instid0(VALU_DEP_1)
	v_cmp_ne_u32_e32 vcc_lo, 0x7f800000, v179
	v_mov_b32_e32 v179, 0x80
	s_and_saveexec_b32 s25, vcc_lo
	s_cbranch_execz .LBB6_2320
; %bb.2313:                             ;   in Loop: Header=BB6_2080 Depth=2
	v_mov_b32_e32 v179, 0
	s_mov_b32 s26, exec_lo
	v_cmpx_ne_u32_e32 0, v40
	s_cbranch_execz .LBB6_2319
; %bb.2314:                             ;   in Loop: Header=BB6_2080 Depth=2
	v_bfe_u32 v179, v40, 23, 8
	s_delay_alu instid0(VALU_DEP_1) | instskip(SKIP_1) | instid1(VALU_DEP_2)
	v_sub_nc_u32_e32 v42, 0x70, v179
	v_cmp_gt_u32_e32 vcc_lo, 0x71, v179
	v_dual_cndmask_b32 v42, 0, v42 :: v_dual_and_b32 v41, 0x7fffff, v40
	s_delay_alu instid0(VALU_DEP_1) | instskip(SKIP_2) | instid1(VALU_DEP_4)
	v_or_b32_e32 v43, 0x800000, v41
	v_cmp_eq_u32_e32 vcc_lo, 0, v179
	v_add_nc_u32_e32 v179, 0xffffff91, v179
	v_cndmask_b32_e64 v42, v42, 0x6f, vcc_lo
	s_delay_alu instid0(VALU_DEP_2) | instskip(SKIP_1) | instid1(VALU_DEP_3)
	v_cndmask_b32_e64 v179, v179, 0xffffff92, vcc_lo
	v_cndmask_b32_e32 v41, v43, v41, vcc_lo
	v_lshl_add_u32 v43, 0x200000, v42, -1
	v_lshlrev_b32_e64 v46, v42, 0x100000
	s_delay_alu instid0(VALU_DEP_3) | instskip(SKIP_1) | instid1(VALU_DEP_4)
	v_lshrrev_b32_e32 v44, v42, v41
	v_add_nc_u32_e32 v42, v42, v179
	v_and_b32_e32 v41, v43, v41
	s_delay_alu instid0(VALU_DEP_3) | instskip(NEXT) | instid1(VALU_DEP_2)
	v_bfe_u32 v45, v44, 21, 1
	v_cmp_eq_u32_e64 s11, v41, v46
	s_delay_alu instid0(VALU_DEP_2) | instskip(NEXT) | instid1(VALU_DEP_1)
	v_add_nc_u32_e32 v43, -1, v45
	v_cndmask_b32_e64 v41, 0, v43, s11
	v_lshrrev_b32_e32 v43, 23, v44
	s_mov_b32 s11, exec_lo
	s_delay_alu instid0(VALU_DEP_2) | instskip(NEXT) | instid1(VALU_DEP_2)
	v_add_nc_u32_e32 v41, v41, v44
	v_xor_b32_e32 v43, 1, v43
	s_delay_alu instid0(VALU_DEP_2) | instskip(NEXT) | instid1(VALU_DEP_1)
	v_and_b32_e32 v179, 0x1fffff, v41
	v_add_nc_u32_e32 v41, v179, v44
                                        ; implicit-def: $vgpr179
	s_delay_alu instid0(VALU_DEP_3)
	v_cmpx_ne_u32_e64 v42, v43
	s_xor_b32 s11, exec_lo, s11
; %bb.2315:                             ;   in Loop: Header=BB6_2080 Depth=2
	s_delay_alu instid0(VALU_DEP_2) | instskip(SKIP_2) | instid1(VALU_DEP_2)
	v_cmp_lt_u32_e32 vcc_lo, 0xffffff, v41
	v_sub_nc_u32_e32 v179, v42, v43
	v_cndmask_b32_e64 v42, 0, 1, vcc_lo
	v_add_co_ci_u32_e32 v179, vcc_lo, 0, v179, vcc_lo
	s_delay_alu instid0(VALU_DEP_2)
	v_lshrrev_b32_e32 v41, v42, v41
; %bb.2316:                             ;   in Loop: Header=BB6_2080 Depth=2
	s_and_not1_saveexec_b32 s11, s11
; %bb.2317:                             ;   in Loop: Header=BB6_2080 Depth=2
	s_delay_alu instid0(VALU_DEP_1)
	v_bfe_u32 v179, v41, 23, 1
; %bb.2318:                             ;   in Loop: Header=BB6_2080 Depth=2
	s_or_b32 exec_lo, exec_lo, s11
	v_lshrrev_b32_e32 v41, 21, v41
	s_delay_alu instid0(VALU_DEP_2) | instskip(SKIP_2) | instid1(VALU_DEP_2)
	v_cmp_gt_i32_e32 vcc_lo, 32, v179
	v_lshrrev_b32_e32 v40, 24, v40
	v_min_i32_e32 v42, 31, v179
	v_dual_cndmask_b32 v41, 3, v41 :: v_dual_and_b32 v40, 0x80, v40
	s_delay_alu instid0(VALU_DEP_1) | instskip(SKIP_1) | instid1(VALU_DEP_2)
	v_or_b32_e32 v179, v179, v41
	v_and_b32_e32 v43, 3, v41
	v_cmp_ne_u32_e32 vcc_lo, 0, v179
	v_lshlrev_b32_e32 v42, 2, v42
	s_delay_alu instid0(VALU_DEP_1) | instskip(NEXT) | instid1(VALU_DEP_1)
	v_or3_b32 v40, v42, v40, v43
	v_cndmask_b32_e32 v179, 0, v40, vcc_lo
.LBB6_2319:                             ;   in Loop: Header=BB6_2080 Depth=2
	s_or_b32 exec_lo, exec_lo, s26
.LBB6_2320:                             ;   in Loop: Header=BB6_2080 Depth=2
	s_delay_alu instid0(SALU_CYCLE_1) | instskip(SKIP_3) | instid1(VALU_DEP_1)
	s_or_b32 exec_lo, exec_lo, s25
	v_and_b32_e32 v41, 0xff, v183
	s_mov_b32 s11, 0
	s_mov_b32 s26, exec_lo
                                        ; implicit-def: $sgpr25
	v_cmpx_lt_i16_e32 0x7f, v41
	s_xor_b32 s26, exec_lo, s26
	s_cbranch_execnz .LBB6_2710
; %bb.2321:                             ;   in Loop: Header=BB6_2080 Depth=2
	s_or_saveexec_b32 s26, s26
	v_mov_b32_e32 v40, s25
	s_xor_b32 exec_lo, exec_lo, s26
	s_cbranch_execnz .LBB6_2713
.LBB6_2322:                             ;   in Loop: Header=BB6_2080 Depth=2
	s_or_b32 exec_lo, exec_lo, s26
	s_and_saveexec_b32 s25, s11
	s_cbranch_execz .LBB6_2324
.LBB6_2323:                             ;   in Loop: Header=BB6_2080 Depth=2
	v_lshrrev_b16 v43, 2, v183
	s_delay_alu instid0(VALU_DEP_1) | instskip(NEXT) | instid1(VALU_DEP_1)
	v_and_b32_e32 v43, 31, v43
	v_cmp_eq_u32_e32 vcc_lo, 0, v43
	v_and_b32_e32 v40, 3, v183
	s_delay_alu instid0(VALU_DEP_1) | instskip(NEXT) | instid1(VALU_DEP_1)
	v_clz_i32_u32_e32 v41, v40
	v_min_u32_e32 v41, 32, v41
	s_delay_alu instid0(VALU_DEP_1) | instskip(SKIP_1) | instid1(VALU_DEP_1)
	v_subrev_nc_u32_e32 v42, 29, v41
	v_sub_nc_u32_e32 v41, 30, v41
	v_dual_cndmask_b32 v41, v43, v41 :: v_dual_lshlrev_b32 v42, v42, v183
	v_lshlrev_b32_e32 v183, 24, v183
	s_delay_alu instid0(VALU_DEP_2) | instskip(NEXT) | instid1(VALU_DEP_3)
	v_and_b32_e32 v42, 3, v42
	v_lshl_add_u32 v41, v41, 23, 0x37800000
	s_delay_alu instid0(VALU_DEP_2) | instskip(NEXT) | instid1(VALU_DEP_1)
	v_dual_cndmask_b32 v40, v40, v42 :: v_dual_and_b32 v183, 0x80000000, v183
	v_lshlrev_b32_e32 v40, 21, v40
	s_delay_alu instid0(VALU_DEP_1)
	v_or3_b32 v40, v183, v41, v40
.LBB6_2324:                             ;   in Loop: Header=BB6_2080 Depth=2
	s_or_b32 exec_lo, exec_lo, s25
	s_waitcnt vmcnt(16) lgkmcnt(16)
	v_and_b32_e32 v41, 0xff, v182
	s_mov_b32 s11, 0
	s_mov_b32 s26, exec_lo
                                        ; implicit-def: $sgpr25
	s_delay_alu instid0(VALU_DEP_1)
	v_cmpx_lt_i16_e32 0x7f, v41
	s_xor_b32 s26, exec_lo, s26
	s_cbranch_execnz .LBB6_2714
; %bb.2325:                             ;   in Loop: Header=BB6_2080 Depth=2
	s_or_saveexec_b32 s26, s26
	v_mov_b32_e32 v183, s25
	s_xor_b32 exec_lo, exec_lo, s26
	s_cbranch_execnz .LBB6_2717
.LBB6_2326:                             ;   in Loop: Header=BB6_2080 Depth=2
	s_or_b32 exec_lo, exec_lo, s26
	s_and_saveexec_b32 s25, s11
	s_cbranch_execz .LBB6_2328
.LBB6_2327:                             ;   in Loop: Header=BB6_2080 Depth=2
	v_and_b32_e32 v183, 3, v182
	v_lshrrev_b16 v43, 2, v182
	s_delay_alu instid0(VALU_DEP_2) | instskip(NEXT) | instid1(VALU_DEP_2)
	v_clz_i32_u32_e32 v41, v183
	v_and_b32_e32 v43, 31, v43
	s_delay_alu instid0(VALU_DEP_2) | instskip(NEXT) | instid1(VALU_DEP_2)
	v_min_u32_e32 v41, 32, v41
	v_cmp_eq_u32_e32 vcc_lo, 0, v43
	s_delay_alu instid0(VALU_DEP_2) | instskip(SKIP_1) | instid1(VALU_DEP_1)
	v_subrev_nc_u32_e32 v42, 29, v41
	v_sub_nc_u32_e32 v41, 30, v41
	v_dual_cndmask_b32 v41, v43, v41 :: v_dual_lshlrev_b32 v42, v42, v182
	v_lshlrev_b32_e32 v182, 24, v182
	s_delay_alu instid0(VALU_DEP_2) | instskip(NEXT) | instid1(VALU_DEP_3)
	v_and_b32_e32 v42, 3, v42
	v_lshl_add_u32 v41, v41, 23, 0x37800000
	s_delay_alu instid0(VALU_DEP_3) | instskip(NEXT) | instid1(VALU_DEP_3)
	v_and_b32_e32 v182, 0x80000000, v182
	v_cndmask_b32_e32 v183, v183, v42, vcc_lo
	s_delay_alu instid0(VALU_DEP_1) | instskip(NEXT) | instid1(VALU_DEP_1)
	v_lshlrev_b32_e32 v183, 21, v183
	v_or3_b32 v183, v182, v41, v183
.LBB6_2328:                             ;   in Loop: Header=BB6_2080 Depth=2
	s_or_b32 exec_lo, exec_lo, s25
	s_delay_alu instid0(VALU_DEP_1) | instskip(NEXT) | instid1(VALU_DEP_1)
	v_mul_f32_e32 v183, v40, v183
	v_and_b32_e32 v182, 0x7f800000, v183
	s_delay_alu instid0(VALU_DEP_1)
	v_cmp_ne_u32_e32 vcc_lo, 0x7f800000, v182
	v_mov_b32_e32 v182, 0x80
	s_and_saveexec_b32 s25, vcc_lo
	s_cbranch_execz .LBB6_2336
; %bb.2329:                             ;   in Loop: Header=BB6_2080 Depth=2
	v_mov_b32_e32 v182, 0
	s_mov_b32 s26, exec_lo
	v_cmpx_ne_u32_e32 0, v183
	s_cbranch_execz .LBB6_2335
; %bb.2330:                             ;   in Loop: Header=BB6_2080 Depth=2
	v_bfe_u32 v182, v183, 23, 8
	s_delay_alu instid0(VALU_DEP_1) | instskip(SKIP_1) | instid1(VALU_DEP_2)
	v_sub_nc_u32_e32 v41, 0x70, v182
	v_cmp_gt_u32_e32 vcc_lo, 0x71, v182
	v_dual_cndmask_b32 v41, 0, v41 :: v_dual_and_b32 v40, 0x7fffff, v183
	s_delay_alu instid0(VALU_DEP_1) | instskip(SKIP_2) | instid1(VALU_DEP_4)
	v_or_b32_e32 v42, 0x800000, v40
	v_cmp_eq_u32_e32 vcc_lo, 0, v182
	v_add_nc_u32_e32 v182, 0xffffff91, v182
	v_cndmask_b32_e64 v41, v41, 0x6f, vcc_lo
	s_delay_alu instid0(VALU_DEP_2) | instskip(SKIP_1) | instid1(VALU_DEP_3)
	v_cndmask_b32_e64 v182, v182, 0xffffff92, vcc_lo
	v_cndmask_b32_e32 v40, v42, v40, vcc_lo
	v_lshl_add_u32 v42, 0x200000, v41, -1
	v_lshlrev_b32_e64 v45, v41, 0x100000
	s_delay_alu instid0(VALU_DEP_3) | instskip(SKIP_1) | instid1(VALU_DEP_4)
	v_lshrrev_b32_e32 v43, v41, v40
	v_add_nc_u32_e32 v41, v41, v182
	v_and_b32_e32 v40, v42, v40
	s_delay_alu instid0(VALU_DEP_3) | instskip(NEXT) | instid1(VALU_DEP_2)
	v_bfe_u32 v44, v43, 21, 1
	v_cmp_eq_u32_e64 s11, v40, v45
	s_delay_alu instid0(VALU_DEP_2) | instskip(NEXT) | instid1(VALU_DEP_1)
	v_add_nc_u32_e32 v42, -1, v44
	v_cndmask_b32_e64 v40, 0, v42, s11
	v_lshrrev_b32_e32 v42, 23, v43
	s_mov_b32 s11, exec_lo
	s_delay_alu instid0(VALU_DEP_2) | instskip(NEXT) | instid1(VALU_DEP_2)
	v_add_nc_u32_e32 v40, v40, v43
	v_xor_b32_e32 v42, 1, v42
	s_delay_alu instid0(VALU_DEP_2) | instskip(NEXT) | instid1(VALU_DEP_1)
	v_and_b32_e32 v182, 0x1fffff, v40
	v_add_nc_u32_e32 v40, v182, v43
                                        ; implicit-def: $vgpr182
	s_delay_alu instid0(VALU_DEP_3)
	v_cmpx_ne_u32_e64 v41, v42
	s_xor_b32 s11, exec_lo, s11
; %bb.2331:                             ;   in Loop: Header=BB6_2080 Depth=2
	s_delay_alu instid0(VALU_DEP_2) | instskip(SKIP_2) | instid1(VALU_DEP_2)
	v_cmp_lt_u32_e32 vcc_lo, 0xffffff, v40
	v_sub_nc_u32_e32 v182, v41, v42
	v_cndmask_b32_e64 v41, 0, 1, vcc_lo
	v_add_co_ci_u32_e32 v182, vcc_lo, 0, v182, vcc_lo
	s_delay_alu instid0(VALU_DEP_2)
	v_lshrrev_b32_e32 v40, v41, v40
; %bb.2332:                             ;   in Loop: Header=BB6_2080 Depth=2
	s_and_not1_saveexec_b32 s11, s11
; %bb.2333:                             ;   in Loop: Header=BB6_2080 Depth=2
	s_delay_alu instid0(VALU_DEP_1)
	v_bfe_u32 v182, v40, 23, 1
; %bb.2334:                             ;   in Loop: Header=BB6_2080 Depth=2
	s_or_b32 exec_lo, exec_lo, s11
	v_lshrrev_b32_e32 v40, 21, v40
	s_delay_alu instid0(VALU_DEP_2) | instskip(SKIP_2) | instid1(VALU_DEP_2)
	v_cmp_gt_i32_e32 vcc_lo, 32, v182
	v_lshrrev_b32_e32 v183, 24, v183
	v_min_i32_e32 v41, 31, v182
	v_dual_cndmask_b32 v40, 3, v40 :: v_dual_and_b32 v183, 0x80, v183
	s_delay_alu instid0(VALU_DEP_1) | instskip(SKIP_1) | instid1(VALU_DEP_2)
	v_or_b32_e32 v182, v182, v40
	v_and_b32_e32 v42, 3, v40
	v_cmp_ne_u32_e32 vcc_lo, 0, v182
	v_lshlrev_b32_e32 v41, 2, v41
	s_delay_alu instid0(VALU_DEP_1) | instskip(NEXT) | instid1(VALU_DEP_1)
	v_or3_b32 v183, v41, v183, v42
	v_cndmask_b32_e32 v182, 0, v183, vcc_lo
.LBB6_2335:                             ;   in Loop: Header=BB6_2080 Depth=2
	s_or_b32 exec_lo, exec_lo, s26
.LBB6_2336:                             ;   in Loop: Header=BB6_2080 Depth=2
	s_delay_alu instid0(SALU_CYCLE_1) | instskip(SKIP_3) | instid1(VALU_DEP_1)
	s_or_b32 exec_lo, exec_lo, s25
	v_and_b32_e32 v40, 0xff, v181
	s_mov_b32 s11, 0
	s_mov_b32 s26, exec_lo
                                        ; implicit-def: $sgpr25
	v_cmpx_lt_i16_e32 0x7f, v40
	s_xor_b32 s26, exec_lo, s26
	s_cbranch_execnz .LBB6_2718
; %bb.2337:                             ;   in Loop: Header=BB6_2080 Depth=2
	s_or_saveexec_b32 s26, s26
	v_mov_b32_e32 v183, s25
	s_xor_b32 exec_lo, exec_lo, s26
	s_cbranch_execnz .LBB6_2721
.LBB6_2338:                             ;   in Loop: Header=BB6_2080 Depth=2
	s_or_b32 exec_lo, exec_lo, s26
	s_and_saveexec_b32 s25, s11
	s_cbranch_execz .LBB6_2340
.LBB6_2339:                             ;   in Loop: Header=BB6_2080 Depth=2
	v_lshrrev_b16 v42, 2, v181
	s_delay_alu instid0(VALU_DEP_1) | instskip(NEXT) | instid1(VALU_DEP_1)
	v_and_b32_e32 v42, 31, v42
	v_cmp_eq_u32_e32 vcc_lo, 0, v42
	v_and_b32_e32 v183, 3, v181
	s_delay_alu instid0(VALU_DEP_1) | instskip(NEXT) | instid1(VALU_DEP_1)
	v_clz_i32_u32_e32 v40, v183
	v_min_u32_e32 v40, 32, v40
	s_delay_alu instid0(VALU_DEP_1) | instskip(SKIP_1) | instid1(VALU_DEP_1)
	v_subrev_nc_u32_e32 v41, 29, v40
	v_sub_nc_u32_e32 v40, 30, v40
	v_dual_cndmask_b32 v40, v42, v40 :: v_dual_lshlrev_b32 v41, v41, v181
	v_lshlrev_b32_e32 v181, 24, v181
	s_delay_alu instid0(VALU_DEP_2) | instskip(NEXT) | instid1(VALU_DEP_3)
	v_and_b32_e32 v41, 3, v41
	v_lshl_add_u32 v40, v40, 23, 0x37800000
	s_delay_alu instid0(VALU_DEP_3) | instskip(NEXT) | instid1(VALU_DEP_3)
	v_and_b32_e32 v181, 0x80000000, v181
	v_cndmask_b32_e32 v183, v183, v41, vcc_lo
	s_delay_alu instid0(VALU_DEP_1) | instskip(NEXT) | instid1(VALU_DEP_1)
	v_lshlrev_b32_e32 v183, 21, v183
	v_or3_b32 v183, v181, v40, v183
.LBB6_2340:                             ;   in Loop: Header=BB6_2080 Depth=2
	s_or_b32 exec_lo, exec_lo, s25
	s_waitcnt vmcnt(15) lgkmcnt(15)
	v_and_b32_e32 v40, 0xff, v180
	s_mov_b32 s11, 0
	s_mov_b32 s26, exec_lo
                                        ; implicit-def: $sgpr25
	s_delay_alu instid0(VALU_DEP_1)
	v_cmpx_lt_i16_e32 0x7f, v40
	s_xor_b32 s26, exec_lo, s26
	s_cbranch_execnz .LBB6_2722
; %bb.2341:                             ;   in Loop: Header=BB6_2080 Depth=2
	s_or_saveexec_b32 s26, s26
	v_mov_b32_e32 v181, s25
	s_xor_b32 exec_lo, exec_lo, s26
	s_cbranch_execnz .LBB6_2725
.LBB6_2342:                             ;   in Loop: Header=BB6_2080 Depth=2
	s_or_b32 exec_lo, exec_lo, s26
	s_and_saveexec_b32 s25, s11
	s_cbranch_execz .LBB6_2344
.LBB6_2343:                             ;   in Loop: Header=BB6_2080 Depth=2
	v_and_b32_e32 v181, 3, v180
	v_lshrrev_b16 v42, 2, v180
	s_delay_alu instid0(VALU_DEP_2) | instskip(NEXT) | instid1(VALU_DEP_1)
	v_clz_i32_u32_e32 v40, v181
	v_min_u32_e32 v40, 32, v40
	s_delay_alu instid0(VALU_DEP_1) | instskip(SKIP_1) | instid1(VALU_DEP_2)
	v_subrev_nc_u32_e32 v41, 29, v40
	v_sub_nc_u32_e32 v40, 30, v40
	v_lshlrev_b32_e32 v41, v41, v180
	v_lshlrev_b32_e32 v180, 24, v180
	s_delay_alu instid0(VALU_DEP_2) | instskip(SKIP_1) | instid1(VALU_DEP_3)
	v_and_b32_e32 v41, 3, v41
	v_and_b32_e32 v42, 31, v42
	;; [unrolled: 1-line block ×3, first 2 shown]
	s_delay_alu instid0(VALU_DEP_2) | instskip(NEXT) | instid1(VALU_DEP_4)
	v_cmp_eq_u32_e32 vcc_lo, 0, v42
	v_dual_cndmask_b32 v181, v181, v41 :: v_dual_cndmask_b32 v40, v42, v40
	s_delay_alu instid0(VALU_DEP_1) | instskip(NEXT) | instid1(VALU_DEP_2)
	v_lshlrev_b32_e32 v181, 21, v181
	v_lshl_add_u32 v40, v40, 23, 0x37800000
	s_delay_alu instid0(VALU_DEP_1)
	v_or3_b32 v181, v180, v40, v181
.LBB6_2344:                             ;   in Loop: Header=BB6_2080 Depth=2
	s_or_b32 exec_lo, exec_lo, s25
	s_delay_alu instid0(VALU_DEP_1) | instskip(NEXT) | instid1(VALU_DEP_1)
	v_mul_f32_e32 v181, v183, v181
	v_and_b32_e32 v180, 0x7f800000, v181
	s_delay_alu instid0(VALU_DEP_1)
	v_cmp_ne_u32_e32 vcc_lo, 0x7f800000, v180
	v_mov_b32_e32 v180, 0x80
	s_and_saveexec_b32 s25, vcc_lo
	s_cbranch_execz .LBB6_2352
; %bb.2345:                             ;   in Loop: Header=BB6_2080 Depth=2
	v_mov_b32_e32 v180, 0
	s_mov_b32 s26, exec_lo
	v_cmpx_ne_u32_e32 0, v181
	s_cbranch_execz .LBB6_2351
; %bb.2346:                             ;   in Loop: Header=BB6_2080 Depth=2
	v_bfe_u32 v180, v181, 23, 8
	s_delay_alu instid0(VALU_DEP_1) | instskip(SKIP_1) | instid1(VALU_DEP_2)
	v_sub_nc_u32_e32 v40, 0x70, v180
	v_cmp_gt_u32_e32 vcc_lo, 0x71, v180
	v_dual_cndmask_b32 v40, 0, v40 :: v_dual_and_b32 v183, 0x7fffff, v181
	s_delay_alu instid0(VALU_DEP_1) | instskip(SKIP_2) | instid1(VALU_DEP_4)
	v_or_b32_e32 v41, 0x800000, v183
	v_cmp_eq_u32_e32 vcc_lo, 0, v180
	v_add_nc_u32_e32 v180, 0xffffff91, v180
	v_cndmask_b32_e64 v40, v40, 0x6f, vcc_lo
	s_delay_alu instid0(VALU_DEP_4) | instskip(NEXT) | instid1(VALU_DEP_3)
	v_cndmask_b32_e32 v183, v41, v183, vcc_lo
	v_cndmask_b32_e64 v180, v180, 0xffffff92, vcc_lo
	s_delay_alu instid0(VALU_DEP_3) | instskip(NEXT) | instid1(VALU_DEP_3)
	v_lshl_add_u32 v41, 0x200000, v40, -1
	v_lshrrev_b32_e32 v42, v40, v183
	v_lshlrev_b32_e64 v44, v40, 0x100000
	s_delay_alu instid0(VALU_DEP_4) | instskip(NEXT) | instid1(VALU_DEP_4)
	v_add_nc_u32_e32 v40, v40, v180
	v_and_b32_e32 v183, v41, v183
	s_delay_alu instid0(VALU_DEP_4) | instskip(NEXT) | instid1(VALU_DEP_2)
	v_bfe_u32 v43, v42, 21, 1
	v_cmp_eq_u32_e64 s11, v183, v44
	s_delay_alu instid0(VALU_DEP_2) | instskip(NEXT) | instid1(VALU_DEP_1)
	v_add_nc_u32_e32 v41, -1, v43
	v_cndmask_b32_e64 v183, 0, v41, s11
	v_lshrrev_b32_e32 v41, 23, v42
	s_mov_b32 s11, exec_lo
	s_delay_alu instid0(VALU_DEP_2) | instskip(NEXT) | instid1(VALU_DEP_2)
	v_add_nc_u32_e32 v183, v183, v42
	v_xor_b32_e32 v41, 1, v41
	s_delay_alu instid0(VALU_DEP_2) | instskip(NEXT) | instid1(VALU_DEP_1)
	v_and_b32_e32 v180, 0x1fffff, v183
	v_add_nc_u32_e32 v183, v180, v42
                                        ; implicit-def: $vgpr180
	s_delay_alu instid0(VALU_DEP_3)
	v_cmpx_ne_u32_e64 v40, v41
	s_xor_b32 s11, exec_lo, s11
; %bb.2347:                             ;   in Loop: Header=BB6_2080 Depth=2
	s_delay_alu instid0(VALU_DEP_2) | instskip(SKIP_2) | instid1(VALU_DEP_2)
	v_cmp_lt_u32_e32 vcc_lo, 0xffffff, v183
	v_sub_nc_u32_e32 v180, v40, v41
	v_cndmask_b32_e64 v40, 0, 1, vcc_lo
	v_add_co_ci_u32_e32 v180, vcc_lo, 0, v180, vcc_lo
	s_delay_alu instid0(VALU_DEP_2)
	v_lshrrev_b32_e32 v183, v40, v183
; %bb.2348:                             ;   in Loop: Header=BB6_2080 Depth=2
	s_and_not1_saveexec_b32 s11, s11
; %bb.2349:                             ;   in Loop: Header=BB6_2080 Depth=2
	s_delay_alu instid0(VALU_DEP_1)
	v_bfe_u32 v180, v183, 23, 1
; %bb.2350:                             ;   in Loop: Header=BB6_2080 Depth=2
	s_or_b32 exec_lo, exec_lo, s11
	v_lshrrev_b32_e32 v183, 21, v183
	s_delay_alu instid0(VALU_DEP_2) | instskip(SKIP_2) | instid1(VALU_DEP_2)
	v_cmp_gt_i32_e32 vcc_lo, 32, v180
	v_min_i32_e32 v40, 31, v180
	v_lshrrev_b32_e32 v181, 24, v181
	v_dual_cndmask_b32 v183, 3, v183 :: v_dual_lshlrev_b32 v40, 2, v40
	s_delay_alu instid0(VALU_DEP_2) | instskip(NEXT) | instid1(VALU_DEP_2)
	v_and_b32_e32 v181, 0x80, v181
	v_or_b32_e32 v180, v180, v183
	s_delay_alu instid0(VALU_DEP_1) | instskip(SKIP_1) | instid1(VALU_DEP_1)
	v_cmp_ne_u32_e32 vcc_lo, 0, v180
	v_and_b32_e32 v41, 3, v183
	v_or3_b32 v181, v40, v181, v41
	s_delay_alu instid0(VALU_DEP_1)
	v_cndmask_b32_e32 v180, 0, v181, vcc_lo
.LBB6_2351:                             ;   in Loop: Header=BB6_2080 Depth=2
	s_or_b32 exec_lo, exec_lo, s26
.LBB6_2352:                             ;   in Loop: Header=BB6_2080 Depth=2
	s_delay_alu instid0(SALU_CYCLE_1) | instskip(SKIP_3) | instid1(VALU_DEP_1)
	s_or_b32 exec_lo, exec_lo, s25
	v_and_b32_e32 v183, 0xff, v178
	s_mov_b32 s11, 0
	s_mov_b32 s26, exec_lo
                                        ; implicit-def: $sgpr25
	v_cmpx_lt_i16_e64 0x7f, v183
	s_xor_b32 s26, exec_lo, s26
	s_cbranch_execnz .LBB6_2726
; %bb.2353:                             ;   in Loop: Header=BB6_2080 Depth=2
	s_or_saveexec_b32 s26, s26
	v_mov_b32_e32 v181, s25
	s_xor_b32 exec_lo, exec_lo, s26
	s_cbranch_execnz .LBB6_2729
.LBB6_2354:                             ;   in Loop: Header=BB6_2080 Depth=2
	s_or_b32 exec_lo, exec_lo, s26
	s_and_saveexec_b32 s25, s11
	s_cbranch_execz .LBB6_2356
.LBB6_2355:                             ;   in Loop: Header=BB6_2080 Depth=2
	v_and_b32_e32 v181, 3, v178
	v_lshrrev_b16 v41, 2, v178
	s_delay_alu instid0(VALU_DEP_2) | instskip(NEXT) | instid1(VALU_DEP_2)
	v_clz_i32_u32_e32 v183, v181
	v_and_b32_e32 v41, 31, v41
	s_delay_alu instid0(VALU_DEP_2) | instskip(NEXT) | instid1(VALU_DEP_2)
	v_min_u32_e32 v183, 32, v183
	v_cmp_eq_u32_e32 vcc_lo, 0, v41
	s_delay_alu instid0(VALU_DEP_2) | instskip(SKIP_1) | instid1(VALU_DEP_1)
	v_subrev_nc_u32_e32 v40, 29, v183
	v_sub_nc_u32_e32 v183, 30, v183
	v_dual_cndmask_b32 v183, v41, v183 :: v_dual_lshlrev_b32 v40, v40, v178
	s_delay_alu instid0(VALU_DEP_1) | instskip(SKIP_1) | instid1(VALU_DEP_3)
	v_and_b32_e32 v40, 3, v40
	v_lshlrev_b32_e32 v178, 24, v178
	v_lshl_add_u32 v183, v183, 23, 0x37800000
	s_delay_alu instid0(VALU_DEP_2) | instskip(NEXT) | instid1(VALU_DEP_1)
	v_dual_cndmask_b32 v181, v181, v40 :: v_dual_and_b32 v178, 0x80000000, v178
	v_lshlrev_b32_e32 v181, 21, v181
	s_delay_alu instid0(VALU_DEP_1)
	v_or3_b32 v181, v178, v183, v181
.LBB6_2356:                             ;   in Loop: Header=BB6_2080 Depth=2
	s_or_b32 exec_lo, exec_lo, s25
	s_waitcnt vmcnt(14) lgkmcnt(14)
	v_and_b32_e32 v183, 0xff, v177
	s_mov_b32 s11, 0
	s_mov_b32 s26, exec_lo
                                        ; implicit-def: $sgpr25
	s_delay_alu instid0(VALU_DEP_1)
	v_cmpx_lt_i16_e64 0x7f, v183
	s_xor_b32 s26, exec_lo, s26
	s_cbranch_execnz .LBB6_2730
; %bb.2357:                             ;   in Loop: Header=BB6_2080 Depth=2
	s_or_saveexec_b32 s26, s26
	v_mov_b32_e32 v178, s25
	s_xor_b32 exec_lo, exec_lo, s26
	s_cbranch_execnz .LBB6_2733
.LBB6_2358:                             ;   in Loop: Header=BB6_2080 Depth=2
	s_or_b32 exec_lo, exec_lo, s26
	s_and_saveexec_b32 s25, s11
	s_cbranch_execz .LBB6_2360
.LBB6_2359:                             ;   in Loop: Header=BB6_2080 Depth=2
	v_lshrrev_b16 v41, 2, v177
	s_delay_alu instid0(VALU_DEP_1) | instskip(NEXT) | instid1(VALU_DEP_1)
	v_and_b32_e32 v41, 31, v41
	v_cmp_eq_u32_e32 vcc_lo, 0, v41
	v_and_b32_e32 v178, 3, v177
	s_delay_alu instid0(VALU_DEP_1) | instskip(NEXT) | instid1(VALU_DEP_1)
	v_clz_i32_u32_e32 v183, v178
	v_min_u32_e32 v183, 32, v183
	s_delay_alu instid0(VALU_DEP_1) | instskip(SKIP_1) | instid1(VALU_DEP_1)
	v_subrev_nc_u32_e32 v40, 29, v183
	v_sub_nc_u32_e32 v183, 30, v183
	v_dual_cndmask_b32 v183, v41, v183 :: v_dual_lshlrev_b32 v40, v40, v177
	v_lshlrev_b32_e32 v177, 24, v177
	s_delay_alu instid0(VALU_DEP_2) | instskip(NEXT) | instid1(VALU_DEP_3)
	v_and_b32_e32 v40, 3, v40
	v_lshl_add_u32 v183, v183, 23, 0x37800000
	s_delay_alu instid0(VALU_DEP_2) | instskip(NEXT) | instid1(VALU_DEP_1)
	v_dual_cndmask_b32 v178, v178, v40 :: v_dual_and_b32 v177, 0x80000000, v177
	v_lshlrev_b32_e32 v178, 21, v178
	s_delay_alu instid0(VALU_DEP_1)
	v_or3_b32 v178, v177, v183, v178
.LBB6_2360:                             ;   in Loop: Header=BB6_2080 Depth=2
	s_or_b32 exec_lo, exec_lo, s25
	s_delay_alu instid0(VALU_DEP_1) | instskip(NEXT) | instid1(VALU_DEP_1)
	v_mul_f32_e32 v178, v181, v178
	v_and_b32_e32 v177, 0x7f800000, v178
	s_delay_alu instid0(VALU_DEP_1)
	v_cmp_ne_u32_e32 vcc_lo, 0x7f800000, v177
	v_mov_b32_e32 v177, 0x80
	s_and_saveexec_b32 s25, vcc_lo
	s_cbranch_execz .LBB6_2368
; %bb.2361:                             ;   in Loop: Header=BB6_2080 Depth=2
	v_mov_b32_e32 v177, 0
	s_mov_b32 s26, exec_lo
	v_cmpx_ne_u32_e32 0, v178
	s_cbranch_execz .LBB6_2367
; %bb.2362:                             ;   in Loop: Header=BB6_2080 Depth=2
	v_bfe_u32 v177, v178, 23, 8
	v_and_b32_e32 v181, 0x7fffff, v178
	s_delay_alu instid0(VALU_DEP_2) | instskip(SKIP_1) | instid1(VALU_DEP_3)
	v_sub_nc_u32_e32 v183, 0x70, v177
	v_cmp_gt_u32_e32 vcc_lo, 0x71, v177
	v_or_b32_e32 v40, 0x800000, v181
	s_delay_alu instid0(VALU_DEP_3) | instskip(SKIP_2) | instid1(VALU_DEP_3)
	v_cndmask_b32_e32 v183, 0, v183, vcc_lo
	v_cmp_eq_u32_e32 vcc_lo, 0, v177
	v_add_nc_u32_e32 v177, 0xffffff91, v177
	v_cndmask_b32_e64 v183, v183, 0x6f, vcc_lo
	v_cndmask_b32_e32 v181, v40, v181, vcc_lo
	s_delay_alu instid0(VALU_DEP_3) | instskip(NEXT) | instid1(VALU_DEP_3)
	v_cndmask_b32_e64 v177, v177, 0xffffff92, vcc_lo
	v_lshl_add_u32 v40, 0x200000, v183, -1
	s_delay_alu instid0(VALU_DEP_3) | instskip(SKIP_1) | instid1(VALU_DEP_4)
	v_lshrrev_b32_e32 v41, v183, v181
	v_lshlrev_b32_e64 v43, v183, 0x100000
	v_add_nc_u32_e32 v183, v183, v177
	s_delay_alu instid0(VALU_DEP_4) | instskip(NEXT) | instid1(VALU_DEP_4)
	v_and_b32_e32 v181, v40, v181
	v_bfe_u32 v42, v41, 21, 1
	s_delay_alu instid0(VALU_DEP_2) | instskip(NEXT) | instid1(VALU_DEP_2)
	v_cmp_eq_u32_e64 s11, v181, v43
	v_add_nc_u32_e32 v40, -1, v42
	s_delay_alu instid0(VALU_DEP_1) | instskip(SKIP_2) | instid1(VALU_DEP_2)
	v_cndmask_b32_e64 v181, 0, v40, s11
	v_lshrrev_b32_e32 v40, 23, v41
	s_mov_b32 s11, exec_lo
	v_add_nc_u32_e32 v181, v181, v41
	s_delay_alu instid0(VALU_DEP_2) | instskip(NEXT) | instid1(VALU_DEP_2)
	v_xor_b32_e32 v40, 1, v40
	v_and_b32_e32 v177, 0x1fffff, v181
	s_delay_alu instid0(VALU_DEP_1) | instskip(NEXT) | instid1(VALU_DEP_3)
	v_add_nc_u32_e32 v181, v177, v41
                                        ; implicit-def: $vgpr177
	v_cmpx_ne_u32_e64 v183, v40
	s_xor_b32 s11, exec_lo, s11
; %bb.2363:                             ;   in Loop: Header=BB6_2080 Depth=2
	s_delay_alu instid0(VALU_DEP_2) | instskip(SKIP_2) | instid1(VALU_DEP_2)
	v_cmp_lt_u32_e32 vcc_lo, 0xffffff, v181
	v_sub_nc_u32_e32 v177, v183, v40
	v_cndmask_b32_e64 v183, 0, 1, vcc_lo
	v_add_co_ci_u32_e32 v177, vcc_lo, 0, v177, vcc_lo
	s_delay_alu instid0(VALU_DEP_2)
	v_lshrrev_b32_e32 v181, v183, v181
; %bb.2364:                             ;   in Loop: Header=BB6_2080 Depth=2
	s_and_not1_saveexec_b32 s11, s11
; %bb.2365:                             ;   in Loop: Header=BB6_2080 Depth=2
	s_delay_alu instid0(VALU_DEP_1)
	v_bfe_u32 v177, v181, 23, 1
; %bb.2366:                             ;   in Loop: Header=BB6_2080 Depth=2
	s_or_b32 exec_lo, exec_lo, s11
	v_lshrrev_b32_e32 v181, 21, v181
	s_delay_alu instid0(VALU_DEP_2) | instskip(SKIP_2) | instid1(VALU_DEP_2)
	v_cmp_gt_i32_e32 vcc_lo, 32, v177
	v_lshrrev_b32_e32 v178, 24, v178
	v_min_i32_e32 v183, 31, v177
	v_dual_cndmask_b32 v181, 3, v181 :: v_dual_and_b32 v178, 0x80, v178
	s_delay_alu instid0(VALU_DEP_2) | instskip(NEXT) | instid1(VALU_DEP_2)
	v_lshlrev_b32_e32 v183, 2, v183
	v_or_b32_e32 v177, v177, v181
	s_delay_alu instid0(VALU_DEP_1) | instskip(SKIP_1) | instid1(VALU_DEP_1)
	v_cmp_ne_u32_e32 vcc_lo, 0, v177
	v_and_b32_e32 v40, 3, v181
	v_or3_b32 v178, v183, v178, v40
	s_delay_alu instid0(VALU_DEP_1)
	v_cndmask_b32_e32 v177, 0, v178, vcc_lo
.LBB6_2367:                             ;   in Loop: Header=BB6_2080 Depth=2
	s_or_b32 exec_lo, exec_lo, s26
.LBB6_2368:                             ;   in Loop: Header=BB6_2080 Depth=2
	s_delay_alu instid0(SALU_CYCLE_1) | instskip(SKIP_3) | instid1(VALU_DEP_1)
	s_or_b32 exec_lo, exec_lo, s25
	v_and_b32_e32 v181, 0xff, v167
	s_mov_b32 s11, 0
	s_mov_b32 s26, exec_lo
                                        ; implicit-def: $sgpr25
	v_cmpx_lt_i16_e64 0x7f, v181
	s_xor_b32 s26, exec_lo, s26
	s_cbranch_execnz .LBB6_2734
; %bb.2369:                             ;   in Loop: Header=BB6_2080 Depth=2
	s_or_saveexec_b32 s26, s26
	v_mov_b32_e32 v178, s25
	s_xor_b32 exec_lo, exec_lo, s26
	s_cbranch_execnz .LBB6_2737
.LBB6_2370:                             ;   in Loop: Header=BB6_2080 Depth=2
	s_or_b32 exec_lo, exec_lo, s26
	s_and_saveexec_b32 s25, s11
	s_cbranch_execz .LBB6_2372
.LBB6_2371:                             ;   in Loop: Header=BB6_2080 Depth=2
	v_lshrrev_b16 v40, 2, v167
	s_delay_alu instid0(VALU_DEP_1) | instskip(NEXT) | instid1(VALU_DEP_1)
	v_and_b32_e32 v40, 31, v40
	v_cmp_eq_u32_e32 vcc_lo, 0, v40
	v_and_b32_e32 v178, 3, v167
	s_delay_alu instid0(VALU_DEP_1) | instskip(NEXT) | instid1(VALU_DEP_1)
	v_clz_i32_u32_e32 v181, v178
	v_min_u32_e32 v181, 32, v181
	s_delay_alu instid0(VALU_DEP_1) | instskip(SKIP_1) | instid1(VALU_DEP_2)
	v_subrev_nc_u32_e32 v183, 29, v181
	v_sub_nc_u32_e32 v181, 30, v181
	v_lshlrev_b32_e32 v183, v183, v167
	s_delay_alu instid0(VALU_DEP_2) | instskip(SKIP_1) | instid1(VALU_DEP_3)
	v_cndmask_b32_e32 v181, v40, v181, vcc_lo
	v_lshlrev_b32_e32 v167, 24, v167
	v_and_b32_e32 v183, 3, v183
	s_delay_alu instid0(VALU_DEP_3) | instskip(NEXT) | instid1(VALU_DEP_3)
	v_lshl_add_u32 v181, v181, 23, 0x37800000
	v_and_b32_e32 v167, 0x80000000, v167
	s_delay_alu instid0(VALU_DEP_3) | instskip(NEXT) | instid1(VALU_DEP_1)
	v_cndmask_b32_e32 v178, v178, v183, vcc_lo
	v_lshlrev_b32_e32 v178, 21, v178
	s_delay_alu instid0(VALU_DEP_1)
	v_or3_b32 v178, v167, v181, v178
.LBB6_2372:                             ;   in Loop: Header=BB6_2080 Depth=2
	s_or_b32 exec_lo, exec_lo, s25
	s_waitcnt vmcnt(13) lgkmcnt(13)
	v_and_b32_e32 v181, 0xff, v166
	s_mov_b32 s11, 0
	s_mov_b32 s26, exec_lo
                                        ; implicit-def: $sgpr25
	s_delay_alu instid0(VALU_DEP_1)
	v_cmpx_lt_i16_e64 0x7f, v181
	s_xor_b32 s26, exec_lo, s26
	s_cbranch_execnz .LBB6_2738
; %bb.2373:                             ;   in Loop: Header=BB6_2080 Depth=2
	s_or_saveexec_b32 s26, s26
	v_mov_b32_e32 v167, s25
	s_xor_b32 exec_lo, exec_lo, s26
	s_cbranch_execnz .LBB6_2741
.LBB6_2374:                             ;   in Loop: Header=BB6_2080 Depth=2
	s_or_b32 exec_lo, exec_lo, s26
	s_and_saveexec_b32 s25, s11
	s_cbranch_execz .LBB6_2376
.LBB6_2375:                             ;   in Loop: Header=BB6_2080 Depth=2
	v_and_b32_e32 v167, 3, v166
	v_lshrrev_b16 v40, 2, v166
	s_delay_alu instid0(VALU_DEP_2) | instskip(NEXT) | instid1(VALU_DEP_1)
	v_clz_i32_u32_e32 v181, v167
	v_min_u32_e32 v181, 32, v181
	s_delay_alu instid0(VALU_DEP_1) | instskip(SKIP_1) | instid1(VALU_DEP_2)
	v_subrev_nc_u32_e32 v183, 29, v181
	v_sub_nc_u32_e32 v181, 30, v181
	v_lshlrev_b32_e32 v183, v183, v166
	s_delay_alu instid0(VALU_DEP_1) | instskip(SKIP_1) | instid1(VALU_DEP_1)
	v_and_b32_e32 v183, 3, v183
	v_and_b32_e32 v40, 31, v40
	v_cmp_eq_u32_e32 vcc_lo, 0, v40
	s_delay_alu instid0(VALU_DEP_3) | instskip(SKIP_1) | instid1(VALU_DEP_2)
	v_dual_cndmask_b32 v167, v167, v183 :: v_dual_lshlrev_b32 v166, 24, v166
	v_cndmask_b32_e32 v181, v40, v181, vcc_lo
	v_lshlrev_b32_e32 v167, 21, v167
	s_delay_alu instid0(VALU_DEP_3) | instskip(NEXT) | instid1(VALU_DEP_3)
	v_and_b32_e32 v166, 0x80000000, v166
	v_lshl_add_u32 v181, v181, 23, 0x37800000
	s_delay_alu instid0(VALU_DEP_1)
	v_or3_b32 v167, v166, v181, v167
.LBB6_2376:                             ;   in Loop: Header=BB6_2080 Depth=2
	s_or_b32 exec_lo, exec_lo, s25
	s_delay_alu instid0(VALU_DEP_1) | instskip(NEXT) | instid1(VALU_DEP_1)
	v_mul_f32_e32 v167, v178, v167
	v_and_b32_e32 v166, 0x7f800000, v167
	s_delay_alu instid0(VALU_DEP_1)
	v_cmp_ne_u32_e32 vcc_lo, 0x7f800000, v166
	v_mov_b32_e32 v166, 0x80
	s_and_saveexec_b32 s25, vcc_lo
	s_cbranch_execz .LBB6_2384
; %bb.2377:                             ;   in Loop: Header=BB6_2080 Depth=2
	v_mov_b32_e32 v166, 0
	s_mov_b32 s26, exec_lo
	v_cmpx_ne_u32_e32 0, v167
	s_cbranch_execz .LBB6_2383
; %bb.2378:                             ;   in Loop: Header=BB6_2080 Depth=2
	v_bfe_u32 v166, v167, 23, 8
	s_delay_alu instid0(VALU_DEP_1) | instskip(SKIP_1) | instid1(VALU_DEP_2)
	v_sub_nc_u32_e32 v181, 0x70, v166
	v_cmp_gt_u32_e32 vcc_lo, 0x71, v166
	v_dual_cndmask_b32 v181, 0, v181 :: v_dual_and_b32 v178, 0x7fffff, v167
	s_delay_alu instid0(VALU_DEP_1) | instskip(SKIP_2) | instid1(VALU_DEP_4)
	v_or_b32_e32 v183, 0x800000, v178
	v_cmp_eq_u32_e32 vcc_lo, 0, v166
	v_add_nc_u32_e32 v166, 0xffffff91, v166
	v_cndmask_b32_e64 v181, v181, 0x6f, vcc_lo
	s_delay_alu instid0(VALU_DEP_4) | instskip(NEXT) | instid1(VALU_DEP_3)
	v_cndmask_b32_e32 v178, v183, v178, vcc_lo
	v_cndmask_b32_e64 v166, v166, 0xffffff92, vcc_lo
	s_delay_alu instid0(VALU_DEP_3) | instskip(NEXT) | instid1(VALU_DEP_3)
	v_lshl_add_u32 v183, 0x200000, v181, -1
	v_lshrrev_b32_e32 v40, v181, v178
	v_lshlrev_b32_e64 v42, v181, 0x100000
	s_delay_alu instid0(VALU_DEP_4) | instskip(NEXT) | instid1(VALU_DEP_4)
	v_add_nc_u32_e32 v181, v181, v166
	v_and_b32_e32 v178, v183, v178
	s_delay_alu instid0(VALU_DEP_4) | instskip(NEXT) | instid1(VALU_DEP_2)
	v_bfe_u32 v41, v40, 21, 1
	v_cmp_eq_u32_e64 s11, v178, v42
	s_delay_alu instid0(VALU_DEP_2) | instskip(NEXT) | instid1(VALU_DEP_1)
	v_add_nc_u32_e32 v183, -1, v41
	v_cndmask_b32_e64 v178, 0, v183, s11
	v_lshrrev_b32_e32 v183, 23, v40
	s_mov_b32 s11, exec_lo
	s_delay_alu instid0(VALU_DEP_2) | instskip(NEXT) | instid1(VALU_DEP_2)
	v_add_nc_u32_e32 v178, v178, v40
	v_xor_b32_e32 v183, 1, v183
	s_delay_alu instid0(VALU_DEP_2) | instskip(NEXT) | instid1(VALU_DEP_1)
	v_and_b32_e32 v166, 0x1fffff, v178
	v_add_nc_u32_e32 v178, v166, v40
                                        ; implicit-def: $vgpr166
	s_delay_alu instid0(VALU_DEP_3)
	v_cmpx_ne_u32_e64 v181, v183
	s_xor_b32 s11, exec_lo, s11
; %bb.2379:                             ;   in Loop: Header=BB6_2080 Depth=2
	s_delay_alu instid0(VALU_DEP_2) | instskip(SKIP_2) | instid1(VALU_DEP_2)
	v_cmp_lt_u32_e32 vcc_lo, 0xffffff, v178
	v_sub_nc_u32_e32 v166, v181, v183
	v_cndmask_b32_e64 v181, 0, 1, vcc_lo
	v_add_co_ci_u32_e32 v166, vcc_lo, 0, v166, vcc_lo
	s_delay_alu instid0(VALU_DEP_2)
	v_lshrrev_b32_e32 v178, v181, v178
; %bb.2380:                             ;   in Loop: Header=BB6_2080 Depth=2
	s_and_not1_saveexec_b32 s11, s11
; %bb.2381:                             ;   in Loop: Header=BB6_2080 Depth=2
	s_delay_alu instid0(VALU_DEP_1)
	v_bfe_u32 v166, v178, 23, 1
; %bb.2382:                             ;   in Loop: Header=BB6_2080 Depth=2
	s_or_b32 exec_lo, exec_lo, s11
	v_lshrrev_b32_e32 v178, 21, v178
	s_delay_alu instid0(VALU_DEP_2) | instskip(SKIP_2) | instid1(VALU_DEP_2)
	v_cmp_gt_i32_e32 vcc_lo, 32, v166
	v_lshrrev_b32_e32 v167, 24, v167
	v_min_i32_e32 v181, 31, v166
	v_dual_cndmask_b32 v178, 3, v178 :: v_dual_and_b32 v167, 0x80, v167
	s_delay_alu instid0(VALU_DEP_2) | instskip(NEXT) | instid1(VALU_DEP_2)
	v_lshlrev_b32_e32 v181, 2, v181
	v_or_b32_e32 v166, v166, v178
	s_delay_alu instid0(VALU_DEP_1) | instskip(SKIP_1) | instid1(VALU_DEP_1)
	v_cmp_ne_u32_e32 vcc_lo, 0, v166
	v_and_b32_e32 v183, 3, v178
	v_or3_b32 v167, v181, v167, v183
	s_delay_alu instid0(VALU_DEP_1)
	v_cndmask_b32_e32 v166, 0, v167, vcc_lo
.LBB6_2383:                             ;   in Loop: Header=BB6_2080 Depth=2
	s_or_b32 exec_lo, exec_lo, s26
.LBB6_2384:                             ;   in Loop: Header=BB6_2080 Depth=2
	s_delay_alu instid0(SALU_CYCLE_1) | instskip(SKIP_3) | instid1(VALU_DEP_1)
	s_or_b32 exec_lo, exec_lo, s25
	v_and_b32_e32 v178, 0xff, v164
	s_mov_b32 s11, 0
	s_mov_b32 s26, exec_lo
                                        ; implicit-def: $sgpr25
	v_cmpx_lt_i16_e64 0x7f, v178
	s_xor_b32 s26, exec_lo, s26
	s_cbranch_execnz .LBB6_2742
; %bb.2385:                             ;   in Loop: Header=BB6_2080 Depth=2
	s_or_saveexec_b32 s26, s26
	v_mov_b32_e32 v167, s25
	s_xor_b32 exec_lo, exec_lo, s26
	s_cbranch_execnz .LBB6_2745
.LBB6_2386:                             ;   in Loop: Header=BB6_2080 Depth=2
	s_or_b32 exec_lo, exec_lo, s26
	s_and_saveexec_b32 s25, s11
	s_cbranch_execz .LBB6_2388
.LBB6_2387:                             ;   in Loop: Header=BB6_2080 Depth=2
	v_lshrrev_b16 v183, 2, v164
	s_delay_alu instid0(VALU_DEP_1) | instskip(NEXT) | instid1(VALU_DEP_1)
	v_and_b32_e32 v183, 31, v183
	v_cmp_eq_u32_e32 vcc_lo, 0, v183
	v_and_b32_e32 v167, 3, v164
	s_delay_alu instid0(VALU_DEP_1) | instskip(NEXT) | instid1(VALU_DEP_1)
	v_clz_i32_u32_e32 v178, v167
	v_min_u32_e32 v178, 32, v178
	s_delay_alu instid0(VALU_DEP_1) | instskip(SKIP_1) | instid1(VALU_DEP_1)
	v_subrev_nc_u32_e32 v181, 29, v178
	v_sub_nc_u32_e32 v178, 30, v178
	v_dual_cndmask_b32 v178, v183, v178 :: v_dual_lshlrev_b32 v181, v181, v164
	s_delay_alu instid0(VALU_DEP_1) | instskip(SKIP_1) | instid1(VALU_DEP_3)
	v_and_b32_e32 v181, 3, v181
	v_lshlrev_b32_e32 v164, 24, v164
	v_lshl_add_u32 v178, v178, 23, 0x37800000
	s_delay_alu instid0(VALU_DEP_2) | instskip(NEXT) | instid1(VALU_DEP_1)
	v_dual_cndmask_b32 v167, v167, v181 :: v_dual_and_b32 v164, 0x80000000, v164
	v_lshlrev_b32_e32 v167, 21, v167
	s_delay_alu instid0(VALU_DEP_1)
	v_or3_b32 v167, v164, v178, v167
.LBB6_2388:                             ;   in Loop: Header=BB6_2080 Depth=2
	s_or_b32 exec_lo, exec_lo, s25
	s_waitcnt vmcnt(12) lgkmcnt(12)
	v_and_b32_e32 v178, 0xff, v163
	s_mov_b32 s11, 0
	s_mov_b32 s26, exec_lo
                                        ; implicit-def: $sgpr25
	s_delay_alu instid0(VALU_DEP_1)
	v_cmpx_lt_i16_e64 0x7f, v178
	s_xor_b32 s26, exec_lo, s26
	s_cbranch_execnz .LBB6_2746
; %bb.2389:                             ;   in Loop: Header=BB6_2080 Depth=2
	s_or_saveexec_b32 s26, s26
	v_mov_b32_e32 v164, s25
	s_xor_b32 exec_lo, exec_lo, s26
	s_cbranch_execnz .LBB6_2749
.LBB6_2390:                             ;   in Loop: Header=BB6_2080 Depth=2
	s_or_b32 exec_lo, exec_lo, s26
	s_and_saveexec_b32 s25, s11
	s_cbranch_execz .LBB6_2392
.LBB6_2391:                             ;   in Loop: Header=BB6_2080 Depth=2
	v_and_b32_e32 v164, 3, v163
	v_lshrrev_b16 v183, 2, v163
	s_delay_alu instid0(VALU_DEP_2) | instskip(NEXT) | instid1(VALU_DEP_2)
	v_clz_i32_u32_e32 v178, v164
	v_and_b32_e32 v183, 31, v183
	s_delay_alu instid0(VALU_DEP_2) | instskip(NEXT) | instid1(VALU_DEP_2)
	v_min_u32_e32 v178, 32, v178
	v_cmp_eq_u32_e32 vcc_lo, 0, v183
	s_delay_alu instid0(VALU_DEP_2) | instskip(SKIP_1) | instid1(VALU_DEP_1)
	v_subrev_nc_u32_e32 v181, 29, v178
	v_sub_nc_u32_e32 v178, 30, v178
	v_dual_cndmask_b32 v178, v183, v178 :: v_dual_lshlrev_b32 v181, v181, v163
	v_lshlrev_b32_e32 v163, 24, v163
	s_delay_alu instid0(VALU_DEP_2) | instskip(NEXT) | instid1(VALU_DEP_3)
	v_and_b32_e32 v181, 3, v181
	v_lshl_add_u32 v178, v178, 23, 0x37800000
	s_delay_alu instid0(VALU_DEP_2) | instskip(NEXT) | instid1(VALU_DEP_1)
	v_dual_cndmask_b32 v164, v164, v181 :: v_dual_and_b32 v163, 0x80000000, v163
	v_lshlrev_b32_e32 v164, 21, v164
	s_delay_alu instid0(VALU_DEP_1)
	v_or3_b32 v164, v163, v178, v164
.LBB6_2392:                             ;   in Loop: Header=BB6_2080 Depth=2
	s_or_b32 exec_lo, exec_lo, s25
	s_delay_alu instid0(VALU_DEP_1) | instskip(NEXT) | instid1(VALU_DEP_1)
	v_mul_f32_e32 v164, v167, v164
	v_and_b32_e32 v163, 0x7f800000, v164
	s_delay_alu instid0(VALU_DEP_1)
	v_cmp_ne_u32_e32 vcc_lo, 0x7f800000, v163
	v_mov_b32_e32 v163, 0x80
	s_and_saveexec_b32 s25, vcc_lo
	s_cbranch_execz .LBB6_2400
; %bb.2393:                             ;   in Loop: Header=BB6_2080 Depth=2
	v_mov_b32_e32 v163, 0
	s_mov_b32 s26, exec_lo
	v_cmpx_ne_u32_e32 0, v164
	s_cbranch_execz .LBB6_2399
; %bb.2394:                             ;   in Loop: Header=BB6_2080 Depth=2
	v_bfe_u32 v163, v164, 23, 8
	s_delay_alu instid0(VALU_DEP_1) | instskip(SKIP_1) | instid1(VALU_DEP_2)
	v_sub_nc_u32_e32 v178, 0x70, v163
	v_cmp_gt_u32_e32 vcc_lo, 0x71, v163
	v_dual_cndmask_b32 v178, 0, v178 :: v_dual_and_b32 v167, 0x7fffff, v164
	s_delay_alu instid0(VALU_DEP_1) | instskip(SKIP_2) | instid1(VALU_DEP_4)
	v_or_b32_e32 v181, 0x800000, v167
	v_cmp_eq_u32_e32 vcc_lo, 0, v163
	v_add_nc_u32_e32 v163, 0xffffff91, v163
	v_cndmask_b32_e64 v178, v178, 0x6f, vcc_lo
	s_delay_alu instid0(VALU_DEP_4) | instskip(NEXT) | instid1(VALU_DEP_3)
	v_cndmask_b32_e32 v167, v181, v167, vcc_lo
	v_cndmask_b32_e64 v163, v163, 0xffffff92, vcc_lo
	s_delay_alu instid0(VALU_DEP_3) | instskip(NEXT) | instid1(VALU_DEP_3)
	v_lshl_add_u32 v181, 0x200000, v178, -1
	v_lshrrev_b32_e32 v183, v178, v167
	v_lshlrev_b32_e64 v41, v178, 0x100000
	s_delay_alu instid0(VALU_DEP_4) | instskip(NEXT) | instid1(VALU_DEP_4)
	v_add_nc_u32_e32 v178, v178, v163
	v_and_b32_e32 v167, v181, v167
	s_delay_alu instid0(VALU_DEP_4) | instskip(NEXT) | instid1(VALU_DEP_2)
	v_bfe_u32 v40, v183, 21, 1
	v_cmp_eq_u32_e64 s11, v167, v41
	s_delay_alu instid0(VALU_DEP_2) | instskip(NEXT) | instid1(VALU_DEP_1)
	v_add_nc_u32_e32 v181, -1, v40
	v_cndmask_b32_e64 v167, 0, v181, s11
	v_lshrrev_b32_e32 v181, 23, v183
	s_mov_b32 s11, exec_lo
	s_delay_alu instid0(VALU_DEP_2) | instskip(NEXT) | instid1(VALU_DEP_2)
	v_add_nc_u32_e32 v167, v167, v183
	v_xor_b32_e32 v181, 1, v181
	s_delay_alu instid0(VALU_DEP_2) | instskip(NEXT) | instid1(VALU_DEP_1)
	v_and_b32_e32 v163, 0x1fffff, v167
	v_add_nc_u32_e32 v167, v163, v183
                                        ; implicit-def: $vgpr163
	s_delay_alu instid0(VALU_DEP_3)
	v_cmpx_ne_u32_e64 v178, v181
	s_xor_b32 s11, exec_lo, s11
; %bb.2395:                             ;   in Loop: Header=BB6_2080 Depth=2
	s_delay_alu instid0(VALU_DEP_2) | instskip(SKIP_2) | instid1(VALU_DEP_2)
	v_cmp_lt_u32_e32 vcc_lo, 0xffffff, v167
	v_sub_nc_u32_e32 v163, v178, v181
	v_cndmask_b32_e64 v178, 0, 1, vcc_lo
	v_add_co_ci_u32_e32 v163, vcc_lo, 0, v163, vcc_lo
	s_delay_alu instid0(VALU_DEP_2)
	v_lshrrev_b32_e32 v167, v178, v167
; %bb.2396:                             ;   in Loop: Header=BB6_2080 Depth=2
	s_and_not1_saveexec_b32 s11, s11
; %bb.2397:                             ;   in Loop: Header=BB6_2080 Depth=2
	s_delay_alu instid0(VALU_DEP_1)
	v_bfe_u32 v163, v167, 23, 1
; %bb.2398:                             ;   in Loop: Header=BB6_2080 Depth=2
	s_or_b32 exec_lo, exec_lo, s11
	v_lshrrev_b32_e32 v167, 21, v167
	s_delay_alu instid0(VALU_DEP_2) | instskip(SKIP_2) | instid1(VALU_DEP_2)
	v_cmp_gt_i32_e32 vcc_lo, 32, v163
	v_lshrrev_b32_e32 v164, 24, v164
	v_min_i32_e32 v178, 31, v163
	v_dual_cndmask_b32 v167, 3, v167 :: v_dual_and_b32 v164, 0x80, v164
	s_delay_alu instid0(VALU_DEP_1) | instskip(SKIP_1) | instid1(VALU_DEP_2)
	v_or_b32_e32 v163, v163, v167
	v_and_b32_e32 v181, 3, v167
	v_cmp_ne_u32_e32 vcc_lo, 0, v163
	v_lshlrev_b32_e32 v178, 2, v178
	s_delay_alu instid0(VALU_DEP_1) | instskip(NEXT) | instid1(VALU_DEP_1)
	v_or3_b32 v164, v178, v164, v181
	v_cndmask_b32_e32 v163, 0, v164, vcc_lo
.LBB6_2399:                             ;   in Loop: Header=BB6_2080 Depth=2
	s_or_b32 exec_lo, exec_lo, s26
.LBB6_2400:                             ;   in Loop: Header=BB6_2080 Depth=2
	s_delay_alu instid0(SALU_CYCLE_1) | instskip(SKIP_3) | instid1(VALU_DEP_1)
	s_or_b32 exec_lo, exec_lo, s25
	v_and_b32_e32 v167, 0xff, v161
	s_mov_b32 s11, 0
	s_mov_b32 s26, exec_lo
                                        ; implicit-def: $sgpr25
	v_cmpx_lt_i16_e64 0x7f, v167
	s_xor_b32 s26, exec_lo, s26
	s_cbranch_execnz .LBB6_2750
; %bb.2401:                             ;   in Loop: Header=BB6_2080 Depth=2
	s_or_saveexec_b32 s26, s26
	v_mov_b32_e32 v164, s25
	s_xor_b32 exec_lo, exec_lo, s26
	s_cbranch_execnz .LBB6_2753
.LBB6_2402:                             ;   in Loop: Header=BB6_2080 Depth=2
	s_or_b32 exec_lo, exec_lo, s26
	s_and_saveexec_b32 s25, s11
	s_cbranch_execz .LBB6_2404
.LBB6_2403:                             ;   in Loop: Header=BB6_2080 Depth=2
	v_lshrrev_b16 v181, 2, v161
	s_delay_alu instid0(VALU_DEP_1) | instskip(NEXT) | instid1(VALU_DEP_1)
	v_and_b32_e32 v181, 31, v181
	v_cmp_eq_u32_e32 vcc_lo, 0, v181
	v_and_b32_e32 v164, 3, v161
	s_delay_alu instid0(VALU_DEP_1) | instskip(NEXT) | instid1(VALU_DEP_1)
	v_clz_i32_u32_e32 v167, v164
	v_min_u32_e32 v167, 32, v167
	s_delay_alu instid0(VALU_DEP_1) | instskip(SKIP_1) | instid1(VALU_DEP_1)
	v_subrev_nc_u32_e32 v178, 29, v167
	v_sub_nc_u32_e32 v167, 30, v167
	v_dual_cndmask_b32 v167, v181, v167 :: v_dual_lshlrev_b32 v178, v178, v161
	v_lshlrev_b32_e32 v161, 24, v161
	s_delay_alu instid0(VALU_DEP_2) | instskip(NEXT) | instid1(VALU_DEP_3)
	v_and_b32_e32 v178, 3, v178
	v_lshl_add_u32 v167, v167, 23, 0x37800000
	s_delay_alu instid0(VALU_DEP_2) | instskip(NEXT) | instid1(VALU_DEP_1)
	v_dual_cndmask_b32 v164, v164, v178 :: v_dual_and_b32 v161, 0x80000000, v161
	v_lshlrev_b32_e32 v164, 21, v164
	s_delay_alu instid0(VALU_DEP_1)
	v_or3_b32 v164, v161, v167, v164
.LBB6_2404:                             ;   in Loop: Header=BB6_2080 Depth=2
	s_or_b32 exec_lo, exec_lo, s25
	s_waitcnt vmcnt(11) lgkmcnt(11)
	v_and_b32_e32 v167, 0xff, v160
	s_mov_b32 s11, 0
	s_mov_b32 s26, exec_lo
                                        ; implicit-def: $sgpr25
	s_delay_alu instid0(VALU_DEP_1)
	v_cmpx_lt_i16_e64 0x7f, v167
	s_xor_b32 s26, exec_lo, s26
	s_cbranch_execnz .LBB6_2754
; %bb.2405:                             ;   in Loop: Header=BB6_2080 Depth=2
	s_or_saveexec_b32 s26, s26
	v_mov_b32_e32 v161, s25
	s_xor_b32 exec_lo, exec_lo, s26
	s_cbranch_execnz .LBB6_2757
.LBB6_2406:                             ;   in Loop: Header=BB6_2080 Depth=2
	s_or_b32 exec_lo, exec_lo, s26
	s_and_saveexec_b32 s25, s11
	s_cbranch_execz .LBB6_2408
.LBB6_2407:                             ;   in Loop: Header=BB6_2080 Depth=2
	v_and_b32_e32 v161, 3, v160
	v_lshrrev_b16 v181, 2, v160
	s_delay_alu instid0(VALU_DEP_2) | instskip(NEXT) | instid1(VALU_DEP_2)
	v_clz_i32_u32_e32 v167, v161
	v_and_b32_e32 v181, 31, v181
	s_delay_alu instid0(VALU_DEP_2) | instskip(NEXT) | instid1(VALU_DEP_2)
	v_min_u32_e32 v167, 32, v167
	v_cmp_eq_u32_e32 vcc_lo, 0, v181
	s_delay_alu instid0(VALU_DEP_2) | instskip(SKIP_1) | instid1(VALU_DEP_1)
	v_subrev_nc_u32_e32 v178, 29, v167
	v_sub_nc_u32_e32 v167, 30, v167
	v_dual_cndmask_b32 v167, v181, v167 :: v_dual_lshlrev_b32 v178, v178, v160
	s_delay_alu instid0(VALU_DEP_1) | instskip(SKIP_1) | instid1(VALU_DEP_3)
	v_and_b32_e32 v178, 3, v178
	v_lshlrev_b32_e32 v160, 24, v160
	v_lshl_add_u32 v167, v167, 23, 0x37800000
	s_delay_alu instid0(VALU_DEP_2) | instskip(NEXT) | instid1(VALU_DEP_1)
	v_dual_cndmask_b32 v161, v161, v178 :: v_dual_and_b32 v160, 0x80000000, v160
	v_lshlrev_b32_e32 v161, 21, v161
	s_delay_alu instid0(VALU_DEP_1)
	v_or3_b32 v161, v160, v167, v161
.LBB6_2408:                             ;   in Loop: Header=BB6_2080 Depth=2
	s_or_b32 exec_lo, exec_lo, s25
	s_delay_alu instid0(VALU_DEP_1) | instskip(NEXT) | instid1(VALU_DEP_1)
	v_mul_f32_e32 v161, v164, v161
	v_and_b32_e32 v160, 0x7f800000, v161
	s_delay_alu instid0(VALU_DEP_1)
	v_cmp_ne_u32_e32 vcc_lo, 0x7f800000, v160
	v_mov_b32_e32 v160, 0x80
	s_and_saveexec_b32 s25, vcc_lo
	s_cbranch_execz .LBB6_2416
; %bb.2409:                             ;   in Loop: Header=BB6_2080 Depth=2
	v_mov_b32_e32 v160, 0
	s_mov_b32 s26, exec_lo
	v_cmpx_ne_u32_e32 0, v161
	s_cbranch_execz .LBB6_2415
; %bb.2410:                             ;   in Loop: Header=BB6_2080 Depth=2
	v_bfe_u32 v160, v161, 23, 8
	s_delay_alu instid0(VALU_DEP_1) | instskip(SKIP_1) | instid1(VALU_DEP_2)
	v_sub_nc_u32_e32 v167, 0x70, v160
	v_cmp_gt_u32_e32 vcc_lo, 0x71, v160
	v_dual_cndmask_b32 v167, 0, v167 :: v_dual_and_b32 v164, 0x7fffff, v161
	s_delay_alu instid0(VALU_DEP_1) | instskip(SKIP_2) | instid1(VALU_DEP_4)
	v_or_b32_e32 v178, 0x800000, v164
	v_cmp_eq_u32_e32 vcc_lo, 0, v160
	v_add_nc_u32_e32 v160, 0xffffff91, v160
	v_cndmask_b32_e64 v167, v167, 0x6f, vcc_lo
	s_delay_alu instid0(VALU_DEP_4) | instskip(NEXT) | instid1(VALU_DEP_3)
	v_cndmask_b32_e32 v164, v178, v164, vcc_lo
	v_cndmask_b32_e64 v160, v160, 0xffffff92, vcc_lo
	s_delay_alu instid0(VALU_DEP_3) | instskip(NEXT) | instid1(VALU_DEP_3)
	v_lshl_add_u32 v178, 0x200000, v167, -1
	v_lshrrev_b32_e32 v181, v167, v164
	v_lshlrev_b32_e64 v40, v167, 0x100000
	s_delay_alu instid0(VALU_DEP_4) | instskip(NEXT) | instid1(VALU_DEP_4)
	v_add_nc_u32_e32 v167, v167, v160
	v_and_b32_e32 v164, v178, v164
	s_delay_alu instid0(VALU_DEP_4) | instskip(NEXT) | instid1(VALU_DEP_2)
	v_bfe_u32 v183, v181, 21, 1
	v_cmp_eq_u32_e64 s11, v164, v40
	s_delay_alu instid0(VALU_DEP_2) | instskip(NEXT) | instid1(VALU_DEP_1)
	v_add_nc_u32_e32 v178, -1, v183
	v_cndmask_b32_e64 v164, 0, v178, s11
	v_lshrrev_b32_e32 v178, 23, v181
	s_mov_b32 s11, exec_lo
	s_delay_alu instid0(VALU_DEP_2) | instskip(NEXT) | instid1(VALU_DEP_2)
	v_add_nc_u32_e32 v164, v164, v181
	v_xor_b32_e32 v178, 1, v178
	s_delay_alu instid0(VALU_DEP_2) | instskip(NEXT) | instid1(VALU_DEP_1)
	v_and_b32_e32 v160, 0x1fffff, v164
	v_add_nc_u32_e32 v164, v160, v181
                                        ; implicit-def: $vgpr160
	s_delay_alu instid0(VALU_DEP_3)
	v_cmpx_ne_u32_e64 v167, v178
	s_xor_b32 s11, exec_lo, s11
; %bb.2411:                             ;   in Loop: Header=BB6_2080 Depth=2
	s_delay_alu instid0(VALU_DEP_2) | instskip(SKIP_2) | instid1(VALU_DEP_2)
	v_cmp_lt_u32_e32 vcc_lo, 0xffffff, v164
	v_sub_nc_u32_e32 v160, v167, v178
	v_cndmask_b32_e64 v167, 0, 1, vcc_lo
	v_add_co_ci_u32_e32 v160, vcc_lo, 0, v160, vcc_lo
	s_delay_alu instid0(VALU_DEP_2)
	v_lshrrev_b32_e32 v164, v167, v164
; %bb.2412:                             ;   in Loop: Header=BB6_2080 Depth=2
	s_and_not1_saveexec_b32 s11, s11
; %bb.2413:                             ;   in Loop: Header=BB6_2080 Depth=2
	s_delay_alu instid0(VALU_DEP_1)
	v_bfe_u32 v160, v164, 23, 1
; %bb.2414:                             ;   in Loop: Header=BB6_2080 Depth=2
	s_or_b32 exec_lo, exec_lo, s11
	v_lshrrev_b32_e32 v164, 21, v164
	s_delay_alu instid0(VALU_DEP_2) | instskip(SKIP_2) | instid1(VALU_DEP_2)
	v_cmp_gt_i32_e32 vcc_lo, 32, v160
	v_lshrrev_b32_e32 v161, 24, v161
	v_min_i32_e32 v167, 31, v160
	v_dual_cndmask_b32 v164, 3, v164 :: v_dual_and_b32 v161, 0x80, v161
	s_delay_alu instid0(VALU_DEP_1) | instskip(SKIP_1) | instid1(VALU_DEP_2)
	v_or_b32_e32 v160, v160, v164
	v_and_b32_e32 v178, 3, v164
	v_cmp_ne_u32_e32 vcc_lo, 0, v160
	v_lshlrev_b32_e32 v167, 2, v167
	s_delay_alu instid0(VALU_DEP_1) | instskip(NEXT) | instid1(VALU_DEP_1)
	v_or3_b32 v161, v167, v161, v178
	v_cndmask_b32_e32 v160, 0, v161, vcc_lo
.LBB6_2415:                             ;   in Loop: Header=BB6_2080 Depth=2
	s_or_b32 exec_lo, exec_lo, s26
.LBB6_2416:                             ;   in Loop: Header=BB6_2080 Depth=2
	s_delay_alu instid0(SALU_CYCLE_1) | instskip(SKIP_3) | instid1(VALU_DEP_1)
	s_or_b32 exec_lo, exec_lo, s25
	v_and_b32_e32 v164, 0xff, v150
	s_mov_b32 s11, 0
	s_mov_b32 s26, exec_lo
                                        ; implicit-def: $sgpr25
	v_cmpx_lt_i16_e64 0x7f, v164
	s_xor_b32 s26, exec_lo, s26
	s_cbranch_execnz .LBB6_2758
; %bb.2417:                             ;   in Loop: Header=BB6_2080 Depth=2
	s_or_saveexec_b32 s26, s26
	v_mov_b32_e32 v161, s25
	s_xor_b32 exec_lo, exec_lo, s26
	s_cbranch_execnz .LBB6_2761
.LBB6_2418:                             ;   in Loop: Header=BB6_2080 Depth=2
	s_or_b32 exec_lo, exec_lo, s26
	s_and_saveexec_b32 s25, s11
	s_cbranch_execz .LBB6_2420
.LBB6_2419:                             ;   in Loop: Header=BB6_2080 Depth=2
	v_lshrrev_b16 v178, 2, v150
	s_delay_alu instid0(VALU_DEP_1) | instskip(NEXT) | instid1(VALU_DEP_1)
	v_and_b32_e32 v178, 31, v178
	v_cmp_eq_u32_e32 vcc_lo, 0, v178
	v_and_b32_e32 v161, 3, v150
	s_delay_alu instid0(VALU_DEP_1) | instskip(NEXT) | instid1(VALU_DEP_1)
	v_clz_i32_u32_e32 v164, v161
	v_min_u32_e32 v164, 32, v164
	s_delay_alu instid0(VALU_DEP_1) | instskip(SKIP_1) | instid1(VALU_DEP_1)
	v_subrev_nc_u32_e32 v167, 29, v164
	v_sub_nc_u32_e32 v164, 30, v164
	v_dual_cndmask_b32 v164, v178, v164 :: v_dual_lshlrev_b32 v167, v167, v150
	v_lshlrev_b32_e32 v150, 24, v150
	s_delay_alu instid0(VALU_DEP_2) | instskip(NEXT) | instid1(VALU_DEP_3)
	v_and_b32_e32 v167, 3, v167
	v_lshl_add_u32 v164, v164, 23, 0x37800000
	s_delay_alu instid0(VALU_DEP_2) | instskip(NEXT) | instid1(VALU_DEP_1)
	v_dual_cndmask_b32 v161, v161, v167 :: v_dual_and_b32 v150, 0x80000000, v150
	v_lshlrev_b32_e32 v161, 21, v161
	s_delay_alu instid0(VALU_DEP_1)
	v_or3_b32 v161, v150, v164, v161
.LBB6_2420:                             ;   in Loop: Header=BB6_2080 Depth=2
	s_or_b32 exec_lo, exec_lo, s25
	s_waitcnt vmcnt(10) lgkmcnt(10)
	v_and_b32_e32 v164, 0xff, v149
	s_mov_b32 s11, 0
	s_mov_b32 s26, exec_lo
                                        ; implicit-def: $sgpr25
	s_delay_alu instid0(VALU_DEP_1)
	v_cmpx_lt_i16_e64 0x7f, v164
	s_xor_b32 s26, exec_lo, s26
	s_cbranch_execnz .LBB6_2762
; %bb.2421:                             ;   in Loop: Header=BB6_2080 Depth=2
	s_or_saveexec_b32 s26, s26
	v_mov_b32_e32 v150, s25
	s_xor_b32 exec_lo, exec_lo, s26
	s_cbranch_execnz .LBB6_2765
.LBB6_2422:                             ;   in Loop: Header=BB6_2080 Depth=2
	s_or_b32 exec_lo, exec_lo, s26
	s_and_saveexec_b32 s25, s11
	s_cbranch_execz .LBB6_2424
.LBB6_2423:                             ;   in Loop: Header=BB6_2080 Depth=2
	v_and_b32_e32 v150, 3, v149
	v_lshrrev_b16 v178, 2, v149
	s_delay_alu instid0(VALU_DEP_2) | instskip(NEXT) | instid1(VALU_DEP_2)
	v_clz_i32_u32_e32 v164, v150
	v_and_b32_e32 v178, 31, v178
	s_delay_alu instid0(VALU_DEP_2) | instskip(NEXT) | instid1(VALU_DEP_2)
	v_min_u32_e32 v164, 32, v164
	v_cmp_eq_u32_e32 vcc_lo, 0, v178
	s_delay_alu instid0(VALU_DEP_2) | instskip(SKIP_1) | instid1(VALU_DEP_1)
	v_subrev_nc_u32_e32 v167, 29, v164
	v_sub_nc_u32_e32 v164, 30, v164
	v_dual_cndmask_b32 v164, v178, v164 :: v_dual_lshlrev_b32 v167, v167, v149
	s_delay_alu instid0(VALU_DEP_1) | instskip(SKIP_1) | instid1(VALU_DEP_3)
	v_and_b32_e32 v167, 3, v167
	v_lshlrev_b32_e32 v149, 24, v149
	v_lshl_add_u32 v164, v164, 23, 0x37800000
	s_delay_alu instid0(VALU_DEP_2) | instskip(NEXT) | instid1(VALU_DEP_1)
	v_dual_cndmask_b32 v150, v150, v167 :: v_dual_and_b32 v149, 0x80000000, v149
	v_lshlrev_b32_e32 v150, 21, v150
	s_delay_alu instid0(VALU_DEP_1)
	v_or3_b32 v150, v149, v164, v150
.LBB6_2424:                             ;   in Loop: Header=BB6_2080 Depth=2
	s_or_b32 exec_lo, exec_lo, s25
	s_delay_alu instid0(VALU_DEP_1) | instskip(NEXT) | instid1(VALU_DEP_1)
	v_mul_f32_e32 v150, v161, v150
	v_and_b32_e32 v149, 0x7f800000, v150
	s_delay_alu instid0(VALU_DEP_1)
	v_cmp_ne_u32_e32 vcc_lo, 0x7f800000, v149
	v_mov_b32_e32 v149, 0x80
	s_and_saveexec_b32 s25, vcc_lo
	s_cbranch_execz .LBB6_2432
; %bb.2425:                             ;   in Loop: Header=BB6_2080 Depth=2
	v_mov_b32_e32 v149, 0
	s_mov_b32 s26, exec_lo
	v_cmpx_ne_u32_e32 0, v150
	s_cbranch_execz .LBB6_2431
; %bb.2426:                             ;   in Loop: Header=BB6_2080 Depth=2
	v_bfe_u32 v149, v150, 23, 8
	s_delay_alu instid0(VALU_DEP_1) | instskip(SKIP_1) | instid1(VALU_DEP_2)
	v_sub_nc_u32_e32 v164, 0x70, v149
	v_cmp_gt_u32_e32 vcc_lo, 0x71, v149
	v_dual_cndmask_b32 v164, 0, v164 :: v_dual_and_b32 v161, 0x7fffff, v150
	s_delay_alu instid0(VALU_DEP_1) | instskip(SKIP_2) | instid1(VALU_DEP_4)
	v_or_b32_e32 v167, 0x800000, v161
	v_cmp_eq_u32_e32 vcc_lo, 0, v149
	v_add_nc_u32_e32 v149, 0xffffff91, v149
	v_cndmask_b32_e64 v164, v164, 0x6f, vcc_lo
	s_delay_alu instid0(VALU_DEP_4) | instskip(NEXT) | instid1(VALU_DEP_3)
	v_cndmask_b32_e32 v161, v167, v161, vcc_lo
	v_cndmask_b32_e64 v149, v149, 0xffffff92, vcc_lo
	s_delay_alu instid0(VALU_DEP_3) | instskip(NEXT) | instid1(VALU_DEP_3)
	v_lshl_add_u32 v167, 0x200000, v164, -1
	v_lshrrev_b32_e32 v178, v164, v161
	v_lshlrev_b32_e64 v183, v164, 0x100000
	s_delay_alu instid0(VALU_DEP_4) | instskip(NEXT) | instid1(VALU_DEP_4)
	v_add_nc_u32_e32 v164, v164, v149
	v_and_b32_e32 v161, v167, v161
	s_delay_alu instid0(VALU_DEP_4) | instskip(NEXT) | instid1(VALU_DEP_2)
	v_bfe_u32 v181, v178, 21, 1
	v_cmp_eq_u32_e64 s11, v161, v183
	s_delay_alu instid0(VALU_DEP_2) | instskip(NEXT) | instid1(VALU_DEP_1)
	v_add_nc_u32_e32 v167, -1, v181
	v_cndmask_b32_e64 v161, 0, v167, s11
	v_lshrrev_b32_e32 v167, 23, v178
	s_mov_b32 s11, exec_lo
	s_delay_alu instid0(VALU_DEP_2) | instskip(NEXT) | instid1(VALU_DEP_2)
	v_add_nc_u32_e32 v161, v161, v178
	v_xor_b32_e32 v167, 1, v167
	s_delay_alu instid0(VALU_DEP_2) | instskip(NEXT) | instid1(VALU_DEP_1)
	v_and_b32_e32 v149, 0x1fffff, v161
	v_add_nc_u32_e32 v161, v149, v178
                                        ; implicit-def: $vgpr149
	s_delay_alu instid0(VALU_DEP_3)
	v_cmpx_ne_u32_e64 v164, v167
	s_xor_b32 s11, exec_lo, s11
; %bb.2427:                             ;   in Loop: Header=BB6_2080 Depth=2
	s_delay_alu instid0(VALU_DEP_2) | instskip(SKIP_2) | instid1(VALU_DEP_2)
	v_cmp_lt_u32_e32 vcc_lo, 0xffffff, v161
	v_sub_nc_u32_e32 v149, v164, v167
	v_cndmask_b32_e64 v164, 0, 1, vcc_lo
	v_add_co_ci_u32_e32 v149, vcc_lo, 0, v149, vcc_lo
	s_delay_alu instid0(VALU_DEP_2)
	v_lshrrev_b32_e32 v161, v164, v161
; %bb.2428:                             ;   in Loop: Header=BB6_2080 Depth=2
	s_and_not1_saveexec_b32 s11, s11
; %bb.2429:                             ;   in Loop: Header=BB6_2080 Depth=2
	s_delay_alu instid0(VALU_DEP_1)
	v_bfe_u32 v149, v161, 23, 1
; %bb.2430:                             ;   in Loop: Header=BB6_2080 Depth=2
	s_or_b32 exec_lo, exec_lo, s11
	v_lshrrev_b32_e32 v161, 21, v161
	s_delay_alu instid0(VALU_DEP_2) | instskip(SKIP_2) | instid1(VALU_DEP_2)
	v_cmp_gt_i32_e32 vcc_lo, 32, v149
	v_lshrrev_b32_e32 v150, 24, v150
	v_min_i32_e32 v164, 31, v149
	v_dual_cndmask_b32 v161, 3, v161 :: v_dual_and_b32 v150, 0x80, v150
	s_delay_alu instid0(VALU_DEP_1) | instskip(SKIP_1) | instid1(VALU_DEP_2)
	v_or_b32_e32 v149, v149, v161
	v_and_b32_e32 v167, 3, v161
	v_cmp_ne_u32_e32 vcc_lo, 0, v149
	v_lshlrev_b32_e32 v164, 2, v164
	s_delay_alu instid0(VALU_DEP_1) | instskip(NEXT) | instid1(VALU_DEP_1)
	v_or3_b32 v150, v164, v150, v167
	v_cndmask_b32_e32 v149, 0, v150, vcc_lo
.LBB6_2431:                             ;   in Loop: Header=BB6_2080 Depth=2
	s_or_b32 exec_lo, exec_lo, s26
.LBB6_2432:                             ;   in Loop: Header=BB6_2080 Depth=2
	s_delay_alu instid0(SALU_CYCLE_1) | instskip(SKIP_3) | instid1(VALU_DEP_1)
	s_or_b32 exec_lo, exec_lo, s25
	v_and_b32_e32 v161, 0xff, v147
	s_mov_b32 s11, 0
	s_mov_b32 s26, exec_lo
                                        ; implicit-def: $sgpr25
	v_cmpx_lt_i16_e64 0x7f, v161
	s_xor_b32 s26, exec_lo, s26
	s_cbranch_execnz .LBB6_2766
; %bb.2433:                             ;   in Loop: Header=BB6_2080 Depth=2
	s_or_saveexec_b32 s26, s26
	v_mov_b32_e32 v150, s25
	s_xor_b32 exec_lo, exec_lo, s26
	s_cbranch_execnz .LBB6_2769
.LBB6_2434:                             ;   in Loop: Header=BB6_2080 Depth=2
	s_or_b32 exec_lo, exec_lo, s26
	s_and_saveexec_b32 s25, s11
	s_cbranch_execz .LBB6_2436
.LBB6_2435:                             ;   in Loop: Header=BB6_2080 Depth=2
	v_lshrrev_b16 v167, 2, v147
	s_delay_alu instid0(VALU_DEP_1) | instskip(NEXT) | instid1(VALU_DEP_1)
	v_and_b32_e32 v167, 31, v167
	v_cmp_eq_u32_e32 vcc_lo, 0, v167
	v_and_b32_e32 v150, 3, v147
	s_delay_alu instid0(VALU_DEP_1) | instskip(NEXT) | instid1(VALU_DEP_1)
	v_clz_i32_u32_e32 v161, v150
	v_min_u32_e32 v161, 32, v161
	s_delay_alu instid0(VALU_DEP_1) | instskip(SKIP_1) | instid1(VALU_DEP_1)
	v_subrev_nc_u32_e32 v164, 29, v161
	v_sub_nc_u32_e32 v161, 30, v161
	v_dual_cndmask_b32 v161, v167, v161 :: v_dual_lshlrev_b32 v164, v164, v147
	v_lshlrev_b32_e32 v147, 24, v147
	s_delay_alu instid0(VALU_DEP_2) | instskip(NEXT) | instid1(VALU_DEP_3)
	v_and_b32_e32 v164, 3, v164
	v_lshl_add_u32 v161, v161, 23, 0x37800000
	s_delay_alu instid0(VALU_DEP_2) | instskip(NEXT) | instid1(VALU_DEP_1)
	v_dual_cndmask_b32 v150, v150, v164 :: v_dual_and_b32 v147, 0x80000000, v147
	v_lshlrev_b32_e32 v150, 21, v150
	s_delay_alu instid0(VALU_DEP_1)
	v_or3_b32 v150, v147, v161, v150
.LBB6_2436:                             ;   in Loop: Header=BB6_2080 Depth=2
	s_or_b32 exec_lo, exec_lo, s25
	s_waitcnt vmcnt(9) lgkmcnt(9)
	v_and_b32_e32 v161, 0xff, v146
	s_mov_b32 s11, 0
	s_mov_b32 s26, exec_lo
                                        ; implicit-def: $sgpr25
	s_delay_alu instid0(VALU_DEP_1)
	v_cmpx_lt_i16_e64 0x7f, v161
	s_xor_b32 s26, exec_lo, s26
	s_cbranch_execnz .LBB6_2770
; %bb.2437:                             ;   in Loop: Header=BB6_2080 Depth=2
	s_or_saveexec_b32 s26, s26
	v_mov_b32_e32 v147, s25
	s_xor_b32 exec_lo, exec_lo, s26
	s_cbranch_execnz .LBB6_2773
.LBB6_2438:                             ;   in Loop: Header=BB6_2080 Depth=2
	s_or_b32 exec_lo, exec_lo, s26
	s_and_saveexec_b32 s25, s11
	s_cbranch_execz .LBB6_2440
.LBB6_2439:                             ;   in Loop: Header=BB6_2080 Depth=2
	v_and_b32_e32 v147, 3, v146
	v_lshrrev_b16 v167, 2, v146
	s_delay_alu instid0(VALU_DEP_2) | instskip(NEXT) | instid1(VALU_DEP_2)
	v_clz_i32_u32_e32 v161, v147
	v_and_b32_e32 v167, 31, v167
	s_delay_alu instid0(VALU_DEP_2) | instskip(NEXT) | instid1(VALU_DEP_2)
	v_min_u32_e32 v161, 32, v161
	v_cmp_eq_u32_e32 vcc_lo, 0, v167
	s_delay_alu instid0(VALU_DEP_2) | instskip(SKIP_1) | instid1(VALU_DEP_1)
	v_subrev_nc_u32_e32 v164, 29, v161
	v_sub_nc_u32_e32 v161, 30, v161
	v_dual_cndmask_b32 v161, v167, v161 :: v_dual_lshlrev_b32 v164, v164, v146
	s_delay_alu instid0(VALU_DEP_1) | instskip(SKIP_1) | instid1(VALU_DEP_3)
	v_and_b32_e32 v164, 3, v164
	v_lshlrev_b32_e32 v146, 24, v146
	v_lshl_add_u32 v161, v161, 23, 0x37800000
	s_delay_alu instid0(VALU_DEP_2) | instskip(NEXT) | instid1(VALU_DEP_1)
	v_dual_cndmask_b32 v147, v147, v164 :: v_dual_and_b32 v146, 0x80000000, v146
	v_lshlrev_b32_e32 v147, 21, v147
	s_delay_alu instid0(VALU_DEP_1)
	v_or3_b32 v147, v146, v161, v147
.LBB6_2440:                             ;   in Loop: Header=BB6_2080 Depth=2
	s_or_b32 exec_lo, exec_lo, s25
	s_delay_alu instid0(VALU_DEP_1) | instskip(NEXT) | instid1(VALU_DEP_1)
	v_mul_f32_e32 v147, v150, v147
	v_and_b32_e32 v146, 0x7f800000, v147
	s_delay_alu instid0(VALU_DEP_1)
	v_cmp_ne_u32_e32 vcc_lo, 0x7f800000, v146
	v_mov_b32_e32 v146, 0x80
	s_and_saveexec_b32 s25, vcc_lo
	s_cbranch_execz .LBB6_2448
; %bb.2441:                             ;   in Loop: Header=BB6_2080 Depth=2
	v_mov_b32_e32 v146, 0
	s_mov_b32 s26, exec_lo
	v_cmpx_ne_u32_e32 0, v147
	s_cbranch_execz .LBB6_2447
; %bb.2442:                             ;   in Loop: Header=BB6_2080 Depth=2
	v_bfe_u32 v146, v147, 23, 8
	s_delay_alu instid0(VALU_DEP_1) | instskip(SKIP_1) | instid1(VALU_DEP_2)
	v_sub_nc_u32_e32 v161, 0x70, v146
	v_cmp_gt_u32_e32 vcc_lo, 0x71, v146
	v_dual_cndmask_b32 v161, 0, v161 :: v_dual_and_b32 v150, 0x7fffff, v147
	s_delay_alu instid0(VALU_DEP_1) | instskip(SKIP_2) | instid1(VALU_DEP_4)
	v_or_b32_e32 v164, 0x800000, v150
	v_cmp_eq_u32_e32 vcc_lo, 0, v146
	v_add_nc_u32_e32 v146, 0xffffff91, v146
	v_cndmask_b32_e64 v161, v161, 0x6f, vcc_lo
	s_delay_alu instid0(VALU_DEP_4) | instskip(NEXT) | instid1(VALU_DEP_3)
	v_cndmask_b32_e32 v150, v164, v150, vcc_lo
	v_cndmask_b32_e64 v146, v146, 0xffffff92, vcc_lo
	s_delay_alu instid0(VALU_DEP_3) | instskip(NEXT) | instid1(VALU_DEP_3)
	v_lshl_add_u32 v164, 0x200000, v161, -1
	v_lshrrev_b32_e32 v167, v161, v150
	v_lshlrev_b32_e64 v181, v161, 0x100000
	s_delay_alu instid0(VALU_DEP_4) | instskip(NEXT) | instid1(VALU_DEP_4)
	v_add_nc_u32_e32 v161, v161, v146
	v_and_b32_e32 v150, v164, v150
	s_delay_alu instid0(VALU_DEP_4) | instskip(NEXT) | instid1(VALU_DEP_2)
	v_bfe_u32 v178, v167, 21, 1
	v_cmp_eq_u32_e64 s11, v150, v181
	s_delay_alu instid0(VALU_DEP_2) | instskip(NEXT) | instid1(VALU_DEP_1)
	v_add_nc_u32_e32 v164, -1, v178
	v_cndmask_b32_e64 v150, 0, v164, s11
	v_lshrrev_b32_e32 v164, 23, v167
	s_mov_b32 s11, exec_lo
	s_delay_alu instid0(VALU_DEP_2) | instskip(NEXT) | instid1(VALU_DEP_2)
	v_add_nc_u32_e32 v150, v150, v167
	v_xor_b32_e32 v164, 1, v164
	s_delay_alu instid0(VALU_DEP_2) | instskip(NEXT) | instid1(VALU_DEP_1)
	v_and_b32_e32 v146, 0x1fffff, v150
	v_add_nc_u32_e32 v150, v146, v167
                                        ; implicit-def: $vgpr146
	s_delay_alu instid0(VALU_DEP_3)
	v_cmpx_ne_u32_e64 v161, v164
	s_xor_b32 s11, exec_lo, s11
; %bb.2443:                             ;   in Loop: Header=BB6_2080 Depth=2
	s_delay_alu instid0(VALU_DEP_2) | instskip(SKIP_2) | instid1(VALU_DEP_2)
	v_cmp_lt_u32_e32 vcc_lo, 0xffffff, v150
	v_sub_nc_u32_e32 v146, v161, v164
	v_cndmask_b32_e64 v161, 0, 1, vcc_lo
	v_add_co_ci_u32_e32 v146, vcc_lo, 0, v146, vcc_lo
	s_delay_alu instid0(VALU_DEP_2)
	v_lshrrev_b32_e32 v150, v161, v150
; %bb.2444:                             ;   in Loop: Header=BB6_2080 Depth=2
	s_and_not1_saveexec_b32 s11, s11
; %bb.2445:                             ;   in Loop: Header=BB6_2080 Depth=2
	s_delay_alu instid0(VALU_DEP_1)
	v_bfe_u32 v146, v150, 23, 1
; %bb.2446:                             ;   in Loop: Header=BB6_2080 Depth=2
	s_or_b32 exec_lo, exec_lo, s11
	v_lshrrev_b32_e32 v150, 21, v150
	s_delay_alu instid0(VALU_DEP_2) | instskip(SKIP_2) | instid1(VALU_DEP_2)
	v_cmp_gt_i32_e32 vcc_lo, 32, v146
	v_lshrrev_b32_e32 v147, 24, v147
	v_min_i32_e32 v161, 31, v146
	v_dual_cndmask_b32 v150, 3, v150 :: v_dual_and_b32 v147, 0x80, v147
	s_delay_alu instid0(VALU_DEP_1) | instskip(SKIP_1) | instid1(VALU_DEP_2)
	v_or_b32_e32 v146, v146, v150
	v_and_b32_e32 v164, 3, v150
	v_cmp_ne_u32_e32 vcc_lo, 0, v146
	v_lshlrev_b32_e32 v161, 2, v161
	s_delay_alu instid0(VALU_DEP_1) | instskip(NEXT) | instid1(VALU_DEP_1)
	v_or3_b32 v147, v161, v147, v164
	v_cndmask_b32_e32 v146, 0, v147, vcc_lo
.LBB6_2447:                             ;   in Loop: Header=BB6_2080 Depth=2
	s_or_b32 exec_lo, exec_lo, s26
.LBB6_2448:                             ;   in Loop: Header=BB6_2080 Depth=2
	s_delay_alu instid0(SALU_CYCLE_1) | instskip(SKIP_3) | instid1(VALU_DEP_1)
	s_or_b32 exec_lo, exec_lo, s25
	v_and_b32_e32 v150, 0xff, v101
	s_mov_b32 s11, 0
	s_mov_b32 s26, exec_lo
                                        ; implicit-def: $sgpr25
	v_cmpx_lt_i16_e64 0x7f, v150
	s_xor_b32 s26, exec_lo, s26
	s_cbranch_execnz .LBB6_2774
; %bb.2449:                             ;   in Loop: Header=BB6_2080 Depth=2
	s_or_saveexec_b32 s26, s26
	v_mov_b32_e32 v147, s25
	s_xor_b32 exec_lo, exec_lo, s26
	s_cbranch_execnz .LBB6_2777
.LBB6_2450:                             ;   in Loop: Header=BB6_2080 Depth=2
	s_or_b32 exec_lo, exec_lo, s26
	s_and_saveexec_b32 s25, s11
	s_cbranch_execz .LBB6_2452
.LBB6_2451:                             ;   in Loop: Header=BB6_2080 Depth=2
	v_lshrrev_b16 v164, 2, v101
	s_delay_alu instid0(VALU_DEP_1) | instskip(NEXT) | instid1(VALU_DEP_1)
	v_and_b32_e32 v164, 31, v164
	v_cmp_eq_u32_e32 vcc_lo, 0, v164
	v_and_b32_e32 v147, 3, v101
	s_delay_alu instid0(VALU_DEP_1) | instskip(NEXT) | instid1(VALU_DEP_1)
	v_clz_i32_u32_e32 v150, v147
	v_min_u32_e32 v150, 32, v150
	s_delay_alu instid0(VALU_DEP_1) | instskip(SKIP_1) | instid1(VALU_DEP_1)
	v_subrev_nc_u32_e32 v161, 29, v150
	v_sub_nc_u32_e32 v150, 30, v150
	v_dual_cndmask_b32 v150, v164, v150 :: v_dual_lshlrev_b32 v161, v161, v101
	v_lshlrev_b32_e32 v101, 24, v101
	s_delay_alu instid0(VALU_DEP_2) | instskip(NEXT) | instid1(VALU_DEP_3)
	v_and_b32_e32 v161, 3, v161
	v_lshl_add_u32 v150, v150, 23, 0x37800000
	s_delay_alu instid0(VALU_DEP_3) | instskip(NEXT) | instid1(VALU_DEP_3)
	v_and_b32_e32 v101, 0x80000000, v101
	v_cndmask_b32_e32 v147, v147, v161, vcc_lo
	s_delay_alu instid0(VALU_DEP_1) | instskip(NEXT) | instid1(VALU_DEP_1)
	v_lshlrev_b32_e32 v147, 21, v147
	v_or3_b32 v147, v101, v150, v147
.LBB6_2452:                             ;   in Loop: Header=BB6_2080 Depth=2
	s_or_b32 exec_lo, exec_lo, s25
	s_waitcnt vmcnt(8) lgkmcnt(8)
	v_and_b32_e32 v150, 0xff, v100
	s_mov_b32 s11, 0
	s_mov_b32 s26, exec_lo
                                        ; implicit-def: $sgpr25
	s_delay_alu instid0(VALU_DEP_1)
	v_cmpx_lt_i16_e64 0x7f, v150
	s_xor_b32 s26, exec_lo, s26
	s_cbranch_execnz .LBB6_2778
; %bb.2453:                             ;   in Loop: Header=BB6_2080 Depth=2
	s_or_saveexec_b32 s26, s26
	v_mov_b32_e32 v101, s25
	s_xor_b32 exec_lo, exec_lo, s26
	s_cbranch_execnz .LBB6_2781
.LBB6_2454:                             ;   in Loop: Header=BB6_2080 Depth=2
	s_or_b32 exec_lo, exec_lo, s26
	s_and_saveexec_b32 s25, s11
	s_cbranch_execz .LBB6_2456
.LBB6_2455:                             ;   in Loop: Header=BB6_2080 Depth=2
	v_lshrrev_b16 v164, 2, v100
	s_delay_alu instid0(VALU_DEP_1) | instskip(NEXT) | instid1(VALU_DEP_1)
	v_and_b32_e32 v164, 31, v164
	v_cmp_eq_u32_e32 vcc_lo, 0, v164
	v_and_b32_e32 v101, 3, v100
	s_delay_alu instid0(VALU_DEP_1) | instskip(NEXT) | instid1(VALU_DEP_1)
	v_clz_i32_u32_e32 v150, v101
	v_min_u32_e32 v150, 32, v150
	s_delay_alu instid0(VALU_DEP_1) | instskip(SKIP_1) | instid1(VALU_DEP_1)
	v_subrev_nc_u32_e32 v161, 29, v150
	v_sub_nc_u32_e32 v150, 30, v150
	v_dual_cndmask_b32 v150, v164, v150 :: v_dual_lshlrev_b32 v161, v161, v100
	v_lshlrev_b32_e32 v100, 24, v100
	s_delay_alu instid0(VALU_DEP_2) | instskip(NEXT) | instid1(VALU_DEP_3)
	v_and_b32_e32 v161, 3, v161
	v_lshl_add_u32 v150, v150, 23, 0x37800000
	s_delay_alu instid0(VALU_DEP_2) | instskip(NEXT) | instid1(VALU_DEP_1)
	v_dual_cndmask_b32 v101, v101, v161 :: v_dual_and_b32 v100, 0x80000000, v100
	v_lshlrev_b32_e32 v101, 21, v101
	s_delay_alu instid0(VALU_DEP_1)
	v_or3_b32 v101, v100, v150, v101
.LBB6_2456:                             ;   in Loop: Header=BB6_2080 Depth=2
	s_or_b32 exec_lo, exec_lo, s25
	s_delay_alu instid0(VALU_DEP_1) | instskip(NEXT) | instid1(VALU_DEP_1)
	v_mul_f32_e32 v101, v147, v101
	v_and_b32_e32 v100, 0x7f800000, v101
	s_delay_alu instid0(VALU_DEP_1)
	v_cmp_ne_u32_e32 vcc_lo, 0x7f800000, v100
	v_mov_b32_e32 v100, 0x80
	s_and_saveexec_b32 s25, vcc_lo
	s_cbranch_execz .LBB6_2464
; %bb.2457:                             ;   in Loop: Header=BB6_2080 Depth=2
	v_mov_b32_e32 v100, 0
	s_mov_b32 s26, exec_lo
	v_cmpx_ne_u32_e32 0, v101
	s_cbranch_execz .LBB6_2463
; %bb.2458:                             ;   in Loop: Header=BB6_2080 Depth=2
	v_bfe_u32 v100, v101, 23, 8
	s_delay_alu instid0(VALU_DEP_1) | instskip(SKIP_1) | instid1(VALU_DEP_2)
	v_sub_nc_u32_e32 v150, 0x70, v100
	v_cmp_gt_u32_e32 vcc_lo, 0x71, v100
	v_dual_cndmask_b32 v150, 0, v150 :: v_dual_and_b32 v147, 0x7fffff, v101
	s_delay_alu instid0(VALU_DEP_1) | instskip(SKIP_2) | instid1(VALU_DEP_4)
	v_or_b32_e32 v161, 0x800000, v147
	v_cmp_eq_u32_e32 vcc_lo, 0, v100
	v_add_nc_u32_e32 v100, 0xffffff91, v100
	v_cndmask_b32_e64 v150, v150, 0x6f, vcc_lo
	s_delay_alu instid0(VALU_DEP_4) | instskip(NEXT) | instid1(VALU_DEP_3)
	v_cndmask_b32_e32 v147, v161, v147, vcc_lo
	v_cndmask_b32_e64 v100, v100, 0xffffff92, vcc_lo
	s_delay_alu instid0(VALU_DEP_3) | instskip(NEXT) | instid1(VALU_DEP_3)
	v_lshl_add_u32 v161, 0x200000, v150, -1
	v_lshrrev_b32_e32 v164, v150, v147
	v_lshlrev_b32_e64 v178, v150, 0x100000
	s_delay_alu instid0(VALU_DEP_4) | instskip(NEXT) | instid1(VALU_DEP_4)
	v_add_nc_u32_e32 v150, v150, v100
	v_and_b32_e32 v147, v161, v147
	s_delay_alu instid0(VALU_DEP_4) | instskip(NEXT) | instid1(VALU_DEP_2)
	v_bfe_u32 v167, v164, 21, 1
	v_cmp_eq_u32_e64 s11, v147, v178
	s_delay_alu instid0(VALU_DEP_2) | instskip(NEXT) | instid1(VALU_DEP_1)
	v_add_nc_u32_e32 v161, -1, v167
	v_cndmask_b32_e64 v147, 0, v161, s11
	v_lshrrev_b32_e32 v161, 23, v164
	s_mov_b32 s11, exec_lo
	s_delay_alu instid0(VALU_DEP_2) | instskip(NEXT) | instid1(VALU_DEP_2)
	v_add_nc_u32_e32 v147, v147, v164
	v_xor_b32_e32 v161, 1, v161
	s_delay_alu instid0(VALU_DEP_2) | instskip(NEXT) | instid1(VALU_DEP_1)
	v_and_b32_e32 v100, 0x1fffff, v147
	v_add_nc_u32_e32 v147, v100, v164
                                        ; implicit-def: $vgpr100
	s_delay_alu instid0(VALU_DEP_3)
	v_cmpx_ne_u32_e64 v150, v161
	s_xor_b32 s11, exec_lo, s11
; %bb.2459:                             ;   in Loop: Header=BB6_2080 Depth=2
	s_delay_alu instid0(VALU_DEP_2) | instskip(SKIP_2) | instid1(VALU_DEP_2)
	v_cmp_lt_u32_e32 vcc_lo, 0xffffff, v147
	v_sub_nc_u32_e32 v100, v150, v161
	v_cndmask_b32_e64 v150, 0, 1, vcc_lo
	v_add_co_ci_u32_e32 v100, vcc_lo, 0, v100, vcc_lo
	s_delay_alu instid0(VALU_DEP_2)
	v_lshrrev_b32_e32 v147, v150, v147
; %bb.2460:                             ;   in Loop: Header=BB6_2080 Depth=2
	s_and_not1_saveexec_b32 s11, s11
; %bb.2461:                             ;   in Loop: Header=BB6_2080 Depth=2
	s_delay_alu instid0(VALU_DEP_1)
	v_bfe_u32 v100, v147, 23, 1
; %bb.2462:                             ;   in Loop: Header=BB6_2080 Depth=2
	s_or_b32 exec_lo, exec_lo, s11
	v_lshrrev_b32_e32 v147, 21, v147
	s_delay_alu instid0(VALU_DEP_2) | instskip(SKIP_2) | instid1(VALU_DEP_2)
	v_cmp_gt_i32_e32 vcc_lo, 32, v100
	v_min_i32_e32 v150, 31, v100
	v_lshrrev_b32_e32 v101, 24, v101
	v_dual_cndmask_b32 v147, 3, v147 :: v_dual_lshlrev_b32 v150, 2, v150
	s_delay_alu instid0(VALU_DEP_2) | instskip(NEXT) | instid1(VALU_DEP_2)
	v_and_b32_e32 v101, 0x80, v101
	v_or_b32_e32 v100, v100, v147
	s_delay_alu instid0(VALU_DEP_1) | instskip(SKIP_1) | instid1(VALU_DEP_1)
	v_cmp_ne_u32_e32 vcc_lo, 0, v100
	v_and_b32_e32 v161, 3, v147
	v_or3_b32 v101, v150, v101, v161
	s_delay_alu instid0(VALU_DEP_1)
	v_cndmask_b32_e32 v100, 0, v101, vcc_lo
.LBB6_2463:                             ;   in Loop: Header=BB6_2080 Depth=2
	s_or_b32 exec_lo, exec_lo, s26
.LBB6_2464:                             ;   in Loop: Header=BB6_2080 Depth=2
	s_delay_alu instid0(SALU_CYCLE_1) | instskip(SKIP_3) | instid1(VALU_DEP_1)
	s_or_b32 exec_lo, exec_lo, s25
	v_and_b32_e32 v147, 0xff, v98
	s_mov_b32 s11, 0
	s_mov_b32 s26, exec_lo
                                        ; implicit-def: $sgpr25
	v_cmpx_lt_i16_e64 0x7f, v147
	s_xor_b32 s26, exec_lo, s26
	s_cbranch_execnz .LBB6_2782
; %bb.2465:                             ;   in Loop: Header=BB6_2080 Depth=2
	s_or_saveexec_b32 s26, s26
	v_mov_b32_e32 v101, s25
	s_xor_b32 exec_lo, exec_lo, s26
	s_cbranch_execnz .LBB6_2785
.LBB6_2466:                             ;   in Loop: Header=BB6_2080 Depth=2
	s_or_b32 exec_lo, exec_lo, s26
	s_and_saveexec_b32 s25, s11
	s_cbranch_execz .LBB6_2468
.LBB6_2467:                             ;   in Loop: Header=BB6_2080 Depth=2
	v_and_b32_e32 v101, 3, v98
	v_lshrrev_b16 v161, 2, v98
	s_delay_alu instid0(VALU_DEP_2) | instskip(NEXT) | instid1(VALU_DEP_2)
	v_clz_i32_u32_e32 v147, v101
	v_and_b32_e32 v161, 31, v161
	s_delay_alu instid0(VALU_DEP_2) | instskip(NEXT) | instid1(VALU_DEP_2)
	v_min_u32_e32 v147, 32, v147
	v_cmp_eq_u32_e32 vcc_lo, 0, v161
	s_delay_alu instid0(VALU_DEP_2) | instskip(SKIP_1) | instid1(VALU_DEP_1)
	v_subrev_nc_u32_e32 v150, 29, v147
	v_sub_nc_u32_e32 v147, 30, v147
	v_dual_cndmask_b32 v147, v161, v147 :: v_dual_lshlrev_b32 v150, v150, v98
	v_lshlrev_b32_e32 v98, 24, v98
	s_delay_alu instid0(VALU_DEP_2) | instskip(NEXT) | instid1(VALU_DEP_3)
	v_and_b32_e32 v150, 3, v150
	v_lshl_add_u32 v147, v147, 23, 0x37800000
	s_delay_alu instid0(VALU_DEP_3) | instskip(NEXT) | instid1(VALU_DEP_3)
	v_and_b32_e32 v98, 0x80000000, v98
	v_cndmask_b32_e32 v101, v101, v150, vcc_lo
	s_delay_alu instid0(VALU_DEP_1) | instskip(NEXT) | instid1(VALU_DEP_1)
	v_lshlrev_b32_e32 v101, 21, v101
	v_or3_b32 v101, v98, v147, v101
.LBB6_2468:                             ;   in Loop: Header=BB6_2080 Depth=2
	s_or_b32 exec_lo, exec_lo, s25
	s_waitcnt vmcnt(7) lgkmcnt(7)
	v_and_b32_e32 v147, 0xff, v97
	s_mov_b32 s11, 0
	s_mov_b32 s26, exec_lo
                                        ; implicit-def: $sgpr25
	s_delay_alu instid0(VALU_DEP_1)
	v_cmpx_lt_i16_e64 0x7f, v147
	s_xor_b32 s26, exec_lo, s26
	s_cbranch_execnz .LBB6_2786
; %bb.2469:                             ;   in Loop: Header=BB6_2080 Depth=2
	s_or_saveexec_b32 s26, s26
	v_mov_b32_e32 v98, s25
	s_xor_b32 exec_lo, exec_lo, s26
	s_cbranch_execnz .LBB6_2789
.LBB6_2470:                             ;   in Loop: Header=BB6_2080 Depth=2
	s_or_b32 exec_lo, exec_lo, s26
	s_and_saveexec_b32 s25, s11
	s_cbranch_execz .LBB6_2472
.LBB6_2471:                             ;   in Loop: Header=BB6_2080 Depth=2
	v_lshrrev_b16 v161, 2, v97
	s_delay_alu instid0(VALU_DEP_1) | instskip(NEXT) | instid1(VALU_DEP_1)
	v_and_b32_e32 v161, 31, v161
	v_cmp_eq_u32_e32 vcc_lo, 0, v161
	v_and_b32_e32 v98, 3, v97
	s_delay_alu instid0(VALU_DEP_1) | instskip(NEXT) | instid1(VALU_DEP_1)
	v_clz_i32_u32_e32 v147, v98
	v_min_u32_e32 v147, 32, v147
	s_delay_alu instid0(VALU_DEP_1) | instskip(SKIP_1) | instid1(VALU_DEP_1)
	v_subrev_nc_u32_e32 v150, 29, v147
	v_sub_nc_u32_e32 v147, 30, v147
	v_dual_cndmask_b32 v147, v161, v147 :: v_dual_lshlrev_b32 v150, v150, v97
	v_lshlrev_b32_e32 v97, 24, v97
	s_delay_alu instid0(VALU_DEP_2) | instskip(NEXT) | instid1(VALU_DEP_3)
	v_and_b32_e32 v150, 3, v150
	v_lshl_add_u32 v147, v147, 23, 0x37800000
	s_delay_alu instid0(VALU_DEP_2) | instskip(NEXT) | instid1(VALU_DEP_1)
	v_dual_cndmask_b32 v98, v98, v150 :: v_dual_and_b32 v97, 0x80000000, v97
	v_lshlrev_b32_e32 v98, 21, v98
	s_delay_alu instid0(VALU_DEP_1)
	v_or3_b32 v98, v97, v147, v98
.LBB6_2472:                             ;   in Loop: Header=BB6_2080 Depth=2
	s_or_b32 exec_lo, exec_lo, s25
	s_delay_alu instid0(VALU_DEP_1) | instskip(NEXT) | instid1(VALU_DEP_1)
	v_mul_f32_e32 v98, v101, v98
	v_and_b32_e32 v97, 0x7f800000, v98
	s_delay_alu instid0(VALU_DEP_1)
	v_cmp_ne_u32_e32 vcc_lo, 0x7f800000, v97
	v_mov_b32_e32 v97, 0x80
	s_and_saveexec_b32 s25, vcc_lo
	s_cbranch_execz .LBB6_2480
; %bb.2473:                             ;   in Loop: Header=BB6_2080 Depth=2
	v_mov_b32_e32 v97, 0
	s_mov_b32 s26, exec_lo
	v_cmpx_ne_u32_e32 0, v98
	s_cbranch_execz .LBB6_2479
; %bb.2474:                             ;   in Loop: Header=BB6_2080 Depth=2
	v_bfe_u32 v97, v98, 23, 8
	v_and_b32_e32 v101, 0x7fffff, v98
	s_delay_alu instid0(VALU_DEP_2) | instskip(SKIP_1) | instid1(VALU_DEP_3)
	v_sub_nc_u32_e32 v147, 0x70, v97
	v_cmp_gt_u32_e32 vcc_lo, 0x71, v97
	v_or_b32_e32 v150, 0x800000, v101
	s_delay_alu instid0(VALU_DEP_3) | instskip(SKIP_2) | instid1(VALU_DEP_3)
	v_cndmask_b32_e32 v147, 0, v147, vcc_lo
	v_cmp_eq_u32_e32 vcc_lo, 0, v97
	v_add_nc_u32_e32 v97, 0xffffff91, v97
	v_cndmask_b32_e64 v147, v147, 0x6f, vcc_lo
	v_cndmask_b32_e32 v101, v150, v101, vcc_lo
	s_delay_alu instid0(VALU_DEP_3) | instskip(NEXT) | instid1(VALU_DEP_3)
	v_cndmask_b32_e64 v97, v97, 0xffffff92, vcc_lo
	v_lshl_add_u32 v150, 0x200000, v147, -1
	s_delay_alu instid0(VALU_DEP_3) | instskip(SKIP_1) | instid1(VALU_DEP_4)
	v_lshrrev_b32_e32 v161, v147, v101
	v_lshlrev_b32_e64 v167, v147, 0x100000
	v_add_nc_u32_e32 v147, v147, v97
	s_delay_alu instid0(VALU_DEP_4) | instskip(NEXT) | instid1(VALU_DEP_4)
	v_and_b32_e32 v101, v150, v101
	v_bfe_u32 v164, v161, 21, 1
	s_delay_alu instid0(VALU_DEP_2) | instskip(NEXT) | instid1(VALU_DEP_2)
	v_cmp_eq_u32_e64 s11, v101, v167
	v_add_nc_u32_e32 v150, -1, v164
	s_delay_alu instid0(VALU_DEP_1) | instskip(SKIP_2) | instid1(VALU_DEP_2)
	v_cndmask_b32_e64 v101, 0, v150, s11
	v_lshrrev_b32_e32 v150, 23, v161
	s_mov_b32 s11, exec_lo
	v_add_nc_u32_e32 v101, v101, v161
	s_delay_alu instid0(VALU_DEP_2) | instskip(NEXT) | instid1(VALU_DEP_2)
	v_xor_b32_e32 v150, 1, v150
	v_and_b32_e32 v97, 0x1fffff, v101
	s_delay_alu instid0(VALU_DEP_1) | instskip(NEXT) | instid1(VALU_DEP_3)
	v_add_nc_u32_e32 v101, v97, v161
                                        ; implicit-def: $vgpr97
	v_cmpx_ne_u32_e64 v147, v150
	s_xor_b32 s11, exec_lo, s11
; %bb.2475:                             ;   in Loop: Header=BB6_2080 Depth=2
	s_delay_alu instid0(VALU_DEP_2) | instskip(SKIP_2) | instid1(VALU_DEP_2)
	v_cmp_lt_u32_e32 vcc_lo, 0xffffff, v101
	v_sub_nc_u32_e32 v97, v147, v150
	v_cndmask_b32_e64 v147, 0, 1, vcc_lo
	v_add_co_ci_u32_e32 v97, vcc_lo, 0, v97, vcc_lo
	s_delay_alu instid0(VALU_DEP_2)
	v_lshrrev_b32_e32 v101, v147, v101
; %bb.2476:                             ;   in Loop: Header=BB6_2080 Depth=2
	s_and_not1_saveexec_b32 s11, s11
; %bb.2477:                             ;   in Loop: Header=BB6_2080 Depth=2
	s_delay_alu instid0(VALU_DEP_1)
	v_bfe_u32 v97, v101, 23, 1
; %bb.2478:                             ;   in Loop: Header=BB6_2080 Depth=2
	s_or_b32 exec_lo, exec_lo, s11
	v_lshrrev_b32_e32 v101, 21, v101
	s_delay_alu instid0(VALU_DEP_2) | instskip(SKIP_2) | instid1(VALU_DEP_2)
	v_cmp_gt_i32_e32 vcc_lo, 32, v97
	v_lshrrev_b32_e32 v98, 24, v98
	v_min_i32_e32 v147, 31, v97
	v_dual_cndmask_b32 v101, 3, v101 :: v_dual_and_b32 v98, 0x80, v98
	s_delay_alu instid0(VALU_DEP_2) | instskip(NEXT) | instid1(VALU_DEP_2)
	v_lshlrev_b32_e32 v147, 2, v147
	v_or_b32_e32 v97, v97, v101
	s_delay_alu instid0(VALU_DEP_1) | instskip(SKIP_1) | instid1(VALU_DEP_1)
	v_cmp_ne_u32_e32 vcc_lo, 0, v97
	v_and_b32_e32 v150, 3, v101
	v_or3_b32 v98, v147, v98, v150
	s_delay_alu instid0(VALU_DEP_1)
	v_cndmask_b32_e32 v97, 0, v98, vcc_lo
.LBB6_2479:                             ;   in Loop: Header=BB6_2080 Depth=2
	s_or_b32 exec_lo, exec_lo, s26
.LBB6_2480:                             ;   in Loop: Header=BB6_2080 Depth=2
	s_delay_alu instid0(SALU_CYCLE_1) | instskip(SKIP_3) | instid1(VALU_DEP_1)
	s_or_b32 exec_lo, exec_lo, s25
	v_and_b32_e32 v101, 0xff, v50
	s_mov_b32 s11, 0
	s_mov_b32 s26, exec_lo
                                        ; implicit-def: $sgpr25
	v_cmpx_lt_i16_e32 0x7f, v101
	s_xor_b32 s26, exec_lo, s26
	s_cbranch_execnz .LBB6_2790
; %bb.2481:                             ;   in Loop: Header=BB6_2080 Depth=2
	s_or_saveexec_b32 s26, s26
	v_mov_b32_e32 v98, s25
	s_xor_b32 exec_lo, exec_lo, s26
	s_cbranch_execnz .LBB6_2793
.LBB6_2482:                             ;   in Loop: Header=BB6_2080 Depth=2
	s_or_b32 exec_lo, exec_lo, s26
	s_and_saveexec_b32 s25, s11
	s_cbranch_execz .LBB6_2484
.LBB6_2483:                             ;   in Loop: Header=BB6_2080 Depth=2
	v_lshrrev_b16 v150, 2, v50
	s_delay_alu instid0(VALU_DEP_1) | instskip(NEXT) | instid1(VALU_DEP_1)
	v_and_b32_e32 v150, 31, v150
	v_cmp_eq_u32_e32 vcc_lo, 0, v150
	v_and_b32_e32 v98, 3, v50
	s_delay_alu instid0(VALU_DEP_1) | instskip(NEXT) | instid1(VALU_DEP_1)
	v_clz_i32_u32_e32 v101, v98
	v_min_u32_e32 v101, 32, v101
	s_delay_alu instid0(VALU_DEP_1) | instskip(SKIP_1) | instid1(VALU_DEP_2)
	v_subrev_nc_u32_e32 v147, 29, v101
	v_sub_nc_u32_e32 v101, 30, v101
	v_lshlrev_b32_e32 v147, v147, v50
	s_delay_alu instid0(VALU_DEP_2) | instskip(NEXT) | instid1(VALU_DEP_2)
	v_dual_cndmask_b32 v101, v150, v101 :: v_dual_lshlrev_b32 v50, 24, v50
	v_and_b32_e32 v147, 3, v147
	s_delay_alu instid0(VALU_DEP_2) | instskip(NEXT) | instid1(VALU_DEP_3)
	v_lshl_add_u32 v101, v101, 23, 0x37800000
	v_and_b32_e32 v50, 0x80000000, v50
	s_delay_alu instid0(VALU_DEP_3) | instskip(NEXT) | instid1(VALU_DEP_1)
	v_cndmask_b32_e32 v98, v98, v147, vcc_lo
	v_lshlrev_b32_e32 v98, 21, v98
	s_delay_alu instid0(VALU_DEP_1)
	v_or3_b32 v98, v50, v101, v98
.LBB6_2484:                             ;   in Loop: Header=BB6_2080 Depth=2
	s_or_b32 exec_lo, exec_lo, s25
	s_waitcnt vmcnt(6) lgkmcnt(6)
	v_and_b32_e32 v101, 0xff, v49
	s_mov_b32 s11, 0
	s_mov_b32 s26, exec_lo
                                        ; implicit-def: $sgpr25
	s_delay_alu instid0(VALU_DEP_1)
	v_cmpx_lt_i16_e32 0x7f, v101
	s_xor_b32 s26, exec_lo, s26
	s_cbranch_execnz .LBB6_2794
; %bb.2485:                             ;   in Loop: Header=BB6_2080 Depth=2
	s_or_saveexec_b32 s26, s26
	v_mov_b32_e32 v50, s25
	s_xor_b32 exec_lo, exec_lo, s26
	s_cbranch_execnz .LBB6_2797
.LBB6_2486:                             ;   in Loop: Header=BB6_2080 Depth=2
	s_or_b32 exec_lo, exec_lo, s26
	s_and_saveexec_b32 s25, s11
	s_cbranch_execz .LBB6_2488
.LBB6_2487:                             ;   in Loop: Header=BB6_2080 Depth=2
	v_and_b32_e32 v50, 3, v49
	v_lshrrev_b16 v150, 2, v49
	s_delay_alu instid0(VALU_DEP_2) | instskip(NEXT) | instid1(VALU_DEP_2)
	v_clz_i32_u32_e32 v101, v50
	v_and_b32_e32 v150, 31, v150
	s_delay_alu instid0(VALU_DEP_2) | instskip(NEXT) | instid1(VALU_DEP_2)
	v_min_u32_e32 v101, 32, v101
	v_cmp_eq_u32_e32 vcc_lo, 0, v150
	s_delay_alu instid0(VALU_DEP_2) | instskip(SKIP_1) | instid1(VALU_DEP_2)
	v_subrev_nc_u32_e32 v147, 29, v101
	v_sub_nc_u32_e32 v101, 30, v101
	v_lshlrev_b32_e32 v147, v147, v49
	s_delay_alu instid0(VALU_DEP_1) | instskip(NEXT) | instid1(VALU_DEP_1)
	v_and_b32_e32 v147, 3, v147
	v_dual_cndmask_b32 v50, v50, v147 :: v_dual_lshlrev_b32 v49, 24, v49
	s_delay_alu instid0(VALU_DEP_4) | instskip(NEXT) | instid1(VALU_DEP_2)
	v_cndmask_b32_e32 v101, v150, v101, vcc_lo
	v_and_b32_e32 v49, 0x80000000, v49
	s_delay_alu instid0(VALU_DEP_3) | instskip(NEXT) | instid1(VALU_DEP_3)
	v_lshlrev_b32_e32 v50, 21, v50
	v_lshl_add_u32 v101, v101, 23, 0x37800000
	s_delay_alu instid0(VALU_DEP_1)
	v_or3_b32 v50, v49, v101, v50
.LBB6_2488:                             ;   in Loop: Header=BB6_2080 Depth=2
	s_or_b32 exec_lo, exec_lo, s25
	s_delay_alu instid0(VALU_DEP_1) | instskip(NEXT) | instid1(VALU_DEP_1)
	v_mul_f32_e32 v50, v98, v50
	v_and_b32_e32 v49, 0x7f800000, v50
	s_delay_alu instid0(VALU_DEP_1)
	v_cmp_ne_u32_e32 vcc_lo, 0x7f800000, v49
	v_mov_b32_e32 v49, 0x80
	s_and_saveexec_b32 s25, vcc_lo
	s_cbranch_execz .LBB6_2496
; %bb.2489:                             ;   in Loop: Header=BB6_2080 Depth=2
	v_mov_b32_e32 v49, 0
	s_mov_b32 s26, exec_lo
	v_cmpx_ne_u32_e32 0, v50
	s_cbranch_execz .LBB6_2495
; %bb.2490:                             ;   in Loop: Header=BB6_2080 Depth=2
	v_bfe_u32 v49, v50, 23, 8
	s_delay_alu instid0(VALU_DEP_1) | instskip(SKIP_1) | instid1(VALU_DEP_2)
	v_sub_nc_u32_e32 v101, 0x70, v49
	v_cmp_gt_u32_e32 vcc_lo, 0x71, v49
	v_dual_cndmask_b32 v101, 0, v101 :: v_dual_and_b32 v98, 0x7fffff, v50
	s_delay_alu instid0(VALU_DEP_1) | instskip(SKIP_2) | instid1(VALU_DEP_4)
	v_or_b32_e32 v147, 0x800000, v98
	v_cmp_eq_u32_e32 vcc_lo, 0, v49
	v_add_nc_u32_e32 v49, 0xffffff91, v49
	v_cndmask_b32_e64 v101, v101, 0x6f, vcc_lo
	s_delay_alu instid0(VALU_DEP_4) | instskip(NEXT) | instid1(VALU_DEP_3)
	v_cndmask_b32_e32 v98, v147, v98, vcc_lo
	v_cndmask_b32_e64 v49, v49, 0xffffff92, vcc_lo
	s_delay_alu instid0(VALU_DEP_3) | instskip(NEXT) | instid1(VALU_DEP_3)
	v_lshl_add_u32 v147, 0x200000, v101, -1
	v_lshrrev_b32_e32 v150, v101, v98
	v_lshlrev_b32_e64 v164, v101, 0x100000
	s_delay_alu instid0(VALU_DEP_4) | instskip(NEXT) | instid1(VALU_DEP_4)
	v_add_nc_u32_e32 v101, v101, v49
	v_and_b32_e32 v98, v147, v98
	s_delay_alu instid0(VALU_DEP_4) | instskip(NEXT) | instid1(VALU_DEP_2)
	v_bfe_u32 v161, v150, 21, 1
	v_cmp_eq_u32_e64 s11, v98, v164
	s_delay_alu instid0(VALU_DEP_2) | instskip(NEXT) | instid1(VALU_DEP_1)
	v_add_nc_u32_e32 v147, -1, v161
	v_cndmask_b32_e64 v98, 0, v147, s11
	v_lshrrev_b32_e32 v147, 23, v150
	s_mov_b32 s11, exec_lo
	s_delay_alu instid0(VALU_DEP_2) | instskip(NEXT) | instid1(VALU_DEP_2)
	v_add_nc_u32_e32 v98, v98, v150
	v_xor_b32_e32 v147, 1, v147
	s_delay_alu instid0(VALU_DEP_2) | instskip(NEXT) | instid1(VALU_DEP_1)
	v_and_b32_e32 v49, 0x1fffff, v98
	v_add_nc_u32_e32 v98, v49, v150
                                        ; implicit-def: $vgpr49
	s_delay_alu instid0(VALU_DEP_3)
	v_cmpx_ne_u32_e64 v101, v147
	s_xor_b32 s11, exec_lo, s11
; %bb.2491:                             ;   in Loop: Header=BB6_2080 Depth=2
	s_delay_alu instid0(VALU_DEP_2) | instskip(SKIP_2) | instid1(VALU_DEP_2)
	v_cmp_lt_u32_e32 vcc_lo, 0xffffff, v98
	v_sub_nc_u32_e32 v49, v101, v147
	v_cndmask_b32_e64 v101, 0, 1, vcc_lo
	v_add_co_ci_u32_e32 v49, vcc_lo, 0, v49, vcc_lo
	s_delay_alu instid0(VALU_DEP_2)
	v_lshrrev_b32_e32 v98, v101, v98
; %bb.2492:                             ;   in Loop: Header=BB6_2080 Depth=2
	s_and_not1_saveexec_b32 s11, s11
; %bb.2493:                             ;   in Loop: Header=BB6_2080 Depth=2
	s_delay_alu instid0(VALU_DEP_1)
	v_bfe_u32 v49, v98, 23, 1
; %bb.2494:                             ;   in Loop: Header=BB6_2080 Depth=2
	s_or_b32 exec_lo, exec_lo, s11
	v_lshrrev_b32_e32 v98, 21, v98
	s_delay_alu instid0(VALU_DEP_2) | instskip(SKIP_2) | instid1(VALU_DEP_4)
	v_cmp_gt_i32_e32 vcc_lo, 32, v49
	v_lshrrev_b32_e32 v50, 24, v50
	v_min_i32_e32 v101, 31, v49
	v_cndmask_b32_e32 v98, 3, v98, vcc_lo
	s_delay_alu instid0(VALU_DEP_3) | instskip(NEXT) | instid1(VALU_DEP_3)
	v_and_b32_e32 v50, 0x80, v50
	v_lshlrev_b32_e32 v101, 2, v101
	s_delay_alu instid0(VALU_DEP_3) | instskip(SKIP_1) | instid1(VALU_DEP_2)
	v_and_b32_e32 v147, 3, v98
	v_or_b32_e32 v49, v49, v98
	v_or3_b32 v50, v101, v50, v147
	s_delay_alu instid0(VALU_DEP_2) | instskip(NEXT) | instid1(VALU_DEP_2)
	v_cmp_ne_u32_e32 vcc_lo, 0, v49
	v_cndmask_b32_e32 v49, 0, v50, vcc_lo
.LBB6_2495:                             ;   in Loop: Header=BB6_2080 Depth=2
	s_or_b32 exec_lo, exec_lo, s26
.LBB6_2496:                             ;   in Loop: Header=BB6_2080 Depth=2
	s_delay_alu instid0(SALU_CYCLE_1) | instskip(SKIP_3) | instid1(VALU_DEP_1)
	s_or_b32 exec_lo, exec_lo, s25
	v_and_b32_e32 v98, 0xff, v39
	s_mov_b32 s11, 0
	s_mov_b32 s26, exec_lo
                                        ; implicit-def: $sgpr25
	v_cmpx_lt_i16_e32 0x7f, v98
	s_xor_b32 s26, exec_lo, s26
	s_cbranch_execnz .LBB6_2798
; %bb.2497:                             ;   in Loop: Header=BB6_2080 Depth=2
	s_or_saveexec_b32 s26, s26
	v_mov_b32_e32 v50, s25
	s_xor_b32 exec_lo, exec_lo, s26
	s_cbranch_execnz .LBB6_2801
.LBB6_2498:                             ;   in Loop: Header=BB6_2080 Depth=2
	s_or_b32 exec_lo, exec_lo, s26
	s_and_saveexec_b32 s25, s11
	s_cbranch_execz .LBB6_2500
.LBB6_2499:                             ;   in Loop: Header=BB6_2080 Depth=2
	v_and_b32_e32 v50, 3, v39
	v_lshrrev_b16 v147, 2, v39
	s_delay_alu instid0(VALU_DEP_2) | instskip(NEXT) | instid1(VALU_DEP_2)
	v_clz_i32_u32_e32 v98, v50
	v_and_b32_e32 v147, 31, v147
	s_delay_alu instid0(VALU_DEP_2) | instskip(NEXT) | instid1(VALU_DEP_2)
	v_min_u32_e32 v98, 32, v98
	v_cmp_eq_u32_e32 vcc_lo, 0, v147
	s_delay_alu instid0(VALU_DEP_2) | instskip(SKIP_1) | instid1(VALU_DEP_1)
	v_subrev_nc_u32_e32 v101, 29, v98
	v_sub_nc_u32_e32 v98, 30, v98
	v_dual_cndmask_b32 v98, v147, v98 :: v_dual_lshlrev_b32 v101, v101, v39
	v_lshlrev_b32_e32 v39, 24, v39
	s_delay_alu instid0(VALU_DEP_2) | instskip(NEXT) | instid1(VALU_DEP_3)
	v_and_b32_e32 v101, 3, v101
	v_lshl_add_u32 v98, v98, 23, 0x37800000
	s_delay_alu instid0(VALU_DEP_2) | instskip(NEXT) | instid1(VALU_DEP_1)
	v_dual_cndmask_b32 v50, v50, v101 :: v_dual_and_b32 v39, 0x80000000, v39
	v_lshlrev_b32_e32 v50, 21, v50
	s_delay_alu instid0(VALU_DEP_1)
	v_or3_b32 v50, v39, v98, v50
.LBB6_2500:                             ;   in Loop: Header=BB6_2080 Depth=2
	s_or_b32 exec_lo, exec_lo, s25
	s_waitcnt vmcnt(5) lgkmcnt(5)
	v_and_b32_e32 v98, 0xff, v38
	s_mov_b32 s11, 0
	s_mov_b32 s26, exec_lo
                                        ; implicit-def: $sgpr25
	s_delay_alu instid0(VALU_DEP_1)
	v_cmpx_lt_i16_e32 0x7f, v98
	s_xor_b32 s26, exec_lo, s26
	s_cbranch_execnz .LBB6_2802
; %bb.2501:                             ;   in Loop: Header=BB6_2080 Depth=2
	s_or_saveexec_b32 s26, s26
	v_mov_b32_e32 v39, s25
	s_xor_b32 exec_lo, exec_lo, s26
	s_cbranch_execnz .LBB6_2805
.LBB6_2502:                             ;   in Loop: Header=BB6_2080 Depth=2
	s_or_b32 exec_lo, exec_lo, s26
	s_and_saveexec_b32 s25, s11
	s_cbranch_execz .LBB6_2504
.LBB6_2503:                             ;   in Loop: Header=BB6_2080 Depth=2
	v_and_b32_e32 v39, 3, v38
	v_lshrrev_b16 v147, 2, v38
	s_delay_alu instid0(VALU_DEP_2) | instskip(NEXT) | instid1(VALU_DEP_2)
	v_clz_i32_u32_e32 v98, v39
	v_and_b32_e32 v147, 31, v147
	s_delay_alu instid0(VALU_DEP_2) | instskip(NEXT) | instid1(VALU_DEP_2)
	v_min_u32_e32 v98, 32, v98
	v_cmp_eq_u32_e32 vcc_lo, 0, v147
	s_delay_alu instid0(VALU_DEP_2) | instskip(SKIP_1) | instid1(VALU_DEP_2)
	v_subrev_nc_u32_e32 v101, 29, v98
	v_sub_nc_u32_e32 v98, 30, v98
	v_lshlrev_b32_e32 v101, v101, v38
	s_delay_alu instid0(VALU_DEP_1) | instskip(SKIP_1) | instid1(VALU_DEP_2)
	v_dual_cndmask_b32 v98, v147, v98 :: v_dual_and_b32 v101, 3, v101
	v_lshlrev_b32_e32 v38, 24, v38
	v_lshl_add_u32 v98, v98, 23, 0x37800000
	s_delay_alu instid0(VALU_DEP_2) | instskip(NEXT) | instid1(VALU_DEP_1)
	v_dual_cndmask_b32 v39, v39, v101 :: v_dual_and_b32 v38, 0x80000000, v38
	v_lshlrev_b32_e32 v39, 21, v39
	s_delay_alu instid0(VALU_DEP_1)
	v_or3_b32 v39, v38, v98, v39
.LBB6_2504:                             ;   in Loop: Header=BB6_2080 Depth=2
	s_or_b32 exec_lo, exec_lo, s25
	s_delay_alu instid0(VALU_DEP_1) | instskip(NEXT) | instid1(VALU_DEP_1)
	v_mul_f32_e32 v39, v50, v39
	v_and_b32_e32 v38, 0x7f800000, v39
	s_delay_alu instid0(VALU_DEP_1)
	v_cmp_ne_u32_e32 vcc_lo, 0x7f800000, v38
	v_mov_b32_e32 v38, 0x80
	s_and_saveexec_b32 s25, vcc_lo
	s_cbranch_execz .LBB6_2512
; %bb.2505:                             ;   in Loop: Header=BB6_2080 Depth=2
	v_mov_b32_e32 v38, 0
	s_mov_b32 s26, exec_lo
	v_cmpx_ne_u32_e32 0, v39
	s_cbranch_execz .LBB6_2511
; %bb.2506:                             ;   in Loop: Header=BB6_2080 Depth=2
	v_bfe_u32 v38, v39, 23, 8
	v_and_b32_e32 v50, 0x7fffff, v39
	s_delay_alu instid0(VALU_DEP_2) | instskip(SKIP_1) | instid1(VALU_DEP_3)
	v_sub_nc_u32_e32 v98, 0x70, v38
	v_cmp_gt_u32_e32 vcc_lo, 0x71, v38
	v_or_b32_e32 v101, 0x800000, v50
	s_delay_alu instid0(VALU_DEP_3) | instskip(SKIP_2) | instid1(VALU_DEP_3)
	v_cndmask_b32_e32 v98, 0, v98, vcc_lo
	v_cmp_eq_u32_e32 vcc_lo, 0, v38
	v_add_nc_u32_e32 v38, 0xffffff91, v38
	v_cndmask_b32_e64 v98, v98, 0x6f, vcc_lo
	v_cndmask_b32_e32 v50, v101, v50, vcc_lo
	s_delay_alu instid0(VALU_DEP_3) | instskip(NEXT) | instid1(VALU_DEP_3)
	v_cndmask_b32_e64 v38, v38, 0xffffff92, vcc_lo
	v_lshl_add_u32 v101, 0x200000, v98, -1
	s_delay_alu instid0(VALU_DEP_3) | instskip(SKIP_1) | instid1(VALU_DEP_4)
	v_lshrrev_b32_e32 v147, v98, v50
	v_lshlrev_b32_e64 v161, v98, 0x100000
	v_add_nc_u32_e32 v98, v98, v38
	s_delay_alu instid0(VALU_DEP_4) | instskip(NEXT) | instid1(VALU_DEP_4)
	v_and_b32_e32 v50, v101, v50
	v_bfe_u32 v150, v147, 21, 1
	s_delay_alu instid0(VALU_DEP_2) | instskip(NEXT) | instid1(VALU_DEP_2)
	v_cmp_eq_u32_e64 s11, v50, v161
	v_add_nc_u32_e32 v101, -1, v150
	s_delay_alu instid0(VALU_DEP_1) | instskip(SKIP_2) | instid1(VALU_DEP_2)
	v_cndmask_b32_e64 v50, 0, v101, s11
	v_lshrrev_b32_e32 v101, 23, v147
	s_mov_b32 s11, exec_lo
	v_add_nc_u32_e32 v50, v50, v147
	s_delay_alu instid0(VALU_DEP_2) | instskip(NEXT) | instid1(VALU_DEP_2)
	v_xor_b32_e32 v101, 1, v101
	v_and_b32_e32 v38, 0x1fffff, v50
	s_delay_alu instid0(VALU_DEP_1) | instskip(NEXT) | instid1(VALU_DEP_3)
	v_add_nc_u32_e32 v50, v38, v147
                                        ; implicit-def: $vgpr38
	v_cmpx_ne_u32_e64 v98, v101
	s_xor_b32 s11, exec_lo, s11
; %bb.2507:                             ;   in Loop: Header=BB6_2080 Depth=2
	s_delay_alu instid0(VALU_DEP_2) | instskip(SKIP_2) | instid1(VALU_DEP_2)
	v_cmp_lt_u32_e32 vcc_lo, 0xffffff, v50
	v_sub_nc_u32_e32 v38, v98, v101
	v_cndmask_b32_e64 v98, 0, 1, vcc_lo
	v_add_co_ci_u32_e32 v38, vcc_lo, 0, v38, vcc_lo
	s_delay_alu instid0(VALU_DEP_2)
	v_lshrrev_b32_e32 v50, v98, v50
; %bb.2508:                             ;   in Loop: Header=BB6_2080 Depth=2
	s_and_not1_saveexec_b32 s11, s11
; %bb.2509:                             ;   in Loop: Header=BB6_2080 Depth=2
	s_delay_alu instid0(VALU_DEP_1)
	v_bfe_u32 v38, v50, 23, 1
; %bb.2510:                             ;   in Loop: Header=BB6_2080 Depth=2
	s_or_b32 exec_lo, exec_lo, s11
	v_lshrrev_b32_e32 v50, 21, v50
	s_delay_alu instid0(VALU_DEP_2) | instskip(SKIP_2) | instid1(VALU_DEP_2)
	v_cmp_gt_i32_e32 vcc_lo, 32, v38
	v_lshrrev_b32_e32 v39, 24, v39
	v_min_i32_e32 v98, 31, v38
	v_dual_cndmask_b32 v50, 3, v50 :: v_dual_and_b32 v39, 0x80, v39
	s_delay_alu instid0(VALU_DEP_2) | instskip(NEXT) | instid1(VALU_DEP_2)
	v_lshlrev_b32_e32 v98, 2, v98
	v_or_b32_e32 v38, v38, v50
	s_delay_alu instid0(VALU_DEP_1) | instskip(SKIP_1) | instid1(VALU_DEP_1)
	v_cmp_ne_u32_e32 vcc_lo, 0, v38
	v_and_b32_e32 v101, 3, v50
	v_or3_b32 v39, v98, v39, v101
	s_delay_alu instid0(VALU_DEP_1)
	v_cndmask_b32_e32 v38, 0, v39, vcc_lo
.LBB6_2511:                             ;   in Loop: Header=BB6_2080 Depth=2
	s_or_b32 exec_lo, exec_lo, s26
.LBB6_2512:                             ;   in Loop: Header=BB6_2080 Depth=2
	s_delay_alu instid0(SALU_CYCLE_1) | instskip(SKIP_3) | instid1(VALU_DEP_1)
	s_or_b32 exec_lo, exec_lo, s25
	v_and_b32_e32 v50, 0xff, v36
	s_mov_b32 s11, 0
	s_mov_b32 s26, exec_lo
                                        ; implicit-def: $sgpr25
	v_cmpx_lt_i16_e32 0x7f, v50
	s_xor_b32 s26, exec_lo, s26
	s_cbranch_execnz .LBB6_2806
; %bb.2513:                             ;   in Loop: Header=BB6_2080 Depth=2
	s_or_saveexec_b32 s26, s26
	v_mov_b32_e32 v39, s25
	s_xor_b32 exec_lo, exec_lo, s26
	s_cbranch_execnz .LBB6_2809
.LBB6_2514:                             ;   in Loop: Header=BB6_2080 Depth=2
	s_or_b32 exec_lo, exec_lo, s26
	s_and_saveexec_b32 s25, s11
	s_cbranch_execz .LBB6_2516
.LBB6_2515:                             ;   in Loop: Header=BB6_2080 Depth=2
	v_lshrrev_b16 v101, 2, v36
	s_delay_alu instid0(VALU_DEP_1) | instskip(NEXT) | instid1(VALU_DEP_1)
	v_and_b32_e32 v101, 31, v101
	v_cmp_eq_u32_e32 vcc_lo, 0, v101
	v_and_b32_e32 v39, 3, v36
	s_delay_alu instid0(VALU_DEP_1) | instskip(NEXT) | instid1(VALU_DEP_1)
	v_clz_i32_u32_e32 v50, v39
	v_min_u32_e32 v50, 32, v50
	s_delay_alu instid0(VALU_DEP_1) | instskip(SKIP_1) | instid1(VALU_DEP_2)
	v_subrev_nc_u32_e32 v98, 29, v50
	v_sub_nc_u32_e32 v50, 30, v50
	v_lshlrev_b32_e32 v98, v98, v36
	s_delay_alu instid0(VALU_DEP_2) | instskip(NEXT) | instid1(VALU_DEP_2)
	v_cndmask_b32_e32 v50, v101, v50, vcc_lo
	v_and_b32_e32 v98, 3, v98
	v_lshlrev_b32_e32 v36, 24, v36
	s_delay_alu instid0(VALU_DEP_3) | instskip(NEXT) | instid1(VALU_DEP_2)
	v_lshl_add_u32 v50, v50, 23, 0x37800000
	v_dual_cndmask_b32 v39, v39, v98 :: v_dual_and_b32 v36, 0x80000000, v36
	s_delay_alu instid0(VALU_DEP_1) | instskip(NEXT) | instid1(VALU_DEP_1)
	v_lshlrev_b32_e32 v39, 21, v39
	v_or3_b32 v39, v36, v50, v39
.LBB6_2516:                             ;   in Loop: Header=BB6_2080 Depth=2
	s_or_b32 exec_lo, exec_lo, s25
	s_waitcnt vmcnt(4) lgkmcnt(4)
	v_and_b32_e32 v50, 0xff, v35
	s_mov_b32 s11, 0
	s_mov_b32 s26, exec_lo
                                        ; implicit-def: $sgpr25
	s_delay_alu instid0(VALU_DEP_1)
	v_cmpx_lt_i16_e32 0x7f, v50
	s_xor_b32 s26, exec_lo, s26
	s_cbranch_execnz .LBB6_2810
; %bb.2517:                             ;   in Loop: Header=BB6_2080 Depth=2
	s_or_saveexec_b32 s26, s26
	v_mov_b32_e32 v36, s25
	s_xor_b32 exec_lo, exec_lo, s26
	s_cbranch_execnz .LBB6_2813
.LBB6_2518:                             ;   in Loop: Header=BB6_2080 Depth=2
	s_or_b32 exec_lo, exec_lo, s26
	s_and_saveexec_b32 s25, s11
	s_cbranch_execz .LBB6_2520
.LBB6_2519:                             ;   in Loop: Header=BB6_2080 Depth=2
	v_and_b32_e32 v36, 3, v35
	v_lshrrev_b16 v101, 2, v35
	s_delay_alu instid0(VALU_DEP_2) | instskip(NEXT) | instid1(VALU_DEP_1)
	v_clz_i32_u32_e32 v50, v36
	v_min_u32_e32 v50, 32, v50
	s_delay_alu instid0(VALU_DEP_1) | instskip(SKIP_1) | instid1(VALU_DEP_2)
	v_subrev_nc_u32_e32 v98, 29, v50
	v_sub_nc_u32_e32 v50, 30, v50
	v_lshlrev_b32_e32 v98, v98, v35
	s_delay_alu instid0(VALU_DEP_1) | instskip(SKIP_1) | instid1(VALU_DEP_1)
	v_and_b32_e32 v98, 3, v98
	v_and_b32_e32 v101, 31, v101
	v_cmp_eq_u32_e32 vcc_lo, 0, v101
	s_delay_alu instid0(VALU_DEP_3) | instskip(SKIP_1) | instid1(VALU_DEP_2)
	v_dual_cndmask_b32 v36, v36, v98 :: v_dual_lshlrev_b32 v35, 24, v35
	v_cndmask_b32_e32 v50, v101, v50, vcc_lo
	v_lshlrev_b32_e32 v36, 21, v36
	s_delay_alu instid0(VALU_DEP_3) | instskip(NEXT) | instid1(VALU_DEP_3)
	v_and_b32_e32 v35, 0x80000000, v35
	v_lshl_add_u32 v50, v50, 23, 0x37800000
	s_delay_alu instid0(VALU_DEP_1)
	v_or3_b32 v36, v35, v50, v36
.LBB6_2520:                             ;   in Loop: Header=BB6_2080 Depth=2
	s_or_b32 exec_lo, exec_lo, s25
	s_delay_alu instid0(VALU_DEP_1) | instskip(NEXT) | instid1(VALU_DEP_1)
	v_mul_f32_e32 v36, v39, v36
	v_and_b32_e32 v35, 0x7f800000, v36
	s_delay_alu instid0(VALU_DEP_1)
	v_cmp_ne_u32_e32 vcc_lo, 0x7f800000, v35
	v_mov_b32_e32 v35, 0x80
	s_and_saveexec_b32 s25, vcc_lo
	s_cbranch_execz .LBB6_2528
; %bb.2521:                             ;   in Loop: Header=BB6_2080 Depth=2
	v_mov_b32_e32 v35, 0
	s_mov_b32 s26, exec_lo
	v_cmpx_ne_u32_e32 0, v36
	s_cbranch_execz .LBB6_2527
; %bb.2522:                             ;   in Loop: Header=BB6_2080 Depth=2
	v_bfe_u32 v35, v36, 23, 8
	s_delay_alu instid0(VALU_DEP_1) | instskip(SKIP_1) | instid1(VALU_DEP_2)
	v_sub_nc_u32_e32 v50, 0x70, v35
	v_cmp_gt_u32_e32 vcc_lo, 0x71, v35
	v_dual_cndmask_b32 v50, 0, v50 :: v_dual_and_b32 v39, 0x7fffff, v36
	s_delay_alu instid0(VALU_DEP_1) | instskip(SKIP_2) | instid1(VALU_DEP_4)
	v_or_b32_e32 v98, 0x800000, v39
	v_cmp_eq_u32_e32 vcc_lo, 0, v35
	v_add_nc_u32_e32 v35, 0xffffff91, v35
	v_cndmask_b32_e64 v50, v50, 0x6f, vcc_lo
	s_delay_alu instid0(VALU_DEP_4) | instskip(NEXT) | instid1(VALU_DEP_3)
	v_cndmask_b32_e32 v39, v98, v39, vcc_lo
	v_cndmask_b32_e64 v35, v35, 0xffffff92, vcc_lo
	s_delay_alu instid0(VALU_DEP_3) | instskip(NEXT) | instid1(VALU_DEP_3)
	v_lshl_add_u32 v98, 0x200000, v50, -1
	v_lshrrev_b32_e32 v101, v50, v39
	v_lshlrev_b32_e64 v150, v50, 0x100000
	s_delay_alu instid0(VALU_DEP_4) | instskip(NEXT) | instid1(VALU_DEP_4)
	v_add_nc_u32_e32 v50, v50, v35
	v_and_b32_e32 v39, v98, v39
	s_delay_alu instid0(VALU_DEP_4) | instskip(NEXT) | instid1(VALU_DEP_2)
	v_bfe_u32 v147, v101, 21, 1
	v_cmp_eq_u32_e64 s11, v39, v150
	s_delay_alu instid0(VALU_DEP_2) | instskip(NEXT) | instid1(VALU_DEP_1)
	v_add_nc_u32_e32 v98, -1, v147
	v_cndmask_b32_e64 v39, 0, v98, s11
	v_lshrrev_b32_e32 v98, 23, v101
	s_mov_b32 s11, exec_lo
	s_delay_alu instid0(VALU_DEP_2) | instskip(NEXT) | instid1(VALU_DEP_2)
	v_add_nc_u32_e32 v39, v39, v101
	v_xor_b32_e32 v98, 1, v98
	s_delay_alu instid0(VALU_DEP_2) | instskip(NEXT) | instid1(VALU_DEP_1)
	v_and_b32_e32 v35, 0x1fffff, v39
	v_add_nc_u32_e32 v39, v35, v101
                                        ; implicit-def: $vgpr35
	s_delay_alu instid0(VALU_DEP_3)
	v_cmpx_ne_u32_e64 v50, v98
	s_xor_b32 s11, exec_lo, s11
; %bb.2523:                             ;   in Loop: Header=BB6_2080 Depth=2
	s_delay_alu instid0(VALU_DEP_2) | instskip(SKIP_2) | instid1(VALU_DEP_2)
	v_cmp_lt_u32_e32 vcc_lo, 0xffffff, v39
	v_sub_nc_u32_e32 v35, v50, v98
	v_cndmask_b32_e64 v50, 0, 1, vcc_lo
	v_add_co_ci_u32_e32 v35, vcc_lo, 0, v35, vcc_lo
	s_delay_alu instid0(VALU_DEP_2)
	v_lshrrev_b32_e32 v39, v50, v39
; %bb.2524:                             ;   in Loop: Header=BB6_2080 Depth=2
	s_and_not1_saveexec_b32 s11, s11
; %bb.2525:                             ;   in Loop: Header=BB6_2080 Depth=2
	s_delay_alu instid0(VALU_DEP_1)
	v_bfe_u32 v35, v39, 23, 1
; %bb.2526:                             ;   in Loop: Header=BB6_2080 Depth=2
	s_or_b32 exec_lo, exec_lo, s11
	v_lshrrev_b32_e32 v39, 21, v39
	s_delay_alu instid0(VALU_DEP_2) | instskip(SKIP_2) | instid1(VALU_DEP_2)
	v_cmp_gt_i32_e32 vcc_lo, 32, v35
	v_lshrrev_b32_e32 v36, 24, v36
	v_min_i32_e32 v50, 31, v35
	v_dual_cndmask_b32 v39, 3, v39 :: v_dual_and_b32 v36, 0x80, v36
	s_delay_alu instid0(VALU_DEP_2) | instskip(NEXT) | instid1(VALU_DEP_2)
	v_lshlrev_b32_e32 v50, 2, v50
	v_or_b32_e32 v35, v35, v39
	s_delay_alu instid0(VALU_DEP_1) | instskip(SKIP_1) | instid1(VALU_DEP_1)
	v_cmp_ne_u32_e32 vcc_lo, 0, v35
	v_and_b32_e32 v98, 3, v39
	v_or3_b32 v36, v50, v36, v98
	s_delay_alu instid0(VALU_DEP_1)
	v_cndmask_b32_e32 v35, 0, v36, vcc_lo
.LBB6_2527:                             ;   in Loop: Header=BB6_2080 Depth=2
	s_or_b32 exec_lo, exec_lo, s26
.LBB6_2528:                             ;   in Loop: Header=BB6_2080 Depth=2
	s_delay_alu instid0(SALU_CYCLE_1) | instskip(SKIP_3) | instid1(VALU_DEP_1)
	s_or_b32 exec_lo, exec_lo, s25
	v_and_b32_e32 v39, 0xff, v33
	s_mov_b32 s11, 0
	s_mov_b32 s26, exec_lo
                                        ; implicit-def: $sgpr25
	v_cmpx_lt_i16_e32 0x7f, v39
	s_xor_b32 s26, exec_lo, s26
	s_cbranch_execnz .LBB6_2814
; %bb.2529:                             ;   in Loop: Header=BB6_2080 Depth=2
	s_or_saveexec_b32 s26, s26
	v_mov_b32_e32 v36, s25
	s_xor_b32 exec_lo, exec_lo, s26
	s_cbranch_execnz .LBB6_2817
.LBB6_2530:                             ;   in Loop: Header=BB6_2080 Depth=2
	s_or_b32 exec_lo, exec_lo, s26
	s_and_saveexec_b32 s25, s11
	s_cbranch_execz .LBB6_2532
.LBB6_2531:                             ;   in Loop: Header=BB6_2080 Depth=2
	v_lshrrev_b16 v98, 2, v33
	s_delay_alu instid0(VALU_DEP_1) | instskip(NEXT) | instid1(VALU_DEP_1)
	v_and_b32_e32 v98, 31, v98
	v_cmp_eq_u32_e32 vcc_lo, 0, v98
	v_and_b32_e32 v36, 3, v33
	s_delay_alu instid0(VALU_DEP_1) | instskip(NEXT) | instid1(VALU_DEP_1)
	v_clz_i32_u32_e32 v39, v36
	v_min_u32_e32 v39, 32, v39
	s_delay_alu instid0(VALU_DEP_1) | instskip(SKIP_1) | instid1(VALU_DEP_2)
	v_subrev_nc_u32_e32 v50, 29, v39
	v_sub_nc_u32_e32 v39, 30, v39
	v_lshlrev_b32_e32 v50, v50, v33
	s_delay_alu instid0(VALU_DEP_1) | instskip(SKIP_1) | instid1(VALU_DEP_2)
	v_dual_cndmask_b32 v39, v98, v39 :: v_dual_and_b32 v50, 3, v50
	v_lshlrev_b32_e32 v33, 24, v33
	v_lshl_add_u32 v39, v39, 23, 0x37800000
	s_delay_alu instid0(VALU_DEP_2) | instskip(NEXT) | instid1(VALU_DEP_1)
	v_dual_cndmask_b32 v36, v36, v50 :: v_dual_and_b32 v33, 0x80000000, v33
	v_lshlrev_b32_e32 v36, 21, v36
	s_delay_alu instid0(VALU_DEP_1)
	v_or3_b32 v36, v33, v39, v36
.LBB6_2532:                             ;   in Loop: Header=BB6_2080 Depth=2
	s_or_b32 exec_lo, exec_lo, s25
	s_waitcnt vmcnt(3) lgkmcnt(3)
	v_and_b32_e32 v39, 0xff, v32
	s_mov_b32 s11, 0
	s_mov_b32 s26, exec_lo
                                        ; implicit-def: $sgpr25
	s_delay_alu instid0(VALU_DEP_1)
	v_cmpx_lt_i16_e32 0x7f, v39
	s_xor_b32 s26, exec_lo, s26
	s_cbranch_execnz .LBB6_2818
; %bb.2533:                             ;   in Loop: Header=BB6_2080 Depth=2
	s_or_saveexec_b32 s26, s26
	v_mov_b32_e32 v33, s25
	s_xor_b32 exec_lo, exec_lo, s26
	s_cbranch_execnz .LBB6_2821
.LBB6_2534:                             ;   in Loop: Header=BB6_2080 Depth=2
	s_or_b32 exec_lo, exec_lo, s26
	s_and_saveexec_b32 s25, s11
	s_cbranch_execz .LBB6_2536
.LBB6_2535:                             ;   in Loop: Header=BB6_2080 Depth=2
	v_and_b32_e32 v33, 3, v32
	v_lshrrev_b16 v98, 2, v32
	s_delay_alu instid0(VALU_DEP_2) | instskip(NEXT) | instid1(VALU_DEP_2)
	v_clz_i32_u32_e32 v39, v33
	v_and_b32_e32 v98, 31, v98
	s_delay_alu instid0(VALU_DEP_2) | instskip(NEXT) | instid1(VALU_DEP_2)
	v_min_u32_e32 v39, 32, v39
	v_cmp_eq_u32_e32 vcc_lo, 0, v98
	s_delay_alu instid0(VALU_DEP_2) | instskip(SKIP_1) | instid1(VALU_DEP_2)
	v_subrev_nc_u32_e32 v50, 29, v39
	v_sub_nc_u32_e32 v39, 30, v39
	v_lshlrev_b32_e32 v50, v50, v32
	s_delay_alu instid0(VALU_DEP_1) | instskip(SKIP_1) | instid1(VALU_DEP_2)
	v_dual_cndmask_b32 v39, v98, v39 :: v_dual_and_b32 v50, 3, v50
	v_lshlrev_b32_e32 v32, 24, v32
	v_lshl_add_u32 v39, v39, 23, 0x37800000
	s_delay_alu instid0(VALU_DEP_2) | instskip(NEXT) | instid1(VALU_DEP_1)
	v_dual_cndmask_b32 v33, v33, v50 :: v_dual_and_b32 v32, 0x80000000, v32
	v_lshlrev_b32_e32 v33, 21, v33
	s_delay_alu instid0(VALU_DEP_1)
	v_or3_b32 v33, v32, v39, v33
.LBB6_2536:                             ;   in Loop: Header=BB6_2080 Depth=2
	s_or_b32 exec_lo, exec_lo, s25
	s_delay_alu instid0(VALU_DEP_1) | instskip(NEXT) | instid1(VALU_DEP_1)
	v_mul_f32_e32 v33, v36, v33
	v_and_b32_e32 v32, 0x7f800000, v33
	s_delay_alu instid0(VALU_DEP_1)
	v_cmp_ne_u32_e32 vcc_lo, 0x7f800000, v32
	v_mov_b32_e32 v32, 0x80
	s_and_saveexec_b32 s25, vcc_lo
	s_cbranch_execz .LBB6_2544
; %bb.2537:                             ;   in Loop: Header=BB6_2080 Depth=2
	v_mov_b32_e32 v32, 0
	s_mov_b32 s26, exec_lo
	v_cmpx_ne_u32_e32 0, v33
	s_cbranch_execz .LBB6_2543
; %bb.2538:                             ;   in Loop: Header=BB6_2080 Depth=2
	v_bfe_u32 v32, v33, 23, 8
	s_delay_alu instid0(VALU_DEP_1) | instskip(SKIP_1) | instid1(VALU_DEP_2)
	v_sub_nc_u32_e32 v39, 0x70, v32
	v_cmp_gt_u32_e32 vcc_lo, 0x71, v32
	v_dual_cndmask_b32 v39, 0, v39 :: v_dual_and_b32 v36, 0x7fffff, v33
	s_delay_alu instid0(VALU_DEP_1) | instskip(SKIP_2) | instid1(VALU_DEP_4)
	v_or_b32_e32 v50, 0x800000, v36
	v_cmp_eq_u32_e32 vcc_lo, 0, v32
	v_add_nc_u32_e32 v32, 0xffffff91, v32
	v_cndmask_b32_e64 v39, v39, 0x6f, vcc_lo
	s_delay_alu instid0(VALU_DEP_4) | instskip(NEXT) | instid1(VALU_DEP_3)
	v_cndmask_b32_e32 v36, v50, v36, vcc_lo
	v_cndmask_b32_e64 v32, v32, 0xffffff92, vcc_lo
	s_delay_alu instid0(VALU_DEP_3) | instskip(NEXT) | instid1(VALU_DEP_3)
	v_lshl_add_u32 v50, 0x200000, v39, -1
	v_lshrrev_b32_e32 v98, v39, v36
	v_lshlrev_b32_e64 v147, v39, 0x100000
	s_delay_alu instid0(VALU_DEP_4) | instskip(NEXT) | instid1(VALU_DEP_4)
	v_add_nc_u32_e32 v39, v39, v32
	v_and_b32_e32 v36, v50, v36
	s_delay_alu instid0(VALU_DEP_4) | instskip(NEXT) | instid1(VALU_DEP_2)
	v_bfe_u32 v101, v98, 21, 1
	v_cmp_eq_u32_e64 s11, v36, v147
	s_delay_alu instid0(VALU_DEP_2) | instskip(NEXT) | instid1(VALU_DEP_1)
	v_add_nc_u32_e32 v50, -1, v101
	v_cndmask_b32_e64 v36, 0, v50, s11
	v_lshrrev_b32_e32 v50, 23, v98
	s_mov_b32 s11, exec_lo
	s_delay_alu instid0(VALU_DEP_2) | instskip(NEXT) | instid1(VALU_DEP_2)
	v_add_nc_u32_e32 v36, v36, v98
	v_xor_b32_e32 v50, 1, v50
	s_delay_alu instid0(VALU_DEP_2) | instskip(NEXT) | instid1(VALU_DEP_1)
	v_and_b32_e32 v32, 0x1fffff, v36
	v_add_nc_u32_e32 v36, v32, v98
                                        ; implicit-def: $vgpr32
	s_delay_alu instid0(VALU_DEP_3)
	v_cmpx_ne_u32_e64 v39, v50
	s_xor_b32 s11, exec_lo, s11
; %bb.2539:                             ;   in Loop: Header=BB6_2080 Depth=2
	s_delay_alu instid0(VALU_DEP_2) | instskip(SKIP_2) | instid1(VALU_DEP_2)
	v_cmp_lt_u32_e32 vcc_lo, 0xffffff, v36
	v_sub_nc_u32_e32 v32, v39, v50
	v_cndmask_b32_e64 v39, 0, 1, vcc_lo
	v_add_co_ci_u32_e32 v32, vcc_lo, 0, v32, vcc_lo
	s_delay_alu instid0(VALU_DEP_2)
	v_lshrrev_b32_e32 v36, v39, v36
; %bb.2540:                             ;   in Loop: Header=BB6_2080 Depth=2
	s_and_not1_saveexec_b32 s11, s11
; %bb.2541:                             ;   in Loop: Header=BB6_2080 Depth=2
	s_delay_alu instid0(VALU_DEP_1)
	v_bfe_u32 v32, v36, 23, 1
; %bb.2542:                             ;   in Loop: Header=BB6_2080 Depth=2
	s_or_b32 exec_lo, exec_lo, s11
	v_lshrrev_b32_e32 v36, 21, v36
	s_delay_alu instid0(VALU_DEP_2) | instskip(SKIP_2) | instid1(VALU_DEP_2)
	v_cmp_gt_i32_e32 vcc_lo, 32, v32
	v_lshrrev_b32_e32 v33, 24, v33
	v_min_i32_e32 v39, 31, v32
	v_dual_cndmask_b32 v36, 3, v36 :: v_dual_and_b32 v33, 0x80, v33
	s_delay_alu instid0(VALU_DEP_1) | instskip(SKIP_1) | instid1(VALU_DEP_2)
	v_or_b32_e32 v32, v32, v36
	v_and_b32_e32 v50, 3, v36
	v_cmp_ne_u32_e32 vcc_lo, 0, v32
	v_lshlrev_b32_e32 v39, 2, v39
	s_delay_alu instid0(VALU_DEP_1) | instskip(NEXT) | instid1(VALU_DEP_1)
	v_or3_b32 v33, v39, v33, v50
	v_cndmask_b32_e32 v32, 0, v33, vcc_lo
.LBB6_2543:                             ;   in Loop: Header=BB6_2080 Depth=2
	s_or_b32 exec_lo, exec_lo, s26
.LBB6_2544:                             ;   in Loop: Header=BB6_2080 Depth=2
	s_delay_alu instid0(SALU_CYCLE_1) | instskip(SKIP_3) | instid1(VALU_DEP_1)
	s_or_b32 exec_lo, exec_lo, s25
	v_and_b32_e32 v36, 0xff, v28
	s_mov_b32 s11, 0
	s_mov_b32 s26, exec_lo
                                        ; implicit-def: $sgpr25
	v_cmpx_lt_i16_e32 0x7f, v36
	s_xor_b32 s26, exec_lo, s26
	s_cbranch_execnz .LBB6_2822
; %bb.2545:                             ;   in Loop: Header=BB6_2080 Depth=2
	s_or_saveexec_b32 s26, s26
	v_mov_b32_e32 v33, s25
	s_xor_b32 exec_lo, exec_lo, s26
	s_cbranch_execnz .LBB6_2825
.LBB6_2546:                             ;   in Loop: Header=BB6_2080 Depth=2
	s_or_b32 exec_lo, exec_lo, s26
	s_and_saveexec_b32 s25, s11
	s_cbranch_execz .LBB6_2548
.LBB6_2547:                             ;   in Loop: Header=BB6_2080 Depth=2
	v_and_b32_e32 v33, 3, v28
	v_lshrrev_b16 v50, 2, v28
	s_delay_alu instid0(VALU_DEP_2) | instskip(NEXT) | instid1(VALU_DEP_1)
	v_clz_i32_u32_e32 v36, v33
	v_min_u32_e32 v36, 32, v36
	s_delay_alu instid0(VALU_DEP_1) | instskip(SKIP_1) | instid1(VALU_DEP_2)
	v_subrev_nc_u32_e32 v39, 29, v36
	v_sub_nc_u32_e32 v36, 30, v36
	v_lshlrev_b32_e32 v39, v39, v28
	v_lshlrev_b32_e32 v28, 24, v28
	s_delay_alu instid0(VALU_DEP_2) | instskip(SKIP_1) | instid1(VALU_DEP_3)
	v_and_b32_e32 v39, 3, v39
	v_and_b32_e32 v50, 31, v50
	v_and_b32_e32 v28, 0x80000000, v28
	s_delay_alu instid0(VALU_DEP_2) | instskip(NEXT) | instid1(VALU_DEP_4)
	v_cmp_eq_u32_e32 vcc_lo, 0, v50
	v_dual_cndmask_b32 v33, v33, v39 :: v_dual_cndmask_b32 v36, v50, v36
	s_delay_alu instid0(VALU_DEP_1) | instskip(NEXT) | instid1(VALU_DEP_2)
	v_lshlrev_b32_e32 v33, 21, v33
	v_lshl_add_u32 v36, v36, 23, 0x37800000
	s_delay_alu instid0(VALU_DEP_1)
	v_or3_b32 v33, v28, v36, v33
.LBB6_2548:                             ;   in Loop: Header=BB6_2080 Depth=2
	s_or_b32 exec_lo, exec_lo, s25
	s_waitcnt vmcnt(2) lgkmcnt(2)
	v_and_b32_e32 v36, 0xff, v27
	s_mov_b32 s11, 0
	s_mov_b32 s26, exec_lo
                                        ; implicit-def: $sgpr25
	s_delay_alu instid0(VALU_DEP_1)
	v_cmpx_lt_i16_e32 0x7f, v36
	s_xor_b32 s26, exec_lo, s26
	s_cbranch_execnz .LBB6_2826
; %bb.2549:                             ;   in Loop: Header=BB6_2080 Depth=2
	s_or_saveexec_b32 s26, s26
	v_mov_b32_e32 v28, s25
	s_xor_b32 exec_lo, exec_lo, s26
	s_cbranch_execnz .LBB6_2829
.LBB6_2550:                             ;   in Loop: Header=BB6_2080 Depth=2
	s_or_b32 exec_lo, exec_lo, s26
	s_and_saveexec_b32 s25, s11
	s_cbranch_execz .LBB6_2552
.LBB6_2551:                             ;   in Loop: Header=BB6_2080 Depth=2
	v_and_b32_e32 v28, 3, v27
	v_lshrrev_b16 v50, 2, v27
	s_delay_alu instid0(VALU_DEP_2) | instskip(NEXT) | instid1(VALU_DEP_2)
	v_clz_i32_u32_e32 v36, v28
	v_and_b32_e32 v50, 31, v50
	s_delay_alu instid0(VALU_DEP_2) | instskip(NEXT) | instid1(VALU_DEP_2)
	v_min_u32_e32 v36, 32, v36
	v_cmp_eq_u32_e32 vcc_lo, 0, v50
	s_delay_alu instid0(VALU_DEP_2) | instskip(SKIP_1) | instid1(VALU_DEP_1)
	v_subrev_nc_u32_e32 v39, 29, v36
	v_sub_nc_u32_e32 v36, 30, v36
	v_dual_cndmask_b32 v36, v50, v36 :: v_dual_lshlrev_b32 v39, v39, v27
	v_lshlrev_b32_e32 v27, 24, v27
	s_delay_alu instid0(VALU_DEP_2) | instskip(NEXT) | instid1(VALU_DEP_3)
	v_and_b32_e32 v39, 3, v39
	v_lshl_add_u32 v36, v36, 23, 0x37800000
	s_delay_alu instid0(VALU_DEP_3) | instskip(NEXT) | instid1(VALU_DEP_3)
	v_and_b32_e32 v27, 0x80000000, v27
	v_cndmask_b32_e32 v28, v28, v39, vcc_lo
	s_delay_alu instid0(VALU_DEP_1) | instskip(NEXT) | instid1(VALU_DEP_1)
	v_lshlrev_b32_e32 v28, 21, v28
	v_or3_b32 v28, v27, v36, v28
.LBB6_2552:                             ;   in Loop: Header=BB6_2080 Depth=2
	s_or_b32 exec_lo, exec_lo, s25
	s_delay_alu instid0(VALU_DEP_1) | instskip(NEXT) | instid1(VALU_DEP_1)
	v_mul_f32_e32 v28, v33, v28
	v_and_b32_e32 v27, 0x7f800000, v28
	s_delay_alu instid0(VALU_DEP_1)
	v_cmp_ne_u32_e32 vcc_lo, 0x7f800000, v27
	v_mov_b32_e32 v27, 0x80
	s_and_saveexec_b32 s25, vcc_lo
	s_cbranch_execz .LBB6_2560
; %bb.2553:                             ;   in Loop: Header=BB6_2080 Depth=2
	v_mov_b32_e32 v27, 0
	s_mov_b32 s26, exec_lo
	v_cmpx_ne_u32_e32 0, v28
	s_cbranch_execz .LBB6_2559
; %bb.2554:                             ;   in Loop: Header=BB6_2080 Depth=2
	v_bfe_u32 v27, v28, 23, 8
	v_and_b32_e32 v33, 0x7fffff, v28
	s_delay_alu instid0(VALU_DEP_2) | instskip(SKIP_1) | instid1(VALU_DEP_3)
	v_sub_nc_u32_e32 v36, 0x70, v27
	v_cmp_gt_u32_e32 vcc_lo, 0x71, v27
	v_or_b32_e32 v39, 0x800000, v33
	s_delay_alu instid0(VALU_DEP_3) | instskip(SKIP_2) | instid1(VALU_DEP_4)
	v_cndmask_b32_e32 v36, 0, v36, vcc_lo
	v_cmp_eq_u32_e32 vcc_lo, 0, v27
	v_add_nc_u32_e32 v27, 0xffffff91, v27
	v_cndmask_b32_e32 v33, v39, v33, vcc_lo
	s_delay_alu instid0(VALU_DEP_4) | instskip(NEXT) | instid1(VALU_DEP_3)
	v_cndmask_b32_e64 v36, v36, 0x6f, vcc_lo
	v_cndmask_b32_e64 v27, v27, 0xffffff92, vcc_lo
	s_delay_alu instid0(VALU_DEP_2) | instskip(SKIP_2) | instid1(VALU_DEP_4)
	v_lshrrev_b32_e32 v50, v36, v33
	v_lshl_add_u32 v39, 0x200000, v36, -1
	v_lshlrev_b32_e64 v101, v36, 0x100000
	v_add_nc_u32_e32 v36, v36, v27
	s_delay_alu instid0(VALU_DEP_4) | instskip(NEXT) | instid1(VALU_DEP_4)
	v_bfe_u32 v98, v50, 21, 1
	v_and_b32_e32 v33, v39, v33
	s_delay_alu instid0(VALU_DEP_2) | instskip(NEXT) | instid1(VALU_DEP_2)
	v_add_nc_u32_e32 v39, -1, v98
	v_cmp_eq_u32_e64 s11, v33, v101
	s_delay_alu instid0(VALU_DEP_1) | instskip(SKIP_2) | instid1(VALU_DEP_2)
	v_cndmask_b32_e64 v33, 0, v39, s11
	v_lshrrev_b32_e32 v39, 23, v50
	s_mov_b32 s11, exec_lo
	v_add_nc_u32_e32 v33, v33, v50
	s_delay_alu instid0(VALU_DEP_2) | instskip(NEXT) | instid1(VALU_DEP_2)
	v_xor_b32_e32 v39, 1, v39
	v_and_b32_e32 v27, 0x1fffff, v33
	s_delay_alu instid0(VALU_DEP_1) | instskip(NEXT) | instid1(VALU_DEP_3)
	v_add_nc_u32_e32 v33, v27, v50
                                        ; implicit-def: $vgpr27
	v_cmpx_ne_u32_e64 v36, v39
	s_xor_b32 s11, exec_lo, s11
; %bb.2555:                             ;   in Loop: Header=BB6_2080 Depth=2
	s_delay_alu instid0(VALU_DEP_2) | instskip(SKIP_2) | instid1(VALU_DEP_2)
	v_cmp_lt_u32_e32 vcc_lo, 0xffffff, v33
	v_sub_nc_u32_e32 v27, v36, v39
	v_cndmask_b32_e64 v36, 0, 1, vcc_lo
	v_add_co_ci_u32_e32 v27, vcc_lo, 0, v27, vcc_lo
	s_delay_alu instid0(VALU_DEP_2)
	v_lshrrev_b32_e32 v33, v36, v33
; %bb.2556:                             ;   in Loop: Header=BB6_2080 Depth=2
	s_and_not1_saveexec_b32 s11, s11
; %bb.2557:                             ;   in Loop: Header=BB6_2080 Depth=2
	s_delay_alu instid0(VALU_DEP_1)
	v_bfe_u32 v27, v33, 23, 1
; %bb.2558:                             ;   in Loop: Header=BB6_2080 Depth=2
	s_or_b32 exec_lo, exec_lo, s11
	v_lshrrev_b32_e32 v33, 21, v33
	s_delay_alu instid0(VALU_DEP_2) | instskip(SKIP_2) | instid1(VALU_DEP_2)
	v_cmp_gt_i32_e32 vcc_lo, 32, v27
	v_lshrrev_b32_e32 v28, 24, v28
	v_min_i32_e32 v36, 31, v27
	v_dual_cndmask_b32 v33, 3, v33 :: v_dual_and_b32 v28, 0x80, v28
	s_delay_alu instid0(VALU_DEP_2) | instskip(NEXT) | instid1(VALU_DEP_2)
	v_lshlrev_b32_e32 v36, 2, v36
	v_and_b32_e32 v39, 3, v33
	v_or_b32_e32 v27, v27, v33
	s_delay_alu instid0(VALU_DEP_2) | instskip(NEXT) | instid1(VALU_DEP_2)
	v_or3_b32 v28, v36, v28, v39
	v_cmp_ne_u32_e32 vcc_lo, 0, v27
	s_delay_alu instid0(VALU_DEP_2)
	v_cndmask_b32_e32 v27, 0, v28, vcc_lo
.LBB6_2559:                             ;   in Loop: Header=BB6_2080 Depth=2
	s_or_b32 exec_lo, exec_lo, s26
.LBB6_2560:                             ;   in Loop: Header=BB6_2080 Depth=2
	s_delay_alu instid0(SALU_CYCLE_1) | instskip(SKIP_3) | instid1(VALU_DEP_1)
	s_or_b32 exec_lo, exec_lo, s25
	v_and_b32_e32 v33, 0xff, v25
	s_mov_b32 s11, 0
	s_mov_b32 s26, exec_lo
                                        ; implicit-def: $sgpr25
	v_cmpx_lt_i16_e32 0x7f, v33
	s_xor_b32 s26, exec_lo, s26
	s_cbranch_execnz .LBB6_2830
; %bb.2561:                             ;   in Loop: Header=BB6_2080 Depth=2
	s_or_saveexec_b32 s26, s26
	v_mov_b32_e32 v28, s25
	s_xor_b32 exec_lo, exec_lo, s26
	s_cbranch_execnz .LBB6_2833
.LBB6_2562:                             ;   in Loop: Header=BB6_2080 Depth=2
	s_or_b32 exec_lo, exec_lo, s26
	s_and_saveexec_b32 s25, s11
	s_cbranch_execz .LBB6_2564
.LBB6_2563:                             ;   in Loop: Header=BB6_2080 Depth=2
	v_and_b32_e32 v28, 3, v25
	v_lshrrev_b16 v39, 2, v25
	s_delay_alu instid0(VALU_DEP_2) | instskip(NEXT) | instid1(VALU_DEP_1)
	v_clz_i32_u32_e32 v33, v28
	v_min_u32_e32 v33, 32, v33
	s_delay_alu instid0(VALU_DEP_1) | instskip(SKIP_1) | instid1(VALU_DEP_2)
	v_subrev_nc_u32_e32 v36, 29, v33
	v_sub_nc_u32_e32 v33, 30, v33
	v_lshlrev_b32_e32 v36, v36, v25
	v_lshlrev_b32_e32 v25, 24, v25
	s_delay_alu instid0(VALU_DEP_2) | instskip(SKIP_1) | instid1(VALU_DEP_3)
	v_and_b32_e32 v36, 3, v36
	v_and_b32_e32 v39, 31, v39
	;; [unrolled: 1-line block ×3, first 2 shown]
	s_delay_alu instid0(VALU_DEP_2) | instskip(NEXT) | instid1(VALU_DEP_4)
	v_cmp_eq_u32_e32 vcc_lo, 0, v39
	v_dual_cndmask_b32 v28, v28, v36 :: v_dual_cndmask_b32 v33, v39, v33
	s_delay_alu instid0(VALU_DEP_1) | instskip(NEXT) | instid1(VALU_DEP_2)
	v_lshlrev_b32_e32 v28, 21, v28
	v_lshl_add_u32 v33, v33, 23, 0x37800000
	s_delay_alu instid0(VALU_DEP_1)
	v_or3_b32 v28, v25, v33, v28
.LBB6_2564:                             ;   in Loop: Header=BB6_2080 Depth=2
	s_or_b32 exec_lo, exec_lo, s25
	s_waitcnt vmcnt(1) lgkmcnt(1)
	v_and_b32_e32 v33, 0xff, v24
	s_mov_b32 s11, 0
	s_mov_b32 s26, exec_lo
                                        ; implicit-def: $sgpr25
	s_delay_alu instid0(VALU_DEP_1)
	v_cmpx_lt_i16_e32 0x7f, v33
	s_xor_b32 s26, exec_lo, s26
	s_cbranch_execnz .LBB6_2834
; %bb.2565:                             ;   in Loop: Header=BB6_2080 Depth=2
	s_or_saveexec_b32 s26, s26
	v_mov_b32_e32 v25, s25
	s_xor_b32 exec_lo, exec_lo, s26
	s_cbranch_execnz .LBB6_2837
.LBB6_2566:                             ;   in Loop: Header=BB6_2080 Depth=2
	s_or_b32 exec_lo, exec_lo, s26
	s_and_saveexec_b32 s25, s11
	s_cbranch_execz .LBB6_2568
.LBB6_2567:                             ;   in Loop: Header=BB6_2080 Depth=2
	v_and_b32_e32 v25, 3, v24
	v_lshrrev_b16 v39, 2, v24
	s_delay_alu instid0(VALU_DEP_2) | instskip(NEXT) | instid1(VALU_DEP_2)
	v_clz_i32_u32_e32 v33, v25
	v_and_b32_e32 v39, 31, v39
	s_delay_alu instid0(VALU_DEP_2) | instskip(NEXT) | instid1(VALU_DEP_2)
	v_min_u32_e32 v33, 32, v33
	v_cmp_eq_u32_e32 vcc_lo, 0, v39
	s_delay_alu instid0(VALU_DEP_2) | instskip(SKIP_1) | instid1(VALU_DEP_1)
	v_subrev_nc_u32_e32 v36, 29, v33
	v_sub_nc_u32_e32 v33, 30, v33
	v_dual_cndmask_b32 v33, v39, v33 :: v_dual_lshlrev_b32 v36, v36, v24
	v_lshlrev_b32_e32 v24, 24, v24
	s_delay_alu instid0(VALU_DEP_2) | instskip(NEXT) | instid1(VALU_DEP_3)
	v_and_b32_e32 v36, 3, v36
	v_lshl_add_u32 v33, v33, 23, 0x37800000
	s_delay_alu instid0(VALU_DEP_3) | instskip(NEXT) | instid1(VALU_DEP_3)
	v_and_b32_e32 v24, 0x80000000, v24
	v_cndmask_b32_e32 v25, v25, v36, vcc_lo
	s_delay_alu instid0(VALU_DEP_1) | instskip(NEXT) | instid1(VALU_DEP_1)
	v_lshlrev_b32_e32 v25, 21, v25
	v_or3_b32 v25, v24, v33, v25
.LBB6_2568:                             ;   in Loop: Header=BB6_2080 Depth=2
	s_or_b32 exec_lo, exec_lo, s25
	s_delay_alu instid0(VALU_DEP_1) | instskip(NEXT) | instid1(VALU_DEP_1)
	v_mul_f32_e32 v25, v28, v25
	v_and_b32_e32 v24, 0x7f800000, v25
	s_delay_alu instid0(VALU_DEP_1)
	v_cmp_ne_u32_e32 vcc_lo, 0x7f800000, v24
	v_mov_b32_e32 v24, 0x80
	s_and_saveexec_b32 s25, vcc_lo
	s_cbranch_execz .LBB6_2576
; %bb.2569:                             ;   in Loop: Header=BB6_2080 Depth=2
	v_mov_b32_e32 v24, 0
	s_mov_b32 s26, exec_lo
	v_cmpx_ne_u32_e32 0, v25
	s_cbranch_execz .LBB6_2575
; %bb.2570:                             ;   in Loop: Header=BB6_2080 Depth=2
	v_bfe_u32 v24, v25, 23, 8
	v_and_b32_e32 v28, 0x7fffff, v25
	s_delay_alu instid0(VALU_DEP_2) | instskip(SKIP_1) | instid1(VALU_DEP_3)
	v_sub_nc_u32_e32 v33, 0x70, v24
	v_cmp_gt_u32_e32 vcc_lo, 0x71, v24
	v_or_b32_e32 v36, 0x800000, v28
	s_delay_alu instid0(VALU_DEP_3) | instskip(SKIP_2) | instid1(VALU_DEP_4)
	v_cndmask_b32_e32 v33, 0, v33, vcc_lo
	v_cmp_eq_u32_e32 vcc_lo, 0, v24
	v_add_nc_u32_e32 v24, 0xffffff91, v24
	v_cndmask_b32_e32 v28, v36, v28, vcc_lo
	s_delay_alu instid0(VALU_DEP_4) | instskip(NEXT) | instid1(VALU_DEP_3)
	v_cndmask_b32_e64 v33, v33, 0x6f, vcc_lo
	v_cndmask_b32_e64 v24, v24, 0xffffff92, vcc_lo
	s_delay_alu instid0(VALU_DEP_2) | instskip(SKIP_2) | instid1(VALU_DEP_4)
	v_lshrrev_b32_e32 v39, v33, v28
	v_lshl_add_u32 v36, 0x200000, v33, -1
	v_lshlrev_b32_e64 v98, v33, 0x100000
	v_add_nc_u32_e32 v33, v33, v24
	s_delay_alu instid0(VALU_DEP_4) | instskip(NEXT) | instid1(VALU_DEP_4)
	v_bfe_u32 v50, v39, 21, 1
	v_and_b32_e32 v28, v36, v28
	s_delay_alu instid0(VALU_DEP_2) | instskip(NEXT) | instid1(VALU_DEP_2)
	v_add_nc_u32_e32 v36, -1, v50
	v_cmp_eq_u32_e64 s11, v28, v98
	s_delay_alu instid0(VALU_DEP_1) | instskip(SKIP_2) | instid1(VALU_DEP_2)
	v_cndmask_b32_e64 v28, 0, v36, s11
	v_lshrrev_b32_e32 v36, 23, v39
	s_mov_b32 s11, exec_lo
	v_add_nc_u32_e32 v28, v28, v39
	s_delay_alu instid0(VALU_DEP_2) | instskip(NEXT) | instid1(VALU_DEP_2)
	v_xor_b32_e32 v36, 1, v36
	v_and_b32_e32 v24, 0x1fffff, v28
	s_delay_alu instid0(VALU_DEP_1) | instskip(NEXT) | instid1(VALU_DEP_3)
	v_add_nc_u32_e32 v28, v24, v39
                                        ; implicit-def: $vgpr24
	v_cmpx_ne_u32_e64 v33, v36
	s_xor_b32 s11, exec_lo, s11
; %bb.2571:                             ;   in Loop: Header=BB6_2080 Depth=2
	s_delay_alu instid0(VALU_DEP_2) | instskip(SKIP_2) | instid1(VALU_DEP_2)
	v_cmp_lt_u32_e32 vcc_lo, 0xffffff, v28
	v_sub_nc_u32_e32 v24, v33, v36
	v_cndmask_b32_e64 v33, 0, 1, vcc_lo
	v_add_co_ci_u32_e32 v24, vcc_lo, 0, v24, vcc_lo
	s_delay_alu instid0(VALU_DEP_2)
	v_lshrrev_b32_e32 v28, v33, v28
; %bb.2572:                             ;   in Loop: Header=BB6_2080 Depth=2
	s_and_not1_saveexec_b32 s11, s11
; %bb.2573:                             ;   in Loop: Header=BB6_2080 Depth=2
	s_delay_alu instid0(VALU_DEP_1)
	v_bfe_u32 v24, v28, 23, 1
; %bb.2574:                             ;   in Loop: Header=BB6_2080 Depth=2
	s_or_b32 exec_lo, exec_lo, s11
	v_lshrrev_b32_e32 v28, 21, v28
	s_delay_alu instid0(VALU_DEP_2) | instskip(SKIP_2) | instid1(VALU_DEP_2)
	v_cmp_gt_i32_e32 vcc_lo, 32, v24
	v_lshrrev_b32_e32 v25, 24, v25
	v_min_i32_e32 v33, 31, v24
	v_dual_cndmask_b32 v28, 3, v28 :: v_dual_and_b32 v25, 0x80, v25
	s_delay_alu instid0(VALU_DEP_2) | instskip(NEXT) | instid1(VALU_DEP_2)
	v_lshlrev_b32_e32 v33, 2, v33
	v_and_b32_e32 v36, 3, v28
	v_or_b32_e32 v24, v24, v28
	s_delay_alu instid0(VALU_DEP_2) | instskip(NEXT) | instid1(VALU_DEP_2)
	v_or3_b32 v25, v33, v25, v36
	v_cmp_ne_u32_e32 vcc_lo, 0, v24
	s_delay_alu instid0(VALU_DEP_2)
	v_cndmask_b32_e32 v24, 0, v25, vcc_lo
.LBB6_2575:                             ;   in Loop: Header=BB6_2080 Depth=2
	s_or_b32 exec_lo, exec_lo, s26
.LBB6_2576:                             ;   in Loop: Header=BB6_2080 Depth=2
	s_delay_alu instid0(SALU_CYCLE_1) | instskip(SKIP_3) | instid1(VALU_DEP_1)
	s_or_b32 exec_lo, exec_lo, s25
	v_and_b32_e32 v28, 0xff, v22
	s_mov_b32 s11, 0
	s_mov_b32 s26, exec_lo
                                        ; implicit-def: $sgpr25
	v_cmpx_lt_i16_e32 0x7f, v28
	s_xor_b32 s26, exec_lo, s26
	s_cbranch_execnz .LBB6_2838
; %bb.2577:                             ;   in Loop: Header=BB6_2080 Depth=2
	s_or_saveexec_b32 s26, s26
	v_mov_b32_e32 v25, s25
	s_xor_b32 exec_lo, exec_lo, s26
	s_cbranch_execnz .LBB6_2841
.LBB6_2578:                             ;   in Loop: Header=BB6_2080 Depth=2
	s_or_b32 exec_lo, exec_lo, s26
	s_and_saveexec_b32 s25, s11
	s_cbranch_execz .LBB6_2580
.LBB6_2579:                             ;   in Loop: Header=BB6_2080 Depth=2
	v_lshrrev_b16 v36, 2, v22
	s_delay_alu instid0(VALU_DEP_1) | instskip(NEXT) | instid1(VALU_DEP_1)
	v_and_b32_e32 v36, 31, v36
	v_cmp_eq_u32_e32 vcc_lo, 0, v36
	v_and_b32_e32 v25, 3, v22
	s_delay_alu instid0(VALU_DEP_1) | instskip(NEXT) | instid1(VALU_DEP_1)
	v_clz_i32_u32_e32 v28, v25
	v_min_u32_e32 v28, 32, v28
	s_delay_alu instid0(VALU_DEP_1) | instskip(SKIP_1) | instid1(VALU_DEP_1)
	v_subrev_nc_u32_e32 v33, 29, v28
	v_sub_nc_u32_e32 v28, 30, v28
	v_dual_cndmask_b32 v28, v36, v28 :: v_dual_lshlrev_b32 v33, v33, v22
	v_lshlrev_b32_e32 v22, 24, v22
	s_delay_alu instid0(VALU_DEP_2) | instskip(NEXT) | instid1(VALU_DEP_3)
	v_and_b32_e32 v33, 3, v33
	v_lshl_add_u32 v28, v28, 23, 0x37800000
	s_delay_alu instid0(VALU_DEP_2) | instskip(NEXT) | instid1(VALU_DEP_1)
	v_dual_cndmask_b32 v25, v25, v33 :: v_dual_and_b32 v22, 0x80000000, v22
	v_lshlrev_b32_e32 v25, 21, v25
	s_delay_alu instid0(VALU_DEP_1)
	v_or3_b32 v25, v22, v28, v25
.LBB6_2580:                             ;   in Loop: Header=BB6_2080 Depth=2
	s_or_b32 exec_lo, exec_lo, s25
	s_waitcnt vmcnt(0) lgkmcnt(0)
	v_and_b32_e32 v28, 0xff, v21
	s_mov_b32 s11, 0
	s_mov_b32 s26, exec_lo
                                        ; implicit-def: $sgpr25
	s_delay_alu instid0(VALU_DEP_1)
	v_cmpx_lt_i16_e32 0x7f, v28
	s_xor_b32 s26, exec_lo, s26
	s_cbranch_execnz .LBB6_2842
; %bb.2581:                             ;   in Loop: Header=BB6_2080 Depth=2
	s_or_saveexec_b32 s26, s26
	v_mov_b32_e32 v22, s25
	s_xor_b32 exec_lo, exec_lo, s26
	s_cbranch_execnz .LBB6_2845
.LBB6_2582:                             ;   in Loop: Header=BB6_2080 Depth=2
	s_or_b32 exec_lo, exec_lo, s26
	s_and_saveexec_b32 s25, s11
	s_cbranch_execz .LBB6_2584
.LBB6_2583:                             ;   in Loop: Header=BB6_2080 Depth=2
	v_and_b32_e32 v22, 3, v21
	v_lshrrev_b16 v36, 2, v21
	s_delay_alu instid0(VALU_DEP_2) | instskip(NEXT) | instid1(VALU_DEP_2)
	v_clz_i32_u32_e32 v28, v22
	v_and_b32_e32 v36, 31, v36
	s_delay_alu instid0(VALU_DEP_2) | instskip(NEXT) | instid1(VALU_DEP_2)
	v_min_u32_e32 v28, 32, v28
	v_cmp_eq_u32_e32 vcc_lo, 0, v36
	s_delay_alu instid0(VALU_DEP_2) | instskip(SKIP_1) | instid1(VALU_DEP_1)
	v_subrev_nc_u32_e32 v33, 29, v28
	v_sub_nc_u32_e32 v28, 30, v28
	v_dual_cndmask_b32 v28, v36, v28 :: v_dual_lshlrev_b32 v33, v33, v21
	v_lshlrev_b32_e32 v21, 24, v21
	s_delay_alu instid0(VALU_DEP_2) | instskip(NEXT) | instid1(VALU_DEP_3)
	v_and_b32_e32 v33, 3, v33
	v_lshl_add_u32 v28, v28, 23, 0x37800000
	s_delay_alu instid0(VALU_DEP_3) | instskip(NEXT) | instid1(VALU_DEP_3)
	v_and_b32_e32 v21, 0x80000000, v21
	v_cndmask_b32_e32 v22, v22, v33, vcc_lo
	s_delay_alu instid0(VALU_DEP_1) | instskip(NEXT) | instid1(VALU_DEP_1)
	v_lshlrev_b32_e32 v22, 21, v22
	v_or3_b32 v22, v21, v28, v22
.LBB6_2584:                             ;   in Loop: Header=BB6_2080 Depth=2
	s_or_b32 exec_lo, exec_lo, s25
	s_delay_alu instid0(VALU_DEP_1) | instskip(NEXT) | instid1(VALU_DEP_1)
	v_mul_f32_e32 v22, v25, v22
	v_and_b32_e32 v21, 0x7f800000, v22
	s_delay_alu instid0(VALU_DEP_1)
	v_cmp_ne_u32_e32 vcc_lo, 0x7f800000, v21
	v_mov_b32_e32 v21, 0x80
	s_and_saveexec_b32 s25, vcc_lo
	s_cbranch_execz .LBB6_2079
; %bb.2585:                             ;   in Loop: Header=BB6_2080 Depth=2
	v_mov_b32_e32 v21, 0
	s_mov_b32 s26, exec_lo
	v_cmpx_ne_u32_e32 0, v22
	s_cbranch_execz .LBB6_2078
; %bb.2586:                             ;   in Loop: Header=BB6_2080 Depth=2
	v_bfe_u32 v21, v22, 23, 8
	s_delay_alu instid0(VALU_DEP_1) | instskip(SKIP_1) | instid1(VALU_DEP_2)
	v_sub_nc_u32_e32 v28, 0x70, v21
	v_cmp_gt_u32_e32 vcc_lo, 0x71, v21
	v_dual_cndmask_b32 v28, 0, v28 :: v_dual_and_b32 v25, 0x7fffff, v22
	s_delay_alu instid0(VALU_DEP_1) | instskip(SKIP_2) | instid1(VALU_DEP_4)
	v_or_b32_e32 v33, 0x800000, v25
	v_cmp_eq_u32_e32 vcc_lo, 0, v21
	v_add_nc_u32_e32 v21, 0xffffff91, v21
	v_cndmask_b32_e64 v28, v28, 0x6f, vcc_lo
	s_delay_alu instid0(VALU_DEP_4) | instskip(NEXT) | instid1(VALU_DEP_3)
	v_cndmask_b32_e32 v25, v33, v25, vcc_lo
	v_cndmask_b32_e64 v21, v21, 0xffffff92, vcc_lo
	s_delay_alu instid0(VALU_DEP_3) | instskip(NEXT) | instid1(VALU_DEP_3)
	v_lshl_add_u32 v33, 0x200000, v28, -1
	v_lshrrev_b32_e32 v36, v28, v25
	v_lshlrev_b32_e64 v50, v28, 0x100000
	s_delay_alu instid0(VALU_DEP_4) | instskip(NEXT) | instid1(VALU_DEP_4)
	v_add_nc_u32_e32 v28, v28, v21
	v_and_b32_e32 v25, v33, v25
	s_delay_alu instid0(VALU_DEP_4) | instskip(NEXT) | instid1(VALU_DEP_2)
	v_bfe_u32 v39, v36, 21, 1
	v_cmp_eq_u32_e64 s11, v25, v50
	s_delay_alu instid0(VALU_DEP_2) | instskip(NEXT) | instid1(VALU_DEP_1)
	v_add_nc_u32_e32 v33, -1, v39
	v_cndmask_b32_e64 v25, 0, v33, s11
	v_lshrrev_b32_e32 v33, 23, v36
	s_mov_b32 s11, exec_lo
	s_delay_alu instid0(VALU_DEP_2) | instskip(NEXT) | instid1(VALU_DEP_2)
	v_add_nc_u32_e32 v25, v25, v36
	v_xor_b32_e32 v33, 1, v33
	s_delay_alu instid0(VALU_DEP_2) | instskip(NEXT) | instid1(VALU_DEP_1)
	v_and_b32_e32 v21, 0x1fffff, v25
	v_add_nc_u32_e32 v25, v21, v36
                                        ; implicit-def: $vgpr21
	s_delay_alu instid0(VALU_DEP_3)
	v_cmpx_ne_u32_e64 v28, v33
	s_xor_b32 s11, exec_lo, s11
; %bb.2587:                             ;   in Loop: Header=BB6_2080 Depth=2
	s_delay_alu instid0(VALU_DEP_2) | instskip(SKIP_2) | instid1(VALU_DEP_2)
	v_cmp_lt_u32_e32 vcc_lo, 0xffffff, v25
	v_sub_nc_u32_e32 v21, v28, v33
	v_cndmask_b32_e64 v28, 0, 1, vcc_lo
	v_add_co_ci_u32_e32 v21, vcc_lo, 0, v21, vcc_lo
	s_delay_alu instid0(VALU_DEP_2)
	v_lshrrev_b32_e32 v25, v28, v25
; %bb.2588:                             ;   in Loop: Header=BB6_2080 Depth=2
	s_and_not1_saveexec_b32 s11, s11
	s_cbranch_execz .LBB6_2077
; %bb.2589:                             ;   in Loop: Header=BB6_2080 Depth=2
	s_delay_alu instid0(VALU_DEP_1)
	v_bfe_u32 v21, v25, 23, 1
	s_branch .LBB6_2077
.LBB6_2590:                             ;   in Loop: Header=BB6_2080 Depth=2
	s_mov_b32 s11, -1
	s_mov_b32 s27, exec_lo
                                        ; implicit-def: $sgpr25
	v_cmpx_eq_u16_e32 0x80, v62
; %bb.2591:                             ;   in Loop: Header=BB6_2080 Depth=2
	s_mov_b32 s25, 0x7f800001
	s_xor_b32 s11, exec_lo, -1
; %bb.2592:                             ;   in Loop: Header=BB6_2080 Depth=2
	s_or_b32 exec_lo, exec_lo, s27
	s_delay_alu instid0(SALU_CYCLE_1)
	s_and_b32 s11, s11, exec_lo
	s_or_saveexec_b32 s26, s26
	v_mov_b32_e32 v63, s25
	s_xor_b32 exec_lo, exec_lo, s26
	s_cbranch_execz .LBB6_2082
.LBB6_2593:                             ;   in Loop: Header=BB6_2080 Depth=2
	v_cmp_ne_u16_e32 vcc_lo, 0, v62
	v_mov_b32_e32 v63, 0
	s_and_not1_b32 s11, s11, exec_lo
	s_and_b32 s25, vcc_lo, exec_lo
	s_delay_alu instid0(SALU_CYCLE_1)
	s_or_b32 s11, s11, s25
	s_or_b32 exec_lo, exec_lo, s26
	s_and_saveexec_b32 s25, s11
	s_cbranch_execnz .LBB6_2083
	s_branch .LBB6_2084
.LBB6_2594:                             ;   in Loop: Header=BB6_2080 Depth=2
	s_mov_b32 s11, -1
	s_mov_b32 s27, exec_lo
                                        ; implicit-def: $sgpr25
	v_cmpx_eq_u16_e32 0x80, v72
; %bb.2595:                             ;   in Loop: Header=BB6_2080 Depth=2
	s_mov_b32 s25, 0x7f800001
	s_xor_b32 s11, exec_lo, -1
; %bb.2596:                             ;   in Loop: Header=BB6_2080 Depth=2
	s_or_b32 exec_lo, exec_lo, s27
	s_delay_alu instid0(SALU_CYCLE_1)
	s_and_b32 s11, s11, exec_lo
                                        ; implicit-def: $vgpr72
	s_or_saveexec_b32 s26, s26
	v_mov_b32_e32 v62, s25
	s_xor_b32 exec_lo, exec_lo, s26
	s_cbranch_execz .LBB6_2086
.LBB6_2597:                             ;   in Loop: Header=BB6_2080 Depth=2
	v_cmp_ne_u16_e32 vcc_lo, 0, v72
	v_mov_b32_e32 v62, 0
	s_and_not1_b32 s11, s11, exec_lo
	s_and_b32 s25, vcc_lo, exec_lo
	s_delay_alu instid0(SALU_CYCLE_1)
	s_or_b32 s11, s11, s25
	s_or_b32 exec_lo, exec_lo, s26
	s_and_saveexec_b32 s25, s11
	s_cbranch_execnz .LBB6_2087
	s_branch .LBB6_2088
.LBB6_2598:                             ;   in Loop: Header=BB6_2080 Depth=2
	s_mov_b32 s11, -1
	s_mov_b32 s27, exec_lo
                                        ; implicit-def: $sgpr25
	v_cmpx_eq_u16_e32 0x80, v63
; %bb.2599:                             ;   in Loop: Header=BB6_2080 Depth=2
	s_mov_b32 s25, 0x7f800001
	s_xor_b32 s11, exec_lo, -1
; %bb.2600:                             ;   in Loop: Header=BB6_2080 Depth=2
	s_or_b32 exec_lo, exec_lo, s27
	s_delay_alu instid0(SALU_CYCLE_1)
	s_and_b32 s11, s11, exec_lo
                                        ; implicit-def: $vgpr63
	s_or_saveexec_b32 s26, s26
	v_mov_b32_e32 v62, s25
	s_xor_b32 exec_lo, exec_lo, s26
	s_cbranch_execz .LBB6_2098
.LBB6_2601:                             ;   in Loop: Header=BB6_2080 Depth=2
	v_cmp_ne_u16_e32 vcc_lo, 0, v63
	v_mov_b32_e32 v62, 0
	s_and_not1_b32 s11, s11, exec_lo
	s_and_b32 s25, vcc_lo, exec_lo
	s_delay_alu instid0(SALU_CYCLE_1)
	s_or_b32 s11, s11, s25
	s_or_b32 exec_lo, exec_lo, s26
	s_and_saveexec_b32 s25, s11
	s_cbranch_execnz .LBB6_2099
	s_branch .LBB6_2100
.LBB6_2602:                             ;   in Loop: Header=BB6_2080 Depth=2
	s_mov_b32 s11, -1
	s_mov_b32 s27, exec_lo
                                        ; implicit-def: $sgpr25
	v_cmpx_eq_u16_e32 0x80, v63
; %bb.2603:                             ;   in Loop: Header=BB6_2080 Depth=2
	s_mov_b32 s25, 0x7f800001
	s_xor_b32 s11, exec_lo, -1
; %bb.2604:                             ;   in Loop: Header=BB6_2080 Depth=2
	s_or_b32 exec_lo, exec_lo, s27
	s_delay_alu instid0(SALU_CYCLE_1)
	s_and_b32 s11, s11, exec_lo
                                        ; implicit-def: $vgpr63
	s_or_saveexec_b32 s26, s26
	v_mov_b32_e32 v61, s25
	s_xor_b32 exec_lo, exec_lo, s26
	s_cbranch_execz .LBB6_2102
.LBB6_2605:                             ;   in Loop: Header=BB6_2080 Depth=2
	v_cmp_ne_u16_e32 vcc_lo, 0, v63
	v_mov_b32_e32 v61, 0
	s_and_not1_b32 s11, s11, exec_lo
	s_and_b32 s25, vcc_lo, exec_lo
	s_delay_alu instid0(SALU_CYCLE_1)
	s_or_b32 s11, s11, s25
	s_or_b32 exec_lo, exec_lo, s26
	s_and_saveexec_b32 s25, s11
	s_cbranch_execnz .LBB6_2103
	s_branch .LBB6_2104
.LBB6_2606:                             ;   in Loop: Header=BB6_2080 Depth=2
	s_mov_b32 s11, -1
	s_mov_b32 s27, exec_lo
                                        ; implicit-def: $sgpr25
	v_cmpx_eq_u16_e32 0x80, v62
; %bb.2607:                             ;   in Loop: Header=BB6_2080 Depth=2
	s_mov_b32 s25, 0x7f800001
	s_xor_b32 s11, exec_lo, -1
; %bb.2608:                             ;   in Loop: Header=BB6_2080 Depth=2
	s_or_b32 exec_lo, exec_lo, s27
	s_delay_alu instid0(SALU_CYCLE_1)
	s_and_b32 s11, s11, exec_lo
                                        ; implicit-def: $vgpr62
	s_or_saveexec_b32 s26, s26
	v_mov_b32_e32 v61, s25
	s_xor_b32 exec_lo, exec_lo, s26
	s_cbranch_execz .LBB6_2114
.LBB6_2609:                             ;   in Loop: Header=BB6_2080 Depth=2
	v_cmp_ne_u16_e32 vcc_lo, 0, v62
	v_mov_b32_e32 v61, 0
	s_and_not1_b32 s11, s11, exec_lo
	s_and_b32 s25, vcc_lo, exec_lo
	s_delay_alu instid0(SALU_CYCLE_1)
	s_or_b32 s11, s11, s25
	s_or_b32 exec_lo, exec_lo, s26
	s_and_saveexec_b32 s25, s11
	s_cbranch_execnz .LBB6_2115
	s_branch .LBB6_2116
.LBB6_2610:                             ;   in Loop: Header=BB6_2080 Depth=2
	s_mov_b32 s11, -1
	s_mov_b32 s27, exec_lo
                                        ; implicit-def: $sgpr25
	v_cmpx_eq_u16_e32 0x80, v62
; %bb.2611:                             ;   in Loop: Header=BB6_2080 Depth=2
	s_mov_b32 s25, 0x7f800001
	s_xor_b32 s11, exec_lo, -1
; %bb.2612:                             ;   in Loop: Header=BB6_2080 Depth=2
	s_or_b32 exec_lo, exec_lo, s27
	s_delay_alu instid0(SALU_CYCLE_1)
	s_and_b32 s11, s11, exec_lo
                                        ; implicit-def: $vgpr62
	s_or_saveexec_b32 s26, s26
	v_mov_b32_e32 v60, s25
	s_xor_b32 exec_lo, exec_lo, s26
	s_cbranch_execz .LBB6_2118
.LBB6_2613:                             ;   in Loop: Header=BB6_2080 Depth=2
	v_cmp_ne_u16_e32 vcc_lo, 0, v62
	v_mov_b32_e32 v60, 0
	s_and_not1_b32 s11, s11, exec_lo
	s_and_b32 s25, vcc_lo, exec_lo
	s_delay_alu instid0(SALU_CYCLE_1)
	s_or_b32 s11, s11, s25
	s_or_b32 exec_lo, exec_lo, s26
	s_and_saveexec_b32 s25, s11
	s_cbranch_execnz .LBB6_2119
	s_branch .LBB6_2120
.LBB6_2614:                             ;   in Loop: Header=BB6_2080 Depth=2
	s_mov_b32 s11, -1
	s_mov_b32 s27, exec_lo
                                        ; implicit-def: $sgpr25
	v_cmpx_eq_u16_e32 0x80, v61
; %bb.2615:                             ;   in Loop: Header=BB6_2080 Depth=2
	s_mov_b32 s25, 0x7f800001
	s_xor_b32 s11, exec_lo, -1
; %bb.2616:                             ;   in Loop: Header=BB6_2080 Depth=2
	s_or_b32 exec_lo, exec_lo, s27
	s_delay_alu instid0(SALU_CYCLE_1)
	s_and_b32 s11, s11, exec_lo
                                        ; implicit-def: $vgpr61
	s_or_saveexec_b32 s26, s26
	v_mov_b32_e32 v60, s25
	s_xor_b32 exec_lo, exec_lo, s26
	s_cbranch_execz .LBB6_2130
.LBB6_2617:                             ;   in Loop: Header=BB6_2080 Depth=2
	v_cmp_ne_u16_e32 vcc_lo, 0, v61
	v_mov_b32_e32 v60, 0
	s_and_not1_b32 s11, s11, exec_lo
	s_and_b32 s25, vcc_lo, exec_lo
	s_delay_alu instid0(SALU_CYCLE_1)
	s_or_b32 s11, s11, s25
	s_or_b32 exec_lo, exec_lo, s26
	s_and_saveexec_b32 s25, s11
	s_cbranch_execnz .LBB6_2131
	s_branch .LBB6_2132
.LBB6_2618:                             ;   in Loop: Header=BB6_2080 Depth=2
	s_mov_b32 s11, -1
	s_mov_b32 s27, exec_lo
                                        ; implicit-def: $sgpr25
	v_cmpx_eq_u16_e32 0x80, v61
; %bb.2619:                             ;   in Loop: Header=BB6_2080 Depth=2
	s_mov_b32 s25, 0x7f800001
	s_xor_b32 s11, exec_lo, -1
; %bb.2620:                             ;   in Loop: Header=BB6_2080 Depth=2
	s_or_b32 exec_lo, exec_lo, s27
	s_delay_alu instid0(SALU_CYCLE_1)
	s_and_b32 s11, s11, exec_lo
                                        ; implicit-def: $vgpr61
	s_or_saveexec_b32 s26, s26
	v_mov_b32_e32 v59, s25
	s_xor_b32 exec_lo, exec_lo, s26
	s_cbranch_execz .LBB6_2134
.LBB6_2621:                             ;   in Loop: Header=BB6_2080 Depth=2
	v_cmp_ne_u16_e32 vcc_lo, 0, v61
	v_mov_b32_e32 v59, 0
	s_and_not1_b32 s11, s11, exec_lo
	s_and_b32 s25, vcc_lo, exec_lo
	s_delay_alu instid0(SALU_CYCLE_1)
	s_or_b32 s11, s11, s25
	s_or_b32 exec_lo, exec_lo, s26
	s_and_saveexec_b32 s25, s11
	s_cbranch_execnz .LBB6_2135
	s_branch .LBB6_2136
.LBB6_2622:                             ;   in Loop: Header=BB6_2080 Depth=2
	s_mov_b32 s11, -1
	s_mov_b32 s27, exec_lo
                                        ; implicit-def: $sgpr25
	v_cmpx_eq_u16_e32 0x80, v60
; %bb.2623:                             ;   in Loop: Header=BB6_2080 Depth=2
	s_mov_b32 s25, 0x7f800001
	s_xor_b32 s11, exec_lo, -1
; %bb.2624:                             ;   in Loop: Header=BB6_2080 Depth=2
	s_or_b32 exec_lo, exec_lo, s27
	s_delay_alu instid0(SALU_CYCLE_1)
	s_and_b32 s11, s11, exec_lo
                                        ; implicit-def: $vgpr60
	s_or_saveexec_b32 s26, s26
	v_mov_b32_e32 v59, s25
	s_xor_b32 exec_lo, exec_lo, s26
	s_cbranch_execz .LBB6_2146
.LBB6_2625:                             ;   in Loop: Header=BB6_2080 Depth=2
	v_cmp_ne_u16_e32 vcc_lo, 0, v60
	v_mov_b32_e32 v59, 0
	s_and_not1_b32 s11, s11, exec_lo
	s_and_b32 s25, vcc_lo, exec_lo
	s_delay_alu instid0(SALU_CYCLE_1)
	s_or_b32 s11, s11, s25
	s_or_b32 exec_lo, exec_lo, s26
	s_and_saveexec_b32 s25, s11
	s_cbranch_execnz .LBB6_2147
	s_branch .LBB6_2148
.LBB6_2626:                             ;   in Loop: Header=BB6_2080 Depth=2
	s_mov_b32 s11, -1
	s_mov_b32 s27, exec_lo
                                        ; implicit-def: $sgpr25
	v_cmpx_eq_u16_e32 0x80, v60
; %bb.2627:                             ;   in Loop: Header=BB6_2080 Depth=2
	s_mov_b32 s25, 0x7f800001
	s_xor_b32 s11, exec_lo, -1
; %bb.2628:                             ;   in Loop: Header=BB6_2080 Depth=2
	s_or_b32 exec_lo, exec_lo, s27
	s_delay_alu instid0(SALU_CYCLE_1)
	s_and_b32 s11, s11, exec_lo
                                        ; implicit-def: $vgpr60
	s_or_saveexec_b32 s26, s26
	v_mov_b32_e32 v58, s25
	s_xor_b32 exec_lo, exec_lo, s26
	s_cbranch_execz .LBB6_2150
.LBB6_2629:                             ;   in Loop: Header=BB6_2080 Depth=2
	v_cmp_ne_u16_e32 vcc_lo, 0, v60
	v_mov_b32_e32 v58, 0
	s_and_not1_b32 s11, s11, exec_lo
	s_and_b32 s25, vcc_lo, exec_lo
	s_delay_alu instid0(SALU_CYCLE_1)
	s_or_b32 s11, s11, s25
	s_or_b32 exec_lo, exec_lo, s26
	s_and_saveexec_b32 s25, s11
	s_cbranch_execnz .LBB6_2151
	s_branch .LBB6_2152
.LBB6_2630:                             ;   in Loop: Header=BB6_2080 Depth=2
	s_mov_b32 s11, -1
	s_mov_b32 s27, exec_lo
                                        ; implicit-def: $sgpr25
	v_cmpx_eq_u16_e32 0x80, v59
; %bb.2631:                             ;   in Loop: Header=BB6_2080 Depth=2
	s_mov_b32 s25, 0x7f800001
	s_xor_b32 s11, exec_lo, -1
; %bb.2632:                             ;   in Loop: Header=BB6_2080 Depth=2
	s_or_b32 exec_lo, exec_lo, s27
	s_delay_alu instid0(SALU_CYCLE_1)
	s_and_b32 s11, s11, exec_lo
                                        ; implicit-def: $vgpr59
	s_or_saveexec_b32 s26, s26
	v_mov_b32_e32 v58, s25
	s_xor_b32 exec_lo, exec_lo, s26
	s_cbranch_execz .LBB6_2162
.LBB6_2633:                             ;   in Loop: Header=BB6_2080 Depth=2
	v_cmp_ne_u16_e32 vcc_lo, 0, v59
	v_mov_b32_e32 v58, 0
	s_and_not1_b32 s11, s11, exec_lo
	s_and_b32 s25, vcc_lo, exec_lo
	s_delay_alu instid0(SALU_CYCLE_1)
	s_or_b32 s11, s11, s25
	s_or_b32 exec_lo, exec_lo, s26
	s_and_saveexec_b32 s25, s11
	s_cbranch_execnz .LBB6_2163
	s_branch .LBB6_2164
.LBB6_2634:                             ;   in Loop: Header=BB6_2080 Depth=2
	s_mov_b32 s11, -1
	s_mov_b32 s27, exec_lo
                                        ; implicit-def: $sgpr25
	v_cmpx_eq_u16_e32 0x80, v59
; %bb.2635:                             ;   in Loop: Header=BB6_2080 Depth=2
	s_mov_b32 s25, 0x7f800001
	s_xor_b32 s11, exec_lo, -1
; %bb.2636:                             ;   in Loop: Header=BB6_2080 Depth=2
	s_or_b32 exec_lo, exec_lo, s27
	s_delay_alu instid0(SALU_CYCLE_1)
	s_and_b32 s11, s11, exec_lo
                                        ; implicit-def: $vgpr59
	s_or_saveexec_b32 s26, s26
	v_mov_b32_e32 v57, s25
	s_xor_b32 exec_lo, exec_lo, s26
	s_cbranch_execz .LBB6_2166
.LBB6_2637:                             ;   in Loop: Header=BB6_2080 Depth=2
	v_cmp_ne_u16_e32 vcc_lo, 0, v59
	v_mov_b32_e32 v57, 0
	s_and_not1_b32 s11, s11, exec_lo
	s_and_b32 s25, vcc_lo, exec_lo
	s_delay_alu instid0(SALU_CYCLE_1)
	s_or_b32 s11, s11, s25
	s_or_b32 exec_lo, exec_lo, s26
	s_and_saveexec_b32 s25, s11
	s_cbranch_execnz .LBB6_2167
	s_branch .LBB6_2168
.LBB6_2638:                             ;   in Loop: Header=BB6_2080 Depth=2
	s_mov_b32 s11, -1
	s_mov_b32 s27, exec_lo
                                        ; implicit-def: $sgpr25
	v_cmpx_eq_u16_e32 0x80, v58
; %bb.2639:                             ;   in Loop: Header=BB6_2080 Depth=2
	s_mov_b32 s25, 0x7f800001
	s_xor_b32 s11, exec_lo, -1
; %bb.2640:                             ;   in Loop: Header=BB6_2080 Depth=2
	s_or_b32 exec_lo, exec_lo, s27
	s_delay_alu instid0(SALU_CYCLE_1)
	s_and_b32 s11, s11, exec_lo
                                        ; implicit-def: $vgpr58
	s_or_saveexec_b32 s26, s26
	v_mov_b32_e32 v57, s25
	s_xor_b32 exec_lo, exec_lo, s26
	s_cbranch_execz .LBB6_2178
.LBB6_2641:                             ;   in Loop: Header=BB6_2080 Depth=2
	v_cmp_ne_u16_e32 vcc_lo, 0, v58
	v_mov_b32_e32 v57, 0
	s_and_not1_b32 s11, s11, exec_lo
	s_and_b32 s25, vcc_lo, exec_lo
	s_delay_alu instid0(SALU_CYCLE_1)
	s_or_b32 s11, s11, s25
	s_or_b32 exec_lo, exec_lo, s26
	s_and_saveexec_b32 s25, s11
	s_cbranch_execnz .LBB6_2179
	s_branch .LBB6_2180
.LBB6_2642:                             ;   in Loop: Header=BB6_2080 Depth=2
	s_mov_b32 s11, -1
	s_mov_b32 s27, exec_lo
                                        ; implicit-def: $sgpr25
	v_cmpx_eq_u16_e32 0x80, v58
; %bb.2643:                             ;   in Loop: Header=BB6_2080 Depth=2
	s_mov_b32 s25, 0x7f800001
	s_xor_b32 s11, exec_lo, -1
; %bb.2644:                             ;   in Loop: Header=BB6_2080 Depth=2
	s_or_b32 exec_lo, exec_lo, s27
	s_delay_alu instid0(SALU_CYCLE_1)
	s_and_b32 s11, s11, exec_lo
                                        ; implicit-def: $vgpr58
	s_or_saveexec_b32 s26, s26
	v_mov_b32_e32 v56, s25
	s_xor_b32 exec_lo, exec_lo, s26
	s_cbranch_execz .LBB6_2182
.LBB6_2645:                             ;   in Loop: Header=BB6_2080 Depth=2
	v_cmp_ne_u16_e32 vcc_lo, 0, v58
	v_mov_b32_e32 v56, 0
	s_and_not1_b32 s11, s11, exec_lo
	s_and_b32 s25, vcc_lo, exec_lo
	s_delay_alu instid0(SALU_CYCLE_1)
	s_or_b32 s11, s11, s25
	s_or_b32 exec_lo, exec_lo, s26
	s_and_saveexec_b32 s25, s11
	s_cbranch_execnz .LBB6_2183
	s_branch .LBB6_2184
.LBB6_2646:                             ;   in Loop: Header=BB6_2080 Depth=2
	s_mov_b32 s11, -1
	s_mov_b32 s27, exec_lo
                                        ; implicit-def: $sgpr25
	v_cmpx_eq_u16_e32 0x80, v57
; %bb.2647:                             ;   in Loop: Header=BB6_2080 Depth=2
	s_mov_b32 s25, 0x7f800001
	s_xor_b32 s11, exec_lo, -1
; %bb.2648:                             ;   in Loop: Header=BB6_2080 Depth=2
	s_or_b32 exec_lo, exec_lo, s27
	s_delay_alu instid0(SALU_CYCLE_1)
	s_and_b32 s11, s11, exec_lo
                                        ; implicit-def: $vgpr57
	s_or_saveexec_b32 s26, s26
	v_mov_b32_e32 v56, s25
	s_xor_b32 exec_lo, exec_lo, s26
	s_cbranch_execz .LBB6_2194
.LBB6_2649:                             ;   in Loop: Header=BB6_2080 Depth=2
	v_cmp_ne_u16_e32 vcc_lo, 0, v57
	v_mov_b32_e32 v56, 0
	s_and_not1_b32 s11, s11, exec_lo
	s_and_b32 s25, vcc_lo, exec_lo
	s_delay_alu instid0(SALU_CYCLE_1)
	s_or_b32 s11, s11, s25
	s_or_b32 exec_lo, exec_lo, s26
	s_and_saveexec_b32 s25, s11
	s_cbranch_execnz .LBB6_2195
	s_branch .LBB6_2196
.LBB6_2650:                             ;   in Loop: Header=BB6_2080 Depth=2
	s_mov_b32 s11, -1
	s_mov_b32 s27, exec_lo
                                        ; implicit-def: $sgpr25
	v_cmpx_eq_u16_e32 0x80, v57
; %bb.2651:                             ;   in Loop: Header=BB6_2080 Depth=2
	s_mov_b32 s25, 0x7f800001
	s_xor_b32 s11, exec_lo, -1
; %bb.2652:                             ;   in Loop: Header=BB6_2080 Depth=2
	s_or_b32 exec_lo, exec_lo, s27
	s_delay_alu instid0(SALU_CYCLE_1)
	s_and_b32 s11, s11, exec_lo
                                        ; implicit-def: $vgpr57
	s_or_saveexec_b32 s26, s26
	v_mov_b32_e32 v47, s25
	s_xor_b32 exec_lo, exec_lo, s26
	s_cbranch_execz .LBB6_2198
.LBB6_2653:                             ;   in Loop: Header=BB6_2080 Depth=2
	v_cmp_ne_u16_e32 vcc_lo, 0, v57
	v_mov_b32_e32 v47, 0
	s_and_not1_b32 s11, s11, exec_lo
	s_and_b32 s25, vcc_lo, exec_lo
	s_delay_alu instid0(SALU_CYCLE_1)
	s_or_b32 s11, s11, s25
	s_or_b32 exec_lo, exec_lo, s26
	s_and_saveexec_b32 s25, s11
	s_cbranch_execnz .LBB6_2199
	s_branch .LBB6_2200
.LBB6_2654:                             ;   in Loop: Header=BB6_2080 Depth=2
	s_mov_b32 s11, -1
	s_mov_b32 s27, exec_lo
                                        ; implicit-def: $sgpr25
	v_cmpx_eq_u16_e32 0x80, v56
; %bb.2655:                             ;   in Loop: Header=BB6_2080 Depth=2
	s_mov_b32 s25, 0x7f800001
	s_xor_b32 s11, exec_lo, -1
; %bb.2656:                             ;   in Loop: Header=BB6_2080 Depth=2
	s_or_b32 exec_lo, exec_lo, s27
	s_delay_alu instid0(SALU_CYCLE_1)
	s_and_b32 s11, s11, exec_lo
                                        ; implicit-def: $vgpr56
	s_or_saveexec_b32 s26, s26
	v_mov_b32_e32 v47, s25
	s_xor_b32 exec_lo, exec_lo, s26
	s_cbranch_execz .LBB6_2210
.LBB6_2657:                             ;   in Loop: Header=BB6_2080 Depth=2
	v_cmp_ne_u16_e32 vcc_lo, 0, v56
	v_mov_b32_e32 v47, 0
	s_and_not1_b32 s11, s11, exec_lo
	s_and_b32 s25, vcc_lo, exec_lo
	s_delay_alu instid0(SALU_CYCLE_1)
	s_or_b32 s11, s11, s25
	s_or_b32 exec_lo, exec_lo, s26
	s_and_saveexec_b32 s25, s11
	s_cbranch_execnz .LBB6_2211
	s_branch .LBB6_2212
.LBB6_2658:                             ;   in Loop: Header=BB6_2080 Depth=2
	s_mov_b32 s11, -1
	s_mov_b32 s27, exec_lo
                                        ; implicit-def: $sgpr25
	v_cmpx_eq_u16_e32 0x80, v56
; %bb.2659:                             ;   in Loop: Header=BB6_2080 Depth=2
	s_mov_b32 s25, 0x7f800001
	s_xor_b32 s11, exec_lo, -1
; %bb.2660:                             ;   in Loop: Header=BB6_2080 Depth=2
	s_or_b32 exec_lo, exec_lo, s27
	s_delay_alu instid0(SALU_CYCLE_1)
	s_and_b32 s11, s11, exec_lo
                                        ; implicit-def: $vgpr56
	s_or_saveexec_b32 s26, s26
	v_mov_b32_e32 v46, s25
	s_xor_b32 exec_lo, exec_lo, s26
	s_cbranch_execz .LBB6_2214
.LBB6_2661:                             ;   in Loop: Header=BB6_2080 Depth=2
	v_cmp_ne_u16_e32 vcc_lo, 0, v56
	v_mov_b32_e32 v46, 0
	s_and_not1_b32 s11, s11, exec_lo
	s_and_b32 s25, vcc_lo, exec_lo
	s_delay_alu instid0(SALU_CYCLE_1)
	s_or_b32 s11, s11, s25
	s_or_b32 exec_lo, exec_lo, s26
	s_and_saveexec_b32 s25, s11
	s_cbranch_execnz .LBB6_2215
	s_branch .LBB6_2216
.LBB6_2662:                             ;   in Loop: Header=BB6_2080 Depth=2
	s_mov_b32 s11, -1
	s_mov_b32 s27, exec_lo
                                        ; implicit-def: $sgpr25
	v_cmpx_eq_u16_e32 0x80, v47
; %bb.2663:                             ;   in Loop: Header=BB6_2080 Depth=2
	s_mov_b32 s25, 0x7f800001
	s_xor_b32 s11, exec_lo, -1
; %bb.2664:                             ;   in Loop: Header=BB6_2080 Depth=2
	s_or_b32 exec_lo, exec_lo, s27
	s_delay_alu instid0(SALU_CYCLE_1)
	s_and_b32 s11, s11, exec_lo
                                        ; implicit-def: $vgpr47
	s_or_saveexec_b32 s26, s26
	v_mov_b32_e32 v46, s25
	s_xor_b32 exec_lo, exec_lo, s26
	s_cbranch_execz .LBB6_2226
.LBB6_2665:                             ;   in Loop: Header=BB6_2080 Depth=2
	v_cmp_ne_u16_e32 vcc_lo, 0, v47
	v_mov_b32_e32 v46, 0
	s_and_not1_b32 s11, s11, exec_lo
	s_and_b32 s25, vcc_lo, exec_lo
	s_delay_alu instid0(SALU_CYCLE_1)
	s_or_b32 s11, s11, s25
	s_or_b32 exec_lo, exec_lo, s26
	s_and_saveexec_b32 s25, s11
	s_cbranch_execnz .LBB6_2227
	s_branch .LBB6_2228
.LBB6_2666:                             ;   in Loop: Header=BB6_2080 Depth=2
	s_mov_b32 s11, -1
	s_mov_b32 s27, exec_lo
                                        ; implicit-def: $sgpr25
	v_cmpx_eq_u16_e32 0x80, v47
; %bb.2667:                             ;   in Loop: Header=BB6_2080 Depth=2
	s_mov_b32 s25, 0x7f800001
	s_xor_b32 s11, exec_lo, -1
; %bb.2668:                             ;   in Loop: Header=BB6_2080 Depth=2
	s_or_b32 exec_lo, exec_lo, s27
	s_delay_alu instid0(SALU_CYCLE_1)
	s_and_b32 s11, s11, exec_lo
                                        ; implicit-def: $vgpr47
	s_or_saveexec_b32 s26, s26
	v_mov_b32_e32 v45, s25
	s_xor_b32 exec_lo, exec_lo, s26
	s_cbranch_execz .LBB6_2230
.LBB6_2669:                             ;   in Loop: Header=BB6_2080 Depth=2
	v_cmp_ne_u16_e32 vcc_lo, 0, v47
	v_mov_b32_e32 v45, 0
	s_and_not1_b32 s11, s11, exec_lo
	s_and_b32 s25, vcc_lo, exec_lo
	s_delay_alu instid0(SALU_CYCLE_1)
	s_or_b32 s11, s11, s25
	s_or_b32 exec_lo, exec_lo, s26
	s_and_saveexec_b32 s25, s11
	s_cbranch_execnz .LBB6_2231
	s_branch .LBB6_2232
.LBB6_2670:                             ;   in Loop: Header=BB6_2080 Depth=2
	s_mov_b32 s11, -1
	s_mov_b32 s27, exec_lo
                                        ; implicit-def: $sgpr25
	v_cmpx_eq_u16_e32 0x80, v46
; %bb.2671:                             ;   in Loop: Header=BB6_2080 Depth=2
	s_mov_b32 s25, 0x7f800001
	s_xor_b32 s11, exec_lo, -1
; %bb.2672:                             ;   in Loop: Header=BB6_2080 Depth=2
	s_or_b32 exec_lo, exec_lo, s27
	s_delay_alu instid0(SALU_CYCLE_1)
	s_and_b32 s11, s11, exec_lo
                                        ; implicit-def: $vgpr46
	s_or_saveexec_b32 s26, s26
	v_mov_b32_e32 v45, s25
	s_xor_b32 exec_lo, exec_lo, s26
	s_cbranch_execz .LBB6_2242
.LBB6_2673:                             ;   in Loop: Header=BB6_2080 Depth=2
	v_cmp_ne_u16_e32 vcc_lo, 0, v46
	v_mov_b32_e32 v45, 0
	s_and_not1_b32 s11, s11, exec_lo
	s_and_b32 s25, vcc_lo, exec_lo
	s_delay_alu instid0(SALU_CYCLE_1)
	s_or_b32 s11, s11, s25
	s_or_b32 exec_lo, exec_lo, s26
	s_and_saveexec_b32 s25, s11
	s_cbranch_execnz .LBB6_2243
	s_branch .LBB6_2244
.LBB6_2674:                             ;   in Loop: Header=BB6_2080 Depth=2
	s_mov_b32 s11, -1
	s_mov_b32 s27, exec_lo
                                        ; implicit-def: $sgpr25
	v_cmpx_eq_u16_e32 0x80, v46
; %bb.2675:                             ;   in Loop: Header=BB6_2080 Depth=2
	s_mov_b32 s25, 0x7f800001
	s_xor_b32 s11, exec_lo, -1
; %bb.2676:                             ;   in Loop: Header=BB6_2080 Depth=2
	s_or_b32 exec_lo, exec_lo, s27
	s_delay_alu instid0(SALU_CYCLE_1)
	s_and_b32 s11, s11, exec_lo
                                        ; implicit-def: $vgpr46
	s_or_saveexec_b32 s26, s26
	v_mov_b32_e32 v44, s25
	s_xor_b32 exec_lo, exec_lo, s26
	s_cbranch_execz .LBB6_2246
.LBB6_2677:                             ;   in Loop: Header=BB6_2080 Depth=2
	v_cmp_ne_u16_e32 vcc_lo, 0, v46
	v_mov_b32_e32 v44, 0
	s_and_not1_b32 s11, s11, exec_lo
	s_and_b32 s25, vcc_lo, exec_lo
	s_delay_alu instid0(SALU_CYCLE_1)
	s_or_b32 s11, s11, s25
	s_or_b32 exec_lo, exec_lo, s26
	s_and_saveexec_b32 s25, s11
	s_cbranch_execnz .LBB6_2247
	s_branch .LBB6_2248
.LBB6_2678:                             ;   in Loop: Header=BB6_2080 Depth=2
	s_mov_b32 s11, -1
	s_mov_b32 s27, exec_lo
                                        ; implicit-def: $sgpr25
	v_cmpx_eq_u16_e32 0x80, v45
; %bb.2679:                             ;   in Loop: Header=BB6_2080 Depth=2
	s_mov_b32 s25, 0x7f800001
	s_xor_b32 s11, exec_lo, -1
; %bb.2680:                             ;   in Loop: Header=BB6_2080 Depth=2
	s_or_b32 exec_lo, exec_lo, s27
	s_delay_alu instid0(SALU_CYCLE_1)
	s_and_b32 s11, s11, exec_lo
                                        ; implicit-def: $vgpr45
	s_or_saveexec_b32 s26, s26
	v_mov_b32_e32 v44, s25
	s_xor_b32 exec_lo, exec_lo, s26
	s_cbranch_execz .LBB6_2258
.LBB6_2681:                             ;   in Loop: Header=BB6_2080 Depth=2
	v_cmp_ne_u16_e32 vcc_lo, 0, v45
	v_mov_b32_e32 v44, 0
	s_and_not1_b32 s11, s11, exec_lo
	s_and_b32 s25, vcc_lo, exec_lo
	s_delay_alu instid0(SALU_CYCLE_1)
	s_or_b32 s11, s11, s25
	s_or_b32 exec_lo, exec_lo, s26
	s_and_saveexec_b32 s25, s11
	s_cbranch_execnz .LBB6_2259
	s_branch .LBB6_2260
.LBB6_2682:                             ;   in Loop: Header=BB6_2080 Depth=2
	s_mov_b32 s11, -1
	s_mov_b32 s27, exec_lo
                                        ; implicit-def: $sgpr25
	v_cmpx_eq_u16_e32 0x80, v45
; %bb.2683:                             ;   in Loop: Header=BB6_2080 Depth=2
	s_mov_b32 s25, 0x7f800001
	s_xor_b32 s11, exec_lo, -1
; %bb.2684:                             ;   in Loop: Header=BB6_2080 Depth=2
	s_or_b32 exec_lo, exec_lo, s27
	s_delay_alu instid0(SALU_CYCLE_1)
	s_and_b32 s11, s11, exec_lo
                                        ; implicit-def: $vgpr45
	s_or_saveexec_b32 s26, s26
	v_mov_b32_e32 v43, s25
	s_xor_b32 exec_lo, exec_lo, s26
	s_cbranch_execz .LBB6_2262
.LBB6_2685:                             ;   in Loop: Header=BB6_2080 Depth=2
	v_cmp_ne_u16_e32 vcc_lo, 0, v45
	v_mov_b32_e32 v43, 0
	s_and_not1_b32 s11, s11, exec_lo
	s_and_b32 s25, vcc_lo, exec_lo
	s_delay_alu instid0(SALU_CYCLE_1)
	s_or_b32 s11, s11, s25
	s_or_b32 exec_lo, exec_lo, s26
	s_and_saveexec_b32 s25, s11
	s_cbranch_execnz .LBB6_2263
	s_branch .LBB6_2264
.LBB6_2686:                             ;   in Loop: Header=BB6_2080 Depth=2
	s_mov_b32 s11, -1
	s_mov_b32 s27, exec_lo
                                        ; implicit-def: $sgpr25
	v_cmpx_eq_u16_e32 0x80, v44
; %bb.2687:                             ;   in Loop: Header=BB6_2080 Depth=2
	s_mov_b32 s25, 0x7f800001
	s_xor_b32 s11, exec_lo, -1
; %bb.2688:                             ;   in Loop: Header=BB6_2080 Depth=2
	s_or_b32 exec_lo, exec_lo, s27
	s_delay_alu instid0(SALU_CYCLE_1)
	s_and_b32 s11, s11, exec_lo
                                        ; implicit-def: $vgpr44
	s_or_saveexec_b32 s26, s26
	v_mov_b32_e32 v43, s25
	s_xor_b32 exec_lo, exec_lo, s26
	s_cbranch_execz .LBB6_2274
.LBB6_2689:                             ;   in Loop: Header=BB6_2080 Depth=2
	v_cmp_ne_u16_e32 vcc_lo, 0, v44
	v_mov_b32_e32 v43, 0
	s_and_not1_b32 s11, s11, exec_lo
	s_and_b32 s25, vcc_lo, exec_lo
	s_delay_alu instid0(SALU_CYCLE_1)
	s_or_b32 s11, s11, s25
	s_or_b32 exec_lo, exec_lo, s26
	s_and_saveexec_b32 s25, s11
	s_cbranch_execnz .LBB6_2275
	s_branch .LBB6_2276
.LBB6_2690:                             ;   in Loop: Header=BB6_2080 Depth=2
	s_mov_b32 s11, -1
	s_mov_b32 s27, exec_lo
                                        ; implicit-def: $sgpr25
	v_cmpx_eq_u16_e32 0x80, v44
; %bb.2691:                             ;   in Loop: Header=BB6_2080 Depth=2
	s_mov_b32 s25, 0x7f800001
	s_xor_b32 s11, exec_lo, -1
; %bb.2692:                             ;   in Loop: Header=BB6_2080 Depth=2
	s_or_b32 exec_lo, exec_lo, s27
	s_delay_alu instid0(SALU_CYCLE_1)
	s_and_b32 s11, s11, exec_lo
                                        ; implicit-def: $vgpr44
	s_or_saveexec_b32 s26, s26
	v_mov_b32_e32 v42, s25
	s_xor_b32 exec_lo, exec_lo, s26
	s_cbranch_execz .LBB6_2278
.LBB6_2693:                             ;   in Loop: Header=BB6_2080 Depth=2
	v_cmp_ne_u16_e32 vcc_lo, 0, v44
	v_mov_b32_e32 v42, 0
	s_and_not1_b32 s11, s11, exec_lo
	s_and_b32 s25, vcc_lo, exec_lo
	s_delay_alu instid0(SALU_CYCLE_1)
	s_or_b32 s11, s11, s25
	s_or_b32 exec_lo, exec_lo, s26
	s_and_saveexec_b32 s25, s11
	s_cbranch_execnz .LBB6_2279
	s_branch .LBB6_2280
.LBB6_2694:                             ;   in Loop: Header=BB6_2080 Depth=2
	s_mov_b32 s11, -1
	s_mov_b32 s27, exec_lo
                                        ; implicit-def: $sgpr25
	v_cmpx_eq_u16_e32 0x80, v43
; %bb.2695:                             ;   in Loop: Header=BB6_2080 Depth=2
	s_mov_b32 s25, 0x7f800001
	s_xor_b32 s11, exec_lo, -1
; %bb.2696:                             ;   in Loop: Header=BB6_2080 Depth=2
	s_or_b32 exec_lo, exec_lo, s27
	s_delay_alu instid0(SALU_CYCLE_1)
	s_and_b32 s11, s11, exec_lo
                                        ; implicit-def: $vgpr43
	s_or_saveexec_b32 s26, s26
	v_mov_b32_e32 v42, s25
	s_xor_b32 exec_lo, exec_lo, s26
	s_cbranch_execz .LBB6_2290
.LBB6_2697:                             ;   in Loop: Header=BB6_2080 Depth=2
	v_cmp_ne_u16_e32 vcc_lo, 0, v43
	v_mov_b32_e32 v42, 0
	s_and_not1_b32 s11, s11, exec_lo
	s_and_b32 s25, vcc_lo, exec_lo
	s_delay_alu instid0(SALU_CYCLE_1)
	s_or_b32 s11, s11, s25
	s_or_b32 exec_lo, exec_lo, s26
	s_and_saveexec_b32 s25, s11
	s_cbranch_execnz .LBB6_2291
	s_branch .LBB6_2292
.LBB6_2698:                             ;   in Loop: Header=BB6_2080 Depth=2
	s_mov_b32 s11, -1
	s_mov_b32 s27, exec_lo
                                        ; implicit-def: $sgpr25
	v_cmpx_eq_u16_e32 0x80, v43
; %bb.2699:                             ;   in Loop: Header=BB6_2080 Depth=2
	s_mov_b32 s25, 0x7f800001
	s_xor_b32 s11, exec_lo, -1
; %bb.2700:                             ;   in Loop: Header=BB6_2080 Depth=2
	s_or_b32 exec_lo, exec_lo, s27
	s_delay_alu instid0(SALU_CYCLE_1)
	s_and_b32 s11, s11, exec_lo
                                        ; implicit-def: $vgpr43
	s_or_saveexec_b32 s26, s26
	v_mov_b32_e32 v41, s25
	s_xor_b32 exec_lo, exec_lo, s26
	s_cbranch_execz .LBB6_2294
.LBB6_2701:                             ;   in Loop: Header=BB6_2080 Depth=2
	v_cmp_ne_u16_e32 vcc_lo, 0, v43
	v_mov_b32_e32 v41, 0
	s_and_not1_b32 s11, s11, exec_lo
	s_and_b32 s25, vcc_lo, exec_lo
	s_delay_alu instid0(SALU_CYCLE_1)
	s_or_b32 s11, s11, s25
	s_or_b32 exec_lo, exec_lo, s26
	s_and_saveexec_b32 s25, s11
	s_cbranch_execnz .LBB6_2295
	s_branch .LBB6_2296
.LBB6_2702:                             ;   in Loop: Header=BB6_2080 Depth=2
	s_mov_b32 s11, -1
	s_mov_b32 s27, exec_lo
                                        ; implicit-def: $sgpr25
	v_cmpx_eq_u16_e32 0x80, v42
; %bb.2703:                             ;   in Loop: Header=BB6_2080 Depth=2
	s_mov_b32 s25, 0x7f800001
	s_xor_b32 s11, exec_lo, -1
; %bb.2704:                             ;   in Loop: Header=BB6_2080 Depth=2
	s_or_b32 exec_lo, exec_lo, s27
	s_delay_alu instid0(SALU_CYCLE_1)
	s_and_b32 s11, s11, exec_lo
                                        ; implicit-def: $vgpr42
	s_or_saveexec_b32 s26, s26
	v_mov_b32_e32 v41, s25
	s_xor_b32 exec_lo, exec_lo, s26
	s_cbranch_execz .LBB6_2306
.LBB6_2705:                             ;   in Loop: Header=BB6_2080 Depth=2
	v_cmp_ne_u16_e32 vcc_lo, 0, v42
	v_mov_b32_e32 v41, 0
	s_and_not1_b32 s11, s11, exec_lo
	s_and_b32 s25, vcc_lo, exec_lo
	s_delay_alu instid0(SALU_CYCLE_1)
	s_or_b32 s11, s11, s25
	s_or_b32 exec_lo, exec_lo, s26
	s_and_saveexec_b32 s25, s11
	s_cbranch_execnz .LBB6_2307
	s_branch .LBB6_2308
.LBB6_2706:                             ;   in Loop: Header=BB6_2080 Depth=2
	s_mov_b32 s11, -1
	s_mov_b32 s27, exec_lo
                                        ; implicit-def: $sgpr25
	v_cmpx_eq_u16_e32 0x80, v42
; %bb.2707:                             ;   in Loop: Header=BB6_2080 Depth=2
	s_mov_b32 s25, 0x7f800001
	s_xor_b32 s11, exec_lo, -1
; %bb.2708:                             ;   in Loop: Header=BB6_2080 Depth=2
	s_or_b32 exec_lo, exec_lo, s27
	s_delay_alu instid0(SALU_CYCLE_1)
	s_and_b32 s11, s11, exec_lo
                                        ; implicit-def: $vgpr42
	s_or_saveexec_b32 s26, s26
	v_mov_b32_e32 v40, s25
	s_xor_b32 exec_lo, exec_lo, s26
	s_cbranch_execz .LBB6_2310
.LBB6_2709:                             ;   in Loop: Header=BB6_2080 Depth=2
	v_cmp_ne_u16_e32 vcc_lo, 0, v42
	v_mov_b32_e32 v40, 0
	s_and_not1_b32 s11, s11, exec_lo
	s_and_b32 s25, vcc_lo, exec_lo
	s_delay_alu instid0(SALU_CYCLE_1)
	s_or_b32 s11, s11, s25
	s_or_b32 exec_lo, exec_lo, s26
	s_and_saveexec_b32 s25, s11
	s_cbranch_execnz .LBB6_2311
	s_branch .LBB6_2312
.LBB6_2710:                             ;   in Loop: Header=BB6_2080 Depth=2
	s_mov_b32 s11, -1
	s_mov_b32 s27, exec_lo
                                        ; implicit-def: $sgpr25
	v_cmpx_eq_u16_e32 0x80, v41
; %bb.2711:                             ;   in Loop: Header=BB6_2080 Depth=2
	s_mov_b32 s25, 0x7f800001
	s_xor_b32 s11, exec_lo, -1
; %bb.2712:                             ;   in Loop: Header=BB6_2080 Depth=2
	s_or_b32 exec_lo, exec_lo, s27
	s_delay_alu instid0(SALU_CYCLE_1)
	s_and_b32 s11, s11, exec_lo
                                        ; implicit-def: $vgpr41
	s_or_saveexec_b32 s26, s26
	v_mov_b32_e32 v40, s25
	s_xor_b32 exec_lo, exec_lo, s26
	s_cbranch_execz .LBB6_2322
.LBB6_2713:                             ;   in Loop: Header=BB6_2080 Depth=2
	v_cmp_ne_u16_e32 vcc_lo, 0, v41
	v_mov_b32_e32 v40, 0
	s_and_not1_b32 s11, s11, exec_lo
	s_and_b32 s25, vcc_lo, exec_lo
	s_delay_alu instid0(SALU_CYCLE_1)
	s_or_b32 s11, s11, s25
	s_or_b32 exec_lo, exec_lo, s26
	s_and_saveexec_b32 s25, s11
	s_cbranch_execnz .LBB6_2323
	s_branch .LBB6_2324
.LBB6_2714:                             ;   in Loop: Header=BB6_2080 Depth=2
	s_mov_b32 s11, -1
	s_mov_b32 s27, exec_lo
                                        ; implicit-def: $sgpr25
	v_cmpx_eq_u16_e32 0x80, v41
; %bb.2715:                             ;   in Loop: Header=BB6_2080 Depth=2
	s_mov_b32 s25, 0x7f800001
	s_xor_b32 s11, exec_lo, -1
; %bb.2716:                             ;   in Loop: Header=BB6_2080 Depth=2
	s_or_b32 exec_lo, exec_lo, s27
	s_delay_alu instid0(SALU_CYCLE_1)
	s_and_b32 s11, s11, exec_lo
                                        ; implicit-def: $vgpr41
	s_or_saveexec_b32 s26, s26
	v_mov_b32_e32 v183, s25
	s_xor_b32 exec_lo, exec_lo, s26
	s_cbranch_execz .LBB6_2326
.LBB6_2717:                             ;   in Loop: Header=BB6_2080 Depth=2
	v_cmp_ne_u16_e32 vcc_lo, 0, v41
	v_mov_b32_e32 v183, 0
	s_and_not1_b32 s11, s11, exec_lo
	s_and_b32 s25, vcc_lo, exec_lo
	s_delay_alu instid0(SALU_CYCLE_1)
	s_or_b32 s11, s11, s25
	s_or_b32 exec_lo, exec_lo, s26
	s_and_saveexec_b32 s25, s11
	s_cbranch_execnz .LBB6_2327
	s_branch .LBB6_2328
.LBB6_2718:                             ;   in Loop: Header=BB6_2080 Depth=2
	s_mov_b32 s11, -1
	s_mov_b32 s27, exec_lo
                                        ; implicit-def: $sgpr25
	v_cmpx_eq_u16_e32 0x80, v40
; %bb.2719:                             ;   in Loop: Header=BB6_2080 Depth=2
	s_mov_b32 s25, 0x7f800001
	s_xor_b32 s11, exec_lo, -1
; %bb.2720:                             ;   in Loop: Header=BB6_2080 Depth=2
	s_or_b32 exec_lo, exec_lo, s27
	s_delay_alu instid0(SALU_CYCLE_1)
	s_and_b32 s11, s11, exec_lo
                                        ; implicit-def: $vgpr40
	s_or_saveexec_b32 s26, s26
	v_mov_b32_e32 v183, s25
	s_xor_b32 exec_lo, exec_lo, s26
	s_cbranch_execz .LBB6_2338
.LBB6_2721:                             ;   in Loop: Header=BB6_2080 Depth=2
	v_cmp_ne_u16_e32 vcc_lo, 0, v40
	v_mov_b32_e32 v183, 0
	s_and_not1_b32 s11, s11, exec_lo
	s_and_b32 s25, vcc_lo, exec_lo
	s_delay_alu instid0(SALU_CYCLE_1)
	s_or_b32 s11, s11, s25
	s_or_b32 exec_lo, exec_lo, s26
	s_and_saveexec_b32 s25, s11
	s_cbranch_execnz .LBB6_2339
	s_branch .LBB6_2340
.LBB6_2722:                             ;   in Loop: Header=BB6_2080 Depth=2
	s_mov_b32 s11, -1
	s_mov_b32 s27, exec_lo
                                        ; implicit-def: $sgpr25
	v_cmpx_eq_u16_e32 0x80, v40
; %bb.2723:                             ;   in Loop: Header=BB6_2080 Depth=2
	s_mov_b32 s25, 0x7f800001
	s_xor_b32 s11, exec_lo, -1
; %bb.2724:                             ;   in Loop: Header=BB6_2080 Depth=2
	s_or_b32 exec_lo, exec_lo, s27
	s_delay_alu instid0(SALU_CYCLE_1)
	s_and_b32 s11, s11, exec_lo
                                        ; implicit-def: $vgpr40
	s_or_saveexec_b32 s26, s26
	v_mov_b32_e32 v181, s25
	s_xor_b32 exec_lo, exec_lo, s26
	s_cbranch_execz .LBB6_2342
.LBB6_2725:                             ;   in Loop: Header=BB6_2080 Depth=2
	v_cmp_ne_u16_e32 vcc_lo, 0, v40
	v_mov_b32_e32 v181, 0
	s_and_not1_b32 s11, s11, exec_lo
	s_and_b32 s25, vcc_lo, exec_lo
	s_delay_alu instid0(SALU_CYCLE_1)
	s_or_b32 s11, s11, s25
	s_or_b32 exec_lo, exec_lo, s26
	s_and_saveexec_b32 s25, s11
	s_cbranch_execnz .LBB6_2343
	s_branch .LBB6_2344
.LBB6_2726:                             ;   in Loop: Header=BB6_2080 Depth=2
	s_mov_b32 s11, -1
	s_mov_b32 s27, exec_lo
                                        ; implicit-def: $sgpr25
	v_cmpx_eq_u16_e64 0x80, v183
; %bb.2727:                             ;   in Loop: Header=BB6_2080 Depth=2
	s_mov_b32 s25, 0x7f800001
	s_xor_b32 s11, exec_lo, -1
; %bb.2728:                             ;   in Loop: Header=BB6_2080 Depth=2
	s_or_b32 exec_lo, exec_lo, s27
	s_delay_alu instid0(SALU_CYCLE_1)
	s_and_b32 s11, s11, exec_lo
                                        ; implicit-def: $vgpr183
	s_or_saveexec_b32 s26, s26
	v_mov_b32_e32 v181, s25
	s_xor_b32 exec_lo, exec_lo, s26
	s_cbranch_execz .LBB6_2354
.LBB6_2729:                             ;   in Loop: Header=BB6_2080 Depth=2
	v_cmp_ne_u16_e64 vcc_lo, 0, v183
	v_mov_b32_e32 v181, 0
	s_and_not1_b32 s11, s11, exec_lo
	s_delay_alu instid0(VALU_DEP_2) | instskip(NEXT) | instid1(SALU_CYCLE_1)
	s_and_b32 s25, vcc_lo, exec_lo
	s_or_b32 s11, s11, s25
	s_or_b32 exec_lo, exec_lo, s26
	s_and_saveexec_b32 s25, s11
	s_cbranch_execnz .LBB6_2355
	s_branch .LBB6_2356
.LBB6_2730:                             ;   in Loop: Header=BB6_2080 Depth=2
	s_mov_b32 s11, -1
	s_mov_b32 s27, exec_lo
                                        ; implicit-def: $sgpr25
	v_cmpx_eq_u16_e64 0x80, v183
; %bb.2731:                             ;   in Loop: Header=BB6_2080 Depth=2
	s_mov_b32 s25, 0x7f800001
	s_xor_b32 s11, exec_lo, -1
; %bb.2732:                             ;   in Loop: Header=BB6_2080 Depth=2
	s_or_b32 exec_lo, exec_lo, s27
	s_delay_alu instid0(SALU_CYCLE_1)
	s_and_b32 s11, s11, exec_lo
                                        ; implicit-def: $vgpr183
	s_or_saveexec_b32 s26, s26
	v_mov_b32_e32 v178, s25
	s_xor_b32 exec_lo, exec_lo, s26
	s_cbranch_execz .LBB6_2358
.LBB6_2733:                             ;   in Loop: Header=BB6_2080 Depth=2
	v_cmp_ne_u16_e64 vcc_lo, 0, v183
	v_mov_b32_e32 v178, 0
	s_and_not1_b32 s11, s11, exec_lo
	s_delay_alu instid0(VALU_DEP_2) | instskip(NEXT) | instid1(SALU_CYCLE_1)
	s_and_b32 s25, vcc_lo, exec_lo
	s_or_b32 s11, s11, s25
	s_or_b32 exec_lo, exec_lo, s26
	s_and_saveexec_b32 s25, s11
	s_cbranch_execnz .LBB6_2359
	s_branch .LBB6_2360
.LBB6_2734:                             ;   in Loop: Header=BB6_2080 Depth=2
	s_mov_b32 s11, -1
	s_mov_b32 s27, exec_lo
                                        ; implicit-def: $sgpr25
	v_cmpx_eq_u16_e64 0x80, v181
; %bb.2735:                             ;   in Loop: Header=BB6_2080 Depth=2
	s_mov_b32 s25, 0x7f800001
	s_xor_b32 s11, exec_lo, -1
; %bb.2736:                             ;   in Loop: Header=BB6_2080 Depth=2
	s_or_b32 exec_lo, exec_lo, s27
	s_delay_alu instid0(SALU_CYCLE_1)
	s_and_b32 s11, s11, exec_lo
                                        ; implicit-def: $vgpr181
	s_or_saveexec_b32 s26, s26
	v_mov_b32_e32 v178, s25
	s_xor_b32 exec_lo, exec_lo, s26
	s_cbranch_execz .LBB6_2370
.LBB6_2737:                             ;   in Loop: Header=BB6_2080 Depth=2
	v_cmp_ne_u16_e64 vcc_lo, 0, v181
	v_mov_b32_e32 v178, 0
	s_and_not1_b32 s11, s11, exec_lo
	s_delay_alu instid0(VALU_DEP_2) | instskip(NEXT) | instid1(SALU_CYCLE_1)
	s_and_b32 s25, vcc_lo, exec_lo
	s_or_b32 s11, s11, s25
	s_or_b32 exec_lo, exec_lo, s26
	s_and_saveexec_b32 s25, s11
	s_cbranch_execnz .LBB6_2371
	s_branch .LBB6_2372
.LBB6_2738:                             ;   in Loop: Header=BB6_2080 Depth=2
	s_mov_b32 s11, -1
	s_mov_b32 s27, exec_lo
                                        ; implicit-def: $sgpr25
	v_cmpx_eq_u16_e64 0x80, v181
; %bb.2739:                             ;   in Loop: Header=BB6_2080 Depth=2
	s_mov_b32 s25, 0x7f800001
	s_xor_b32 s11, exec_lo, -1
; %bb.2740:                             ;   in Loop: Header=BB6_2080 Depth=2
	s_or_b32 exec_lo, exec_lo, s27
	s_delay_alu instid0(SALU_CYCLE_1)
	s_and_b32 s11, s11, exec_lo
                                        ; implicit-def: $vgpr181
	s_or_saveexec_b32 s26, s26
	v_mov_b32_e32 v167, s25
	s_xor_b32 exec_lo, exec_lo, s26
	s_cbranch_execz .LBB6_2374
.LBB6_2741:                             ;   in Loop: Header=BB6_2080 Depth=2
	v_cmp_ne_u16_e64 vcc_lo, 0, v181
	v_mov_b32_e32 v167, 0
	s_and_not1_b32 s11, s11, exec_lo
	s_delay_alu instid0(VALU_DEP_2) | instskip(NEXT) | instid1(SALU_CYCLE_1)
	s_and_b32 s25, vcc_lo, exec_lo
	s_or_b32 s11, s11, s25
	s_or_b32 exec_lo, exec_lo, s26
	s_and_saveexec_b32 s25, s11
	s_cbranch_execnz .LBB6_2375
	s_branch .LBB6_2376
.LBB6_2742:                             ;   in Loop: Header=BB6_2080 Depth=2
	s_mov_b32 s11, -1
	s_mov_b32 s27, exec_lo
                                        ; implicit-def: $sgpr25
	v_cmpx_eq_u16_e64 0x80, v178
; %bb.2743:                             ;   in Loop: Header=BB6_2080 Depth=2
	s_mov_b32 s25, 0x7f800001
	s_xor_b32 s11, exec_lo, -1
; %bb.2744:                             ;   in Loop: Header=BB6_2080 Depth=2
	s_or_b32 exec_lo, exec_lo, s27
	s_delay_alu instid0(SALU_CYCLE_1)
	s_and_b32 s11, s11, exec_lo
                                        ; implicit-def: $vgpr178
	s_or_saveexec_b32 s26, s26
	v_mov_b32_e32 v167, s25
	s_xor_b32 exec_lo, exec_lo, s26
	s_cbranch_execz .LBB6_2386
.LBB6_2745:                             ;   in Loop: Header=BB6_2080 Depth=2
	v_cmp_ne_u16_e64 vcc_lo, 0, v178
	v_mov_b32_e32 v167, 0
	s_and_not1_b32 s11, s11, exec_lo
	s_delay_alu instid0(VALU_DEP_2) | instskip(NEXT) | instid1(SALU_CYCLE_1)
	s_and_b32 s25, vcc_lo, exec_lo
	s_or_b32 s11, s11, s25
	s_or_b32 exec_lo, exec_lo, s26
	s_and_saveexec_b32 s25, s11
	s_cbranch_execnz .LBB6_2387
	s_branch .LBB6_2388
.LBB6_2746:                             ;   in Loop: Header=BB6_2080 Depth=2
	s_mov_b32 s11, -1
	s_mov_b32 s27, exec_lo
                                        ; implicit-def: $sgpr25
	v_cmpx_eq_u16_e64 0x80, v178
; %bb.2747:                             ;   in Loop: Header=BB6_2080 Depth=2
	s_mov_b32 s25, 0x7f800001
	s_xor_b32 s11, exec_lo, -1
; %bb.2748:                             ;   in Loop: Header=BB6_2080 Depth=2
	s_or_b32 exec_lo, exec_lo, s27
	s_delay_alu instid0(SALU_CYCLE_1)
	s_and_b32 s11, s11, exec_lo
                                        ; implicit-def: $vgpr178
	s_or_saveexec_b32 s26, s26
	v_mov_b32_e32 v164, s25
	s_xor_b32 exec_lo, exec_lo, s26
	s_cbranch_execz .LBB6_2390
.LBB6_2749:                             ;   in Loop: Header=BB6_2080 Depth=2
	v_cmp_ne_u16_e64 vcc_lo, 0, v178
	v_mov_b32_e32 v164, 0
	s_and_not1_b32 s11, s11, exec_lo
	s_delay_alu instid0(VALU_DEP_2) | instskip(NEXT) | instid1(SALU_CYCLE_1)
	s_and_b32 s25, vcc_lo, exec_lo
	s_or_b32 s11, s11, s25
	s_or_b32 exec_lo, exec_lo, s26
	s_and_saveexec_b32 s25, s11
	s_cbranch_execnz .LBB6_2391
	s_branch .LBB6_2392
.LBB6_2750:                             ;   in Loop: Header=BB6_2080 Depth=2
	s_mov_b32 s11, -1
	s_mov_b32 s27, exec_lo
                                        ; implicit-def: $sgpr25
	v_cmpx_eq_u16_e64 0x80, v167
; %bb.2751:                             ;   in Loop: Header=BB6_2080 Depth=2
	s_mov_b32 s25, 0x7f800001
	s_xor_b32 s11, exec_lo, -1
; %bb.2752:                             ;   in Loop: Header=BB6_2080 Depth=2
	s_or_b32 exec_lo, exec_lo, s27
	s_delay_alu instid0(SALU_CYCLE_1)
	s_and_b32 s11, s11, exec_lo
                                        ; implicit-def: $vgpr167
	s_or_saveexec_b32 s26, s26
	v_mov_b32_e32 v164, s25
	s_xor_b32 exec_lo, exec_lo, s26
	s_cbranch_execz .LBB6_2402
.LBB6_2753:                             ;   in Loop: Header=BB6_2080 Depth=2
	v_cmp_ne_u16_e64 vcc_lo, 0, v167
	v_mov_b32_e32 v164, 0
	s_and_not1_b32 s11, s11, exec_lo
	s_delay_alu instid0(VALU_DEP_2) | instskip(NEXT) | instid1(SALU_CYCLE_1)
	s_and_b32 s25, vcc_lo, exec_lo
	s_or_b32 s11, s11, s25
	s_or_b32 exec_lo, exec_lo, s26
	s_and_saveexec_b32 s25, s11
	s_cbranch_execnz .LBB6_2403
	s_branch .LBB6_2404
.LBB6_2754:                             ;   in Loop: Header=BB6_2080 Depth=2
	s_mov_b32 s11, -1
	s_mov_b32 s27, exec_lo
                                        ; implicit-def: $sgpr25
	v_cmpx_eq_u16_e64 0x80, v167
; %bb.2755:                             ;   in Loop: Header=BB6_2080 Depth=2
	s_mov_b32 s25, 0x7f800001
	s_xor_b32 s11, exec_lo, -1
; %bb.2756:                             ;   in Loop: Header=BB6_2080 Depth=2
	s_or_b32 exec_lo, exec_lo, s27
	s_delay_alu instid0(SALU_CYCLE_1)
	s_and_b32 s11, s11, exec_lo
                                        ; implicit-def: $vgpr167
	s_or_saveexec_b32 s26, s26
	v_mov_b32_e32 v161, s25
	s_xor_b32 exec_lo, exec_lo, s26
	s_cbranch_execz .LBB6_2406
.LBB6_2757:                             ;   in Loop: Header=BB6_2080 Depth=2
	v_cmp_ne_u16_e64 vcc_lo, 0, v167
	v_mov_b32_e32 v161, 0
	s_and_not1_b32 s11, s11, exec_lo
	s_delay_alu instid0(VALU_DEP_2) | instskip(NEXT) | instid1(SALU_CYCLE_1)
	s_and_b32 s25, vcc_lo, exec_lo
	s_or_b32 s11, s11, s25
	s_or_b32 exec_lo, exec_lo, s26
	s_and_saveexec_b32 s25, s11
	s_cbranch_execnz .LBB6_2407
	s_branch .LBB6_2408
.LBB6_2758:                             ;   in Loop: Header=BB6_2080 Depth=2
	s_mov_b32 s11, -1
	s_mov_b32 s27, exec_lo
                                        ; implicit-def: $sgpr25
	v_cmpx_eq_u16_e64 0x80, v164
; %bb.2759:                             ;   in Loop: Header=BB6_2080 Depth=2
	s_mov_b32 s25, 0x7f800001
	s_xor_b32 s11, exec_lo, -1
; %bb.2760:                             ;   in Loop: Header=BB6_2080 Depth=2
	s_or_b32 exec_lo, exec_lo, s27
	s_delay_alu instid0(SALU_CYCLE_1)
	s_and_b32 s11, s11, exec_lo
                                        ; implicit-def: $vgpr164
	s_or_saveexec_b32 s26, s26
	v_mov_b32_e32 v161, s25
	s_xor_b32 exec_lo, exec_lo, s26
	s_cbranch_execz .LBB6_2418
.LBB6_2761:                             ;   in Loop: Header=BB6_2080 Depth=2
	v_cmp_ne_u16_e64 vcc_lo, 0, v164
	v_mov_b32_e32 v161, 0
	s_and_not1_b32 s11, s11, exec_lo
	s_delay_alu instid0(VALU_DEP_2) | instskip(NEXT) | instid1(SALU_CYCLE_1)
	s_and_b32 s25, vcc_lo, exec_lo
	s_or_b32 s11, s11, s25
	s_or_b32 exec_lo, exec_lo, s26
	s_and_saveexec_b32 s25, s11
	s_cbranch_execnz .LBB6_2419
	s_branch .LBB6_2420
.LBB6_2762:                             ;   in Loop: Header=BB6_2080 Depth=2
	s_mov_b32 s11, -1
	s_mov_b32 s27, exec_lo
                                        ; implicit-def: $sgpr25
	v_cmpx_eq_u16_e64 0x80, v164
; %bb.2763:                             ;   in Loop: Header=BB6_2080 Depth=2
	s_mov_b32 s25, 0x7f800001
	s_xor_b32 s11, exec_lo, -1
; %bb.2764:                             ;   in Loop: Header=BB6_2080 Depth=2
	s_or_b32 exec_lo, exec_lo, s27
	s_delay_alu instid0(SALU_CYCLE_1)
	s_and_b32 s11, s11, exec_lo
                                        ; implicit-def: $vgpr164
	s_or_saveexec_b32 s26, s26
	v_mov_b32_e32 v150, s25
	s_xor_b32 exec_lo, exec_lo, s26
	s_cbranch_execz .LBB6_2422
.LBB6_2765:                             ;   in Loop: Header=BB6_2080 Depth=2
	v_cmp_ne_u16_e64 vcc_lo, 0, v164
	v_mov_b32_e32 v150, 0
	s_and_not1_b32 s11, s11, exec_lo
	s_delay_alu instid0(VALU_DEP_2) | instskip(NEXT) | instid1(SALU_CYCLE_1)
	s_and_b32 s25, vcc_lo, exec_lo
	s_or_b32 s11, s11, s25
	s_or_b32 exec_lo, exec_lo, s26
	s_and_saveexec_b32 s25, s11
	s_cbranch_execnz .LBB6_2423
	s_branch .LBB6_2424
.LBB6_2766:                             ;   in Loop: Header=BB6_2080 Depth=2
	s_mov_b32 s11, -1
	s_mov_b32 s27, exec_lo
                                        ; implicit-def: $sgpr25
	v_cmpx_eq_u16_e64 0x80, v161
; %bb.2767:                             ;   in Loop: Header=BB6_2080 Depth=2
	s_mov_b32 s25, 0x7f800001
	s_xor_b32 s11, exec_lo, -1
; %bb.2768:                             ;   in Loop: Header=BB6_2080 Depth=2
	s_or_b32 exec_lo, exec_lo, s27
	s_delay_alu instid0(SALU_CYCLE_1)
	s_and_b32 s11, s11, exec_lo
                                        ; implicit-def: $vgpr161
	s_or_saveexec_b32 s26, s26
	v_mov_b32_e32 v150, s25
	s_xor_b32 exec_lo, exec_lo, s26
	s_cbranch_execz .LBB6_2434
.LBB6_2769:                             ;   in Loop: Header=BB6_2080 Depth=2
	v_cmp_ne_u16_e64 vcc_lo, 0, v161
	v_mov_b32_e32 v150, 0
	s_and_not1_b32 s11, s11, exec_lo
	s_delay_alu instid0(VALU_DEP_2) | instskip(NEXT) | instid1(SALU_CYCLE_1)
	s_and_b32 s25, vcc_lo, exec_lo
	s_or_b32 s11, s11, s25
	s_or_b32 exec_lo, exec_lo, s26
	s_and_saveexec_b32 s25, s11
	s_cbranch_execnz .LBB6_2435
	s_branch .LBB6_2436
.LBB6_2770:                             ;   in Loop: Header=BB6_2080 Depth=2
	s_mov_b32 s11, -1
	s_mov_b32 s27, exec_lo
                                        ; implicit-def: $sgpr25
	v_cmpx_eq_u16_e64 0x80, v161
; %bb.2771:                             ;   in Loop: Header=BB6_2080 Depth=2
	s_mov_b32 s25, 0x7f800001
	s_xor_b32 s11, exec_lo, -1
; %bb.2772:                             ;   in Loop: Header=BB6_2080 Depth=2
	s_or_b32 exec_lo, exec_lo, s27
	s_delay_alu instid0(SALU_CYCLE_1)
	s_and_b32 s11, s11, exec_lo
                                        ; implicit-def: $vgpr161
	s_or_saveexec_b32 s26, s26
	v_mov_b32_e32 v147, s25
	s_xor_b32 exec_lo, exec_lo, s26
	s_cbranch_execz .LBB6_2438
.LBB6_2773:                             ;   in Loop: Header=BB6_2080 Depth=2
	v_cmp_ne_u16_e64 vcc_lo, 0, v161
	v_mov_b32_e32 v147, 0
	s_and_not1_b32 s11, s11, exec_lo
	s_delay_alu instid0(VALU_DEP_2) | instskip(NEXT) | instid1(SALU_CYCLE_1)
	s_and_b32 s25, vcc_lo, exec_lo
	s_or_b32 s11, s11, s25
	s_or_b32 exec_lo, exec_lo, s26
	s_and_saveexec_b32 s25, s11
	s_cbranch_execnz .LBB6_2439
	s_branch .LBB6_2440
.LBB6_2774:                             ;   in Loop: Header=BB6_2080 Depth=2
	s_mov_b32 s11, -1
	s_mov_b32 s27, exec_lo
                                        ; implicit-def: $sgpr25
	v_cmpx_eq_u16_e64 0x80, v150
; %bb.2775:                             ;   in Loop: Header=BB6_2080 Depth=2
	s_mov_b32 s25, 0x7f800001
	s_xor_b32 s11, exec_lo, -1
; %bb.2776:                             ;   in Loop: Header=BB6_2080 Depth=2
	s_or_b32 exec_lo, exec_lo, s27
	s_delay_alu instid0(SALU_CYCLE_1)
	s_and_b32 s11, s11, exec_lo
                                        ; implicit-def: $vgpr150
	s_or_saveexec_b32 s26, s26
	v_mov_b32_e32 v147, s25
	s_xor_b32 exec_lo, exec_lo, s26
	s_cbranch_execz .LBB6_2450
.LBB6_2777:                             ;   in Loop: Header=BB6_2080 Depth=2
	v_cmp_ne_u16_e64 vcc_lo, 0, v150
	v_mov_b32_e32 v147, 0
	s_and_not1_b32 s11, s11, exec_lo
	s_delay_alu instid0(VALU_DEP_2) | instskip(NEXT) | instid1(SALU_CYCLE_1)
	s_and_b32 s25, vcc_lo, exec_lo
	s_or_b32 s11, s11, s25
	s_or_b32 exec_lo, exec_lo, s26
	s_and_saveexec_b32 s25, s11
	s_cbranch_execnz .LBB6_2451
	s_branch .LBB6_2452
.LBB6_2778:                             ;   in Loop: Header=BB6_2080 Depth=2
	s_mov_b32 s11, -1
	s_mov_b32 s27, exec_lo
                                        ; implicit-def: $sgpr25
	v_cmpx_eq_u16_e64 0x80, v150
; %bb.2779:                             ;   in Loop: Header=BB6_2080 Depth=2
	s_mov_b32 s25, 0x7f800001
	s_xor_b32 s11, exec_lo, -1
; %bb.2780:                             ;   in Loop: Header=BB6_2080 Depth=2
	s_or_b32 exec_lo, exec_lo, s27
	s_delay_alu instid0(SALU_CYCLE_1)
	s_and_b32 s11, s11, exec_lo
                                        ; implicit-def: $vgpr150
	s_or_saveexec_b32 s26, s26
	v_mov_b32_e32 v101, s25
	s_xor_b32 exec_lo, exec_lo, s26
	s_cbranch_execz .LBB6_2454
.LBB6_2781:                             ;   in Loop: Header=BB6_2080 Depth=2
	v_cmp_ne_u16_e64 vcc_lo, 0, v150
	v_mov_b32_e32 v101, 0
	s_and_not1_b32 s11, s11, exec_lo
	s_delay_alu instid0(VALU_DEP_2) | instskip(NEXT) | instid1(SALU_CYCLE_1)
	s_and_b32 s25, vcc_lo, exec_lo
	s_or_b32 s11, s11, s25
	s_or_b32 exec_lo, exec_lo, s26
	s_and_saveexec_b32 s25, s11
	s_cbranch_execnz .LBB6_2455
	s_branch .LBB6_2456
.LBB6_2782:                             ;   in Loop: Header=BB6_2080 Depth=2
	s_mov_b32 s11, -1
	s_mov_b32 s27, exec_lo
                                        ; implicit-def: $sgpr25
	v_cmpx_eq_u16_e64 0x80, v147
; %bb.2783:                             ;   in Loop: Header=BB6_2080 Depth=2
	s_mov_b32 s25, 0x7f800001
	s_xor_b32 s11, exec_lo, -1
; %bb.2784:                             ;   in Loop: Header=BB6_2080 Depth=2
	s_or_b32 exec_lo, exec_lo, s27
	s_delay_alu instid0(SALU_CYCLE_1)
	s_and_b32 s11, s11, exec_lo
                                        ; implicit-def: $vgpr147
	s_or_saveexec_b32 s26, s26
	v_mov_b32_e32 v101, s25
	s_xor_b32 exec_lo, exec_lo, s26
	s_cbranch_execz .LBB6_2466
.LBB6_2785:                             ;   in Loop: Header=BB6_2080 Depth=2
	v_cmp_ne_u16_e64 vcc_lo, 0, v147
	v_mov_b32_e32 v101, 0
	s_and_not1_b32 s11, s11, exec_lo
	s_delay_alu instid0(VALU_DEP_2) | instskip(NEXT) | instid1(SALU_CYCLE_1)
	s_and_b32 s25, vcc_lo, exec_lo
	s_or_b32 s11, s11, s25
	s_or_b32 exec_lo, exec_lo, s26
	s_and_saveexec_b32 s25, s11
	s_cbranch_execnz .LBB6_2467
	s_branch .LBB6_2468
.LBB6_2786:                             ;   in Loop: Header=BB6_2080 Depth=2
	s_mov_b32 s11, -1
	s_mov_b32 s27, exec_lo
                                        ; implicit-def: $sgpr25
	v_cmpx_eq_u16_e64 0x80, v147
; %bb.2787:                             ;   in Loop: Header=BB6_2080 Depth=2
	s_mov_b32 s25, 0x7f800001
	s_xor_b32 s11, exec_lo, -1
; %bb.2788:                             ;   in Loop: Header=BB6_2080 Depth=2
	s_or_b32 exec_lo, exec_lo, s27
	s_delay_alu instid0(SALU_CYCLE_1)
	s_and_b32 s11, s11, exec_lo
                                        ; implicit-def: $vgpr147
	s_or_saveexec_b32 s26, s26
	v_mov_b32_e32 v98, s25
	s_xor_b32 exec_lo, exec_lo, s26
	s_cbranch_execz .LBB6_2470
.LBB6_2789:                             ;   in Loop: Header=BB6_2080 Depth=2
	v_cmp_ne_u16_e64 vcc_lo, 0, v147
	v_mov_b32_e32 v98, 0
	s_and_not1_b32 s11, s11, exec_lo
	s_delay_alu instid0(VALU_DEP_2) | instskip(NEXT) | instid1(SALU_CYCLE_1)
	s_and_b32 s25, vcc_lo, exec_lo
	s_or_b32 s11, s11, s25
	s_or_b32 exec_lo, exec_lo, s26
	s_and_saveexec_b32 s25, s11
	s_cbranch_execnz .LBB6_2471
	s_branch .LBB6_2472
.LBB6_2790:                             ;   in Loop: Header=BB6_2080 Depth=2
	s_mov_b32 s11, -1
	s_mov_b32 s27, exec_lo
                                        ; implicit-def: $sgpr25
	v_cmpx_eq_u16_e32 0x80, v101
; %bb.2791:                             ;   in Loop: Header=BB6_2080 Depth=2
	s_mov_b32 s25, 0x7f800001
	s_xor_b32 s11, exec_lo, -1
; %bb.2792:                             ;   in Loop: Header=BB6_2080 Depth=2
	s_or_b32 exec_lo, exec_lo, s27
	s_delay_alu instid0(SALU_CYCLE_1)
	s_and_b32 s11, s11, exec_lo
                                        ; implicit-def: $vgpr101
	s_or_saveexec_b32 s26, s26
	v_mov_b32_e32 v98, s25
	s_xor_b32 exec_lo, exec_lo, s26
	s_cbranch_execz .LBB6_2482
.LBB6_2793:                             ;   in Loop: Header=BB6_2080 Depth=2
	v_cmp_ne_u16_e32 vcc_lo, 0, v101
	v_mov_b32_e32 v98, 0
	s_and_not1_b32 s11, s11, exec_lo
	s_and_b32 s25, vcc_lo, exec_lo
	s_delay_alu instid0(SALU_CYCLE_1)
	s_or_b32 s11, s11, s25
	s_or_b32 exec_lo, exec_lo, s26
	s_and_saveexec_b32 s25, s11
	s_cbranch_execnz .LBB6_2483
	s_branch .LBB6_2484
.LBB6_2794:                             ;   in Loop: Header=BB6_2080 Depth=2
	s_mov_b32 s11, -1
	s_mov_b32 s27, exec_lo
                                        ; implicit-def: $sgpr25
	v_cmpx_eq_u16_e32 0x80, v101
; %bb.2795:                             ;   in Loop: Header=BB6_2080 Depth=2
	s_mov_b32 s25, 0x7f800001
	s_xor_b32 s11, exec_lo, -1
; %bb.2796:                             ;   in Loop: Header=BB6_2080 Depth=2
	s_or_b32 exec_lo, exec_lo, s27
	s_delay_alu instid0(SALU_CYCLE_1)
	s_and_b32 s11, s11, exec_lo
                                        ; implicit-def: $vgpr101
	s_or_saveexec_b32 s26, s26
	v_mov_b32_e32 v50, s25
	s_xor_b32 exec_lo, exec_lo, s26
	s_cbranch_execz .LBB6_2486
.LBB6_2797:                             ;   in Loop: Header=BB6_2080 Depth=2
	v_cmp_ne_u16_e32 vcc_lo, 0, v101
	v_mov_b32_e32 v50, 0
	s_and_not1_b32 s11, s11, exec_lo
	s_and_b32 s25, vcc_lo, exec_lo
	s_delay_alu instid0(SALU_CYCLE_1)
	s_or_b32 s11, s11, s25
	s_or_b32 exec_lo, exec_lo, s26
	s_and_saveexec_b32 s25, s11
	s_cbranch_execnz .LBB6_2487
	s_branch .LBB6_2488
.LBB6_2798:                             ;   in Loop: Header=BB6_2080 Depth=2
	s_mov_b32 s11, -1
	s_mov_b32 s27, exec_lo
                                        ; implicit-def: $sgpr25
	v_cmpx_eq_u16_e32 0x80, v98
; %bb.2799:                             ;   in Loop: Header=BB6_2080 Depth=2
	s_mov_b32 s25, 0x7f800001
	s_xor_b32 s11, exec_lo, -1
; %bb.2800:                             ;   in Loop: Header=BB6_2080 Depth=2
	s_or_b32 exec_lo, exec_lo, s27
	s_delay_alu instid0(SALU_CYCLE_1)
	s_and_b32 s11, s11, exec_lo
                                        ; implicit-def: $vgpr98
	s_or_saveexec_b32 s26, s26
	v_mov_b32_e32 v50, s25
	s_xor_b32 exec_lo, exec_lo, s26
	s_cbranch_execz .LBB6_2498
.LBB6_2801:                             ;   in Loop: Header=BB6_2080 Depth=2
	v_cmp_ne_u16_e32 vcc_lo, 0, v98
	v_mov_b32_e32 v50, 0
	s_and_not1_b32 s11, s11, exec_lo
	s_and_b32 s25, vcc_lo, exec_lo
	s_delay_alu instid0(SALU_CYCLE_1)
	s_or_b32 s11, s11, s25
	s_or_b32 exec_lo, exec_lo, s26
	s_and_saveexec_b32 s25, s11
	s_cbranch_execnz .LBB6_2499
	s_branch .LBB6_2500
.LBB6_2802:                             ;   in Loop: Header=BB6_2080 Depth=2
	s_mov_b32 s11, -1
	s_mov_b32 s27, exec_lo
                                        ; implicit-def: $sgpr25
	v_cmpx_eq_u16_e32 0x80, v98
; %bb.2803:                             ;   in Loop: Header=BB6_2080 Depth=2
	s_mov_b32 s25, 0x7f800001
	s_xor_b32 s11, exec_lo, -1
; %bb.2804:                             ;   in Loop: Header=BB6_2080 Depth=2
	s_or_b32 exec_lo, exec_lo, s27
	s_delay_alu instid0(SALU_CYCLE_1)
	s_and_b32 s11, s11, exec_lo
                                        ; implicit-def: $vgpr98
	s_or_saveexec_b32 s26, s26
	v_mov_b32_e32 v39, s25
	s_xor_b32 exec_lo, exec_lo, s26
	s_cbranch_execz .LBB6_2502
.LBB6_2805:                             ;   in Loop: Header=BB6_2080 Depth=2
	v_cmp_ne_u16_e32 vcc_lo, 0, v98
	v_mov_b32_e32 v39, 0
	s_and_not1_b32 s11, s11, exec_lo
	s_and_b32 s25, vcc_lo, exec_lo
	s_delay_alu instid0(SALU_CYCLE_1)
	s_or_b32 s11, s11, s25
	s_or_b32 exec_lo, exec_lo, s26
	s_and_saveexec_b32 s25, s11
	s_cbranch_execnz .LBB6_2503
	s_branch .LBB6_2504
.LBB6_2806:                             ;   in Loop: Header=BB6_2080 Depth=2
	s_mov_b32 s11, -1
	s_mov_b32 s27, exec_lo
                                        ; implicit-def: $sgpr25
	v_cmpx_eq_u16_e32 0x80, v50
; %bb.2807:                             ;   in Loop: Header=BB6_2080 Depth=2
	s_mov_b32 s25, 0x7f800001
	s_xor_b32 s11, exec_lo, -1
; %bb.2808:                             ;   in Loop: Header=BB6_2080 Depth=2
	s_or_b32 exec_lo, exec_lo, s27
	s_delay_alu instid0(SALU_CYCLE_1)
	s_and_b32 s11, s11, exec_lo
                                        ; implicit-def: $vgpr50
	s_or_saveexec_b32 s26, s26
	v_mov_b32_e32 v39, s25
	s_xor_b32 exec_lo, exec_lo, s26
	s_cbranch_execz .LBB6_2514
.LBB6_2809:                             ;   in Loop: Header=BB6_2080 Depth=2
	v_cmp_ne_u16_e32 vcc_lo, 0, v50
	v_mov_b32_e32 v39, 0
	s_and_not1_b32 s11, s11, exec_lo
	s_and_b32 s25, vcc_lo, exec_lo
	s_delay_alu instid0(SALU_CYCLE_1)
	s_or_b32 s11, s11, s25
	s_or_b32 exec_lo, exec_lo, s26
	s_and_saveexec_b32 s25, s11
	s_cbranch_execnz .LBB6_2515
	s_branch .LBB6_2516
.LBB6_2810:                             ;   in Loop: Header=BB6_2080 Depth=2
	s_mov_b32 s11, -1
	s_mov_b32 s27, exec_lo
                                        ; implicit-def: $sgpr25
	v_cmpx_eq_u16_e32 0x80, v50
; %bb.2811:                             ;   in Loop: Header=BB6_2080 Depth=2
	s_mov_b32 s25, 0x7f800001
	s_xor_b32 s11, exec_lo, -1
; %bb.2812:                             ;   in Loop: Header=BB6_2080 Depth=2
	s_or_b32 exec_lo, exec_lo, s27
	s_delay_alu instid0(SALU_CYCLE_1)
	s_and_b32 s11, s11, exec_lo
                                        ; implicit-def: $vgpr50
	s_or_saveexec_b32 s26, s26
	v_mov_b32_e32 v36, s25
	s_xor_b32 exec_lo, exec_lo, s26
	s_cbranch_execz .LBB6_2518
.LBB6_2813:                             ;   in Loop: Header=BB6_2080 Depth=2
	v_cmp_ne_u16_e32 vcc_lo, 0, v50
	v_mov_b32_e32 v36, 0
	s_and_not1_b32 s11, s11, exec_lo
	s_and_b32 s25, vcc_lo, exec_lo
	s_delay_alu instid0(SALU_CYCLE_1)
	s_or_b32 s11, s11, s25
	s_or_b32 exec_lo, exec_lo, s26
	s_and_saveexec_b32 s25, s11
	s_cbranch_execnz .LBB6_2519
	s_branch .LBB6_2520
.LBB6_2814:                             ;   in Loop: Header=BB6_2080 Depth=2
	s_mov_b32 s11, -1
	s_mov_b32 s27, exec_lo
                                        ; implicit-def: $sgpr25
	v_cmpx_eq_u16_e32 0x80, v39
; %bb.2815:                             ;   in Loop: Header=BB6_2080 Depth=2
	s_mov_b32 s25, 0x7f800001
	s_xor_b32 s11, exec_lo, -1
; %bb.2816:                             ;   in Loop: Header=BB6_2080 Depth=2
	s_or_b32 exec_lo, exec_lo, s27
	s_delay_alu instid0(SALU_CYCLE_1)
	s_and_b32 s11, s11, exec_lo
                                        ; implicit-def: $vgpr39
	s_or_saveexec_b32 s26, s26
	v_mov_b32_e32 v36, s25
	s_xor_b32 exec_lo, exec_lo, s26
	s_cbranch_execz .LBB6_2530
.LBB6_2817:                             ;   in Loop: Header=BB6_2080 Depth=2
	v_cmp_ne_u16_e32 vcc_lo, 0, v39
	v_mov_b32_e32 v36, 0
	s_and_not1_b32 s11, s11, exec_lo
	s_and_b32 s25, vcc_lo, exec_lo
	s_delay_alu instid0(SALU_CYCLE_1)
	s_or_b32 s11, s11, s25
	s_or_b32 exec_lo, exec_lo, s26
	s_and_saveexec_b32 s25, s11
	s_cbranch_execnz .LBB6_2531
	s_branch .LBB6_2532
.LBB6_2818:                             ;   in Loop: Header=BB6_2080 Depth=2
	s_mov_b32 s11, -1
	s_mov_b32 s27, exec_lo
                                        ; implicit-def: $sgpr25
	v_cmpx_eq_u16_e32 0x80, v39
; %bb.2819:                             ;   in Loop: Header=BB6_2080 Depth=2
	s_mov_b32 s25, 0x7f800001
	s_xor_b32 s11, exec_lo, -1
; %bb.2820:                             ;   in Loop: Header=BB6_2080 Depth=2
	s_or_b32 exec_lo, exec_lo, s27
	s_delay_alu instid0(SALU_CYCLE_1)
	s_and_b32 s11, s11, exec_lo
                                        ; implicit-def: $vgpr39
	s_or_saveexec_b32 s26, s26
	v_mov_b32_e32 v33, s25
	s_xor_b32 exec_lo, exec_lo, s26
	s_cbranch_execz .LBB6_2534
.LBB6_2821:                             ;   in Loop: Header=BB6_2080 Depth=2
	v_cmp_ne_u16_e32 vcc_lo, 0, v39
	v_mov_b32_e32 v33, 0
	s_and_not1_b32 s11, s11, exec_lo
	s_and_b32 s25, vcc_lo, exec_lo
	s_delay_alu instid0(SALU_CYCLE_1)
	s_or_b32 s11, s11, s25
	s_or_b32 exec_lo, exec_lo, s26
	s_and_saveexec_b32 s25, s11
	s_cbranch_execnz .LBB6_2535
	s_branch .LBB6_2536
.LBB6_2822:                             ;   in Loop: Header=BB6_2080 Depth=2
	s_mov_b32 s11, -1
	s_mov_b32 s27, exec_lo
                                        ; implicit-def: $sgpr25
	v_cmpx_eq_u16_e32 0x80, v36
; %bb.2823:                             ;   in Loop: Header=BB6_2080 Depth=2
	s_mov_b32 s25, 0x7f800001
	s_xor_b32 s11, exec_lo, -1
; %bb.2824:                             ;   in Loop: Header=BB6_2080 Depth=2
	s_or_b32 exec_lo, exec_lo, s27
	s_delay_alu instid0(SALU_CYCLE_1)
	s_and_b32 s11, s11, exec_lo
                                        ; implicit-def: $vgpr36
	s_or_saveexec_b32 s26, s26
	v_mov_b32_e32 v33, s25
	s_xor_b32 exec_lo, exec_lo, s26
	s_cbranch_execz .LBB6_2546
.LBB6_2825:                             ;   in Loop: Header=BB6_2080 Depth=2
	v_cmp_ne_u16_e32 vcc_lo, 0, v36
	v_mov_b32_e32 v33, 0
	s_and_not1_b32 s11, s11, exec_lo
	s_and_b32 s25, vcc_lo, exec_lo
	s_delay_alu instid0(SALU_CYCLE_1)
	s_or_b32 s11, s11, s25
	s_or_b32 exec_lo, exec_lo, s26
	s_and_saveexec_b32 s25, s11
	s_cbranch_execnz .LBB6_2547
	s_branch .LBB6_2548
.LBB6_2826:                             ;   in Loop: Header=BB6_2080 Depth=2
	s_mov_b32 s11, -1
	s_mov_b32 s27, exec_lo
                                        ; implicit-def: $sgpr25
	v_cmpx_eq_u16_e32 0x80, v36
; %bb.2827:                             ;   in Loop: Header=BB6_2080 Depth=2
	s_mov_b32 s25, 0x7f800001
	s_xor_b32 s11, exec_lo, -1
; %bb.2828:                             ;   in Loop: Header=BB6_2080 Depth=2
	s_or_b32 exec_lo, exec_lo, s27
	s_delay_alu instid0(SALU_CYCLE_1)
	s_and_b32 s11, s11, exec_lo
                                        ; implicit-def: $vgpr36
	s_or_saveexec_b32 s26, s26
	v_mov_b32_e32 v28, s25
	s_xor_b32 exec_lo, exec_lo, s26
	s_cbranch_execz .LBB6_2550
.LBB6_2829:                             ;   in Loop: Header=BB6_2080 Depth=2
	v_cmp_ne_u16_e32 vcc_lo, 0, v36
	v_mov_b32_e32 v28, 0
	s_and_not1_b32 s11, s11, exec_lo
	s_and_b32 s25, vcc_lo, exec_lo
	s_delay_alu instid0(SALU_CYCLE_1)
	s_or_b32 s11, s11, s25
	s_or_b32 exec_lo, exec_lo, s26
	s_and_saveexec_b32 s25, s11
	s_cbranch_execnz .LBB6_2551
	s_branch .LBB6_2552
.LBB6_2830:                             ;   in Loop: Header=BB6_2080 Depth=2
	s_mov_b32 s11, -1
	s_mov_b32 s27, exec_lo
                                        ; implicit-def: $sgpr25
	v_cmpx_eq_u16_e32 0x80, v33
; %bb.2831:                             ;   in Loop: Header=BB6_2080 Depth=2
	s_mov_b32 s25, 0x7f800001
	s_xor_b32 s11, exec_lo, -1
; %bb.2832:                             ;   in Loop: Header=BB6_2080 Depth=2
	s_or_b32 exec_lo, exec_lo, s27
	s_delay_alu instid0(SALU_CYCLE_1)
	s_and_b32 s11, s11, exec_lo
                                        ; implicit-def: $vgpr33
	s_or_saveexec_b32 s26, s26
	v_mov_b32_e32 v28, s25
	s_xor_b32 exec_lo, exec_lo, s26
	s_cbranch_execz .LBB6_2562
.LBB6_2833:                             ;   in Loop: Header=BB6_2080 Depth=2
	v_cmp_ne_u16_e32 vcc_lo, 0, v33
	v_mov_b32_e32 v28, 0
	s_and_not1_b32 s11, s11, exec_lo
	s_and_b32 s25, vcc_lo, exec_lo
	s_delay_alu instid0(SALU_CYCLE_1)
	s_or_b32 s11, s11, s25
	s_or_b32 exec_lo, exec_lo, s26
	s_and_saveexec_b32 s25, s11
	s_cbranch_execnz .LBB6_2563
	s_branch .LBB6_2564
.LBB6_2834:                             ;   in Loop: Header=BB6_2080 Depth=2
	s_mov_b32 s11, -1
	s_mov_b32 s27, exec_lo
                                        ; implicit-def: $sgpr25
	v_cmpx_eq_u16_e32 0x80, v33
; %bb.2835:                             ;   in Loop: Header=BB6_2080 Depth=2
	s_mov_b32 s25, 0x7f800001
	s_xor_b32 s11, exec_lo, -1
; %bb.2836:                             ;   in Loop: Header=BB6_2080 Depth=2
	s_or_b32 exec_lo, exec_lo, s27
	s_delay_alu instid0(SALU_CYCLE_1)
	s_and_b32 s11, s11, exec_lo
                                        ; implicit-def: $vgpr33
	s_or_saveexec_b32 s26, s26
	v_mov_b32_e32 v25, s25
	s_xor_b32 exec_lo, exec_lo, s26
	s_cbranch_execz .LBB6_2566
.LBB6_2837:                             ;   in Loop: Header=BB6_2080 Depth=2
	v_cmp_ne_u16_e32 vcc_lo, 0, v33
	v_mov_b32_e32 v25, 0
	s_and_not1_b32 s11, s11, exec_lo
	s_and_b32 s25, vcc_lo, exec_lo
	s_delay_alu instid0(SALU_CYCLE_1)
	s_or_b32 s11, s11, s25
	s_or_b32 exec_lo, exec_lo, s26
	s_and_saveexec_b32 s25, s11
	s_cbranch_execnz .LBB6_2567
	s_branch .LBB6_2568
.LBB6_2838:                             ;   in Loop: Header=BB6_2080 Depth=2
	s_mov_b32 s11, -1
	s_mov_b32 s27, exec_lo
                                        ; implicit-def: $sgpr25
	v_cmpx_eq_u16_e32 0x80, v28
; %bb.2839:                             ;   in Loop: Header=BB6_2080 Depth=2
	s_mov_b32 s25, 0x7f800001
	s_xor_b32 s11, exec_lo, -1
; %bb.2840:                             ;   in Loop: Header=BB6_2080 Depth=2
	s_or_b32 exec_lo, exec_lo, s27
	s_delay_alu instid0(SALU_CYCLE_1)
	s_and_b32 s11, s11, exec_lo
                                        ; implicit-def: $vgpr28
	s_or_saveexec_b32 s26, s26
	v_mov_b32_e32 v25, s25
	s_xor_b32 exec_lo, exec_lo, s26
	s_cbranch_execz .LBB6_2578
.LBB6_2841:                             ;   in Loop: Header=BB6_2080 Depth=2
	v_cmp_ne_u16_e32 vcc_lo, 0, v28
	v_mov_b32_e32 v25, 0
	s_and_not1_b32 s11, s11, exec_lo
	s_and_b32 s25, vcc_lo, exec_lo
	s_delay_alu instid0(SALU_CYCLE_1)
	s_or_b32 s11, s11, s25
	s_or_b32 exec_lo, exec_lo, s26
	s_and_saveexec_b32 s25, s11
	s_cbranch_execnz .LBB6_2579
	s_branch .LBB6_2580
.LBB6_2842:                             ;   in Loop: Header=BB6_2080 Depth=2
	s_mov_b32 s11, -1
	s_mov_b32 s27, exec_lo
                                        ; implicit-def: $sgpr25
	v_cmpx_eq_u16_e32 0x80, v28
; %bb.2843:                             ;   in Loop: Header=BB6_2080 Depth=2
	s_mov_b32 s25, 0x7f800001
	s_xor_b32 s11, exec_lo, -1
; %bb.2844:                             ;   in Loop: Header=BB6_2080 Depth=2
	s_or_b32 exec_lo, exec_lo, s27
	s_delay_alu instid0(SALU_CYCLE_1)
	s_and_b32 s11, s11, exec_lo
                                        ; implicit-def: $vgpr28
	s_or_saveexec_b32 s26, s26
	v_mov_b32_e32 v22, s25
	s_xor_b32 exec_lo, exec_lo, s26
	s_cbranch_execz .LBB6_2582
.LBB6_2845:                             ;   in Loop: Header=BB6_2080 Depth=2
	v_cmp_ne_u16_e32 vcc_lo, 0, v28
	v_mov_b32_e32 v22, 0
	s_and_not1_b32 s11, s11, exec_lo
	s_and_b32 s25, vcc_lo, exec_lo
	s_delay_alu instid0(SALU_CYCLE_1)
	s_or_b32 s11, s11, s25
	s_or_b32 exec_lo, exec_lo, s26
	s_and_saveexec_b32 s25, s11
	s_cbranch_execnz .LBB6_2583
	s_branch .LBB6_2584
.LBB6_2846:                             ;   in Loop: Header=BB6_53 Depth=1
	s_or_b32 exec_lo, exec_lo, s24
.LBB6_2847:                             ;   in Loop: Header=BB6_53 Depth=1
	s_delay_alu instid0(SALU_CYCLE_1) | instskip(SKIP_1) | instid1(VALU_DEP_1)
	s_or_b32 exec_lo, exec_lo, s23
	v_lshlrev_b32_e32 v10, 10, v20
	v_cmp_ne_u32_e32 vcc_lo, v17, v10
	s_and_b32 exec_lo, exec_lo, vcc_lo
	s_cbranch_execz .LBB6_2876
; %bb.2848:                             ;   in Loop: Header=BB6_53 Depth=1
	v_ashrrev_i32_e32 v11, 31, v18
	v_lshlrev_b32_e32 v12, 5, v19
	s_delay_alu instid0(VALU_DEP_2) | instskip(NEXT) | instid1(VALU_DEP_1)
	v_lshrrev_b32_e32 v11, 27, v11
	v_add_nc_u32_e32 v11, v18, v11
	s_delay_alu instid0(VALU_DEP_1) | instskip(NEXT) | instid1(VALU_DEP_1)
	v_and_b32_e32 v11, 0xffffffe0, v11
	v_sub_nc_u32_e32 v11, v18, v11
	s_delay_alu instid0(VALU_DEP_1) | instskip(NEXT) | instid1(VALU_DEP_1)
	v_sub_nc_u32_e32 v11, v11, v12
	v_add_nc_u32_e32 v10, v10, v11
	s_delay_alu instid0(VALU_DEP_1) | instskip(NEXT) | instid1(VALU_DEP_1)
	v_sub_nc_u32_e32 v17, v17, v10
	v_cmp_lt_i32_e32 vcc_lo, 0, v17
	s_and_b32 exec_lo, exec_lo, vcc_lo
	s_cbranch_execz .LBB6_2876
; %bb.2849:                             ;   in Loop: Header=BB6_53 Depth=1
	s_cbranch_execz .LBB6_2850
; %bb.6437:
	s_getpc_b64 s[34:35]
.Lpost_getpc72:
	s_add_u32 s34, s34, (.LBB6_6323-.Lpost_getpc72)&4294967295
	s_addc_u32 s35, s35, (.LBB6_6323-.Lpost_getpc72)>>32
	s_setpc_b64 s[34:35]
.LBB6_2850:                             ;   in Loop: Header=BB6_53 Depth=1
	ds_load_b128 v[11:14], v0
	ds_load_b64 v[18:19], v0
	v_add_nc_u32_e32 v15, v10, v16
	s_mov_b32 s23, 0
	s_delay_alu instid0(VALU_DEP_1) | instskip(SKIP_2) | instid1(VALU_DEP_2)
	v_ashrrev_i32_e32 v16, 31, v15
	s_waitcnt lgkmcnt(1)
	v_add_co_u32 v10, vcc_lo, v11, v15
	v_add_co_ci_u32_e32 v11, vcc_lo, v12, v16, vcc_lo
	v_add_co_u32 v12, vcc_lo, v13, v15
	v_add_co_ci_u32_e32 v13, vcc_lo, v14, v16, vcc_lo
	s_waitcnt lgkmcnt(0)
	v_add_co_u32 v14, vcc_lo, v18, v15
	v_add_co_ci_u32_e32 v15, vcc_lo, v19, v16, vcc_lo
	s_branch .LBB6_2854
.LBB6_2851:                             ;   in Loop: Header=BB6_2854 Depth=2
	s_or_b32 exec_lo, exec_lo, s11
	s_delay_alu instid0(VALU_DEP_1) | instskip(NEXT) | instid1(VALU_DEP_2)
	v_lshrrev_b32_e32 v19, 21, v19
	v_cmp_gt_i32_e32 vcc_lo, 32, v18
	v_lshrrev_b32_e32 v16, 24, v16
	v_min_i32_e32 v20, 31, v18
	s_delay_alu instid0(VALU_DEP_2) | instskip(NEXT) | instid1(VALU_DEP_2)
	v_dual_cndmask_b32 v19, 3, v19 :: v_dual_and_b32 v16, 0x80, v16
	v_lshlrev_b32_e32 v20, 2, v20
	s_delay_alu instid0(VALU_DEP_2) | instskip(NEXT) | instid1(VALU_DEP_1)
	v_or_b32_e32 v18, v18, v19
	v_cmp_ne_u32_e32 vcc_lo, 0, v18
	v_and_b32_e32 v21, 3, v19
	s_delay_alu instid0(VALU_DEP_1) | instskip(NEXT) | instid1(VALU_DEP_1)
	v_or3_b32 v16, v20, v16, v21
	v_cndmask_b32_e32 v18, 0, v16, vcc_lo
.LBB6_2852:                             ;   in Loop: Header=BB6_2854 Depth=2
	s_or_b32 exec_lo, exec_lo, s25
.LBB6_2853:                             ;   in Loop: Header=BB6_2854 Depth=2
	s_delay_alu instid0(SALU_CYCLE_1)
	s_or_b32 exec_lo, exec_lo, s24
	v_add_co_u32 v10, vcc_lo, v10, v133
	v_sub_nc_u32_e32 v17, v17, v133
	v_add_co_ci_u32_e32 v11, vcc_lo, v11, v144, vcc_lo
	v_add_co_u32 v12, vcc_lo, v12, v133
	v_add_co_ci_u32_e32 v13, vcc_lo, v13, v144, vcc_lo
	flat_store_b8 v[14:15], v18 glc slc dlc
	v_cmp_gt_i32_e32 vcc_lo, 1, v17
	v_add_co_u32 v14, s11, v14, v133
	s_delay_alu instid0(VALU_DEP_1) | instskip(SKIP_1) | instid1(SALU_CYCLE_1)
	v_add_co_ci_u32_e64 v15, s11, v15, v144, s11
	s_or_b32 s23, vcc_lo, s23
	s_and_not1_b32 exec_lo, exec_lo, s23
	s_cbranch_execz .LBB6_2876
.LBB6_2854:                             ;   Parent Loop BB6_53 Depth=1
                                        ; =>  This Inner Loop Header: Depth=2
	flat_load_u8 v19, v[10:11] slc dlc
	flat_load_u8 v16, v[12:13] slc dlc
	s_mov_b32 s11, 0
	s_mov_b32 s25, exec_lo
                                        ; implicit-def: $sgpr24
	s_waitcnt vmcnt(1) lgkmcnt(1)
	v_cmpx_lt_i16_e32 0x7f, v19
	s_xor_b32 s25, exec_lo, s25
	s_cbranch_execnz .LBB6_2868
; %bb.2855:                             ;   in Loop: Header=BB6_2854 Depth=2
	s_or_saveexec_b32 s25, s25
	v_mov_b32_e32 v18, s24
	s_xor_b32 exec_lo, exec_lo, s25
	s_cbranch_execnz .LBB6_2871
.LBB6_2856:                             ;   in Loop: Header=BB6_2854 Depth=2
	s_or_b32 exec_lo, exec_lo, s25
	s_and_saveexec_b32 s24, s11
	s_cbranch_execz .LBB6_2858
.LBB6_2857:                             ;   in Loop: Header=BB6_2854 Depth=2
	v_and_b32_e32 v18, 0xffff, v19
	s_delay_alu instid0(VALU_DEP_1) | instskip(NEXT) | instid1(VALU_DEP_1)
	v_and_b32_e32 v20, 3, v18
	v_clz_i32_u32_e32 v21, v20
	s_delay_alu instid0(VALU_DEP_1) | instskip(NEXT) | instid1(VALU_DEP_1)
	v_min_u32_e32 v21, 32, v21
	v_subrev_nc_u32_e32 v22, 29, v21
	v_sub_nc_u32_e32 v21, 30, v21
	s_delay_alu instid0(VALU_DEP_2) | instskip(SKIP_1) | instid1(VALU_DEP_2)
	v_lshlrev_b32_e32 v22, v22, v18
	v_bfe_u32 v18, v18, 2, 5
	v_and_b32_e32 v22, 3, v22
	s_delay_alu instid0(VALU_DEP_2) | instskip(SKIP_1) | instid1(VALU_DEP_1)
	v_cmp_eq_u32_e32 vcc_lo, 0, v18
	v_dual_cndmask_b32 v18, v18, v21 :: v_dual_lshlrev_b32 v19, 24, v19
	v_dual_cndmask_b32 v20, v20, v22 :: v_dual_and_b32 v19, 0x80000000, v19
	s_delay_alu instid0(VALU_DEP_2) | instskip(NEXT) | instid1(VALU_DEP_2)
	v_lshl_add_u32 v18, v18, 23, 0x37800000
	v_lshlrev_b32_e32 v20, 21, v20
	s_delay_alu instid0(VALU_DEP_1)
	v_or3_b32 v18, v19, v18, v20
.LBB6_2858:                             ;   in Loop: Header=BB6_2854 Depth=2
	s_or_b32 exec_lo, exec_lo, s24
	s_waitcnt vmcnt(0) lgkmcnt(0)
	v_and_b32_e32 v20, 0xff, v16
	s_mov_b32 s11, 0
	s_mov_b32 s25, exec_lo
                                        ; implicit-def: $sgpr24
	s_delay_alu instid0(VALU_DEP_1)
	v_cmpx_lt_i16_e32 0x7f, v20
	s_xor_b32 s25, exec_lo, s25
	s_cbranch_execnz .LBB6_2872
; %bb.2859:                             ;   in Loop: Header=BB6_2854 Depth=2
	s_or_saveexec_b32 s25, s25
	v_mov_b32_e32 v19, s24
	s_xor_b32 exec_lo, exec_lo, s25
	s_cbranch_execnz .LBB6_2875
.LBB6_2860:                             ;   in Loop: Header=BB6_2854 Depth=2
	s_or_b32 exec_lo, exec_lo, s25
	s_and_saveexec_b32 s24, s11
	s_cbranch_execz .LBB6_2862
.LBB6_2861:                             ;   in Loop: Header=BB6_2854 Depth=2
	v_and_b32_e32 v19, 3, v16
	v_lshrrev_b16 v22, 2, v16
	s_delay_alu instid0(VALU_DEP_2) | instskip(NEXT) | instid1(VALU_DEP_1)
	v_clz_i32_u32_e32 v20, v19
	v_min_u32_e32 v20, 32, v20
	s_delay_alu instid0(VALU_DEP_1) | instskip(SKIP_1) | instid1(VALU_DEP_2)
	v_subrev_nc_u32_e32 v21, 29, v20
	v_sub_nc_u32_e32 v20, 30, v20
	v_lshlrev_b32_e32 v21, v21, v16
	v_lshlrev_b32_e32 v16, 24, v16
	s_delay_alu instid0(VALU_DEP_2) | instskip(SKIP_1) | instid1(VALU_DEP_3)
	v_and_b32_e32 v21, 3, v21
	v_and_b32_e32 v22, 31, v22
	;; [unrolled: 1-line block ×3, first 2 shown]
	s_delay_alu instid0(VALU_DEP_2) | instskip(NEXT) | instid1(VALU_DEP_4)
	v_cmp_eq_u32_e32 vcc_lo, 0, v22
	v_dual_cndmask_b32 v19, v19, v21 :: v_dual_cndmask_b32 v20, v22, v20
	s_delay_alu instid0(VALU_DEP_1) | instskip(NEXT) | instid1(VALU_DEP_2)
	v_lshlrev_b32_e32 v19, 21, v19
	v_lshl_add_u32 v20, v20, 23, 0x37800000
	s_delay_alu instid0(VALU_DEP_1)
	v_or3_b32 v19, v16, v20, v19
.LBB6_2862:                             ;   in Loop: Header=BB6_2854 Depth=2
	s_or_b32 exec_lo, exec_lo, s24
	s_delay_alu instid0(VALU_DEP_1) | instskip(NEXT) | instid1(VALU_DEP_1)
	v_mul_f32_e32 v16, v18, v19
	v_and_b32_e32 v18, 0x7f800000, v16
	s_delay_alu instid0(VALU_DEP_1)
	v_cmp_ne_u32_e32 vcc_lo, 0x7f800000, v18
	v_mov_b32_e32 v18, 0x80
	s_and_saveexec_b32 s24, vcc_lo
	s_cbranch_execz .LBB6_2853
; %bb.2863:                             ;   in Loop: Header=BB6_2854 Depth=2
	v_mov_b32_e32 v18, 0
	s_mov_b32 s25, exec_lo
	v_cmpx_ne_u32_e32 0, v16
	s_cbranch_execz .LBB6_2852
; %bb.2864:                             ;   in Loop: Header=BB6_2854 Depth=2
	v_bfe_u32 v18, v16, 23, 8
	v_and_b32_e32 v19, 0x7fffff, v16
	s_delay_alu instid0(VALU_DEP_2) | instskip(SKIP_1) | instid1(VALU_DEP_3)
	v_sub_nc_u32_e32 v20, 0x70, v18
	v_cmp_gt_u32_e32 vcc_lo, 0x71, v18
	v_or_b32_e32 v21, 0x800000, v19
	s_delay_alu instid0(VALU_DEP_3) | instskip(SKIP_1) | instid1(VALU_DEP_3)
	v_cndmask_b32_e32 v20, 0, v20, vcc_lo
	v_cmp_eq_u32_e32 vcc_lo, 0, v18
	v_dual_cndmask_b32 v19, v21, v19 :: v_dual_add_nc_u32 v18, 0xffffff91, v18
	s_delay_alu instid0(VALU_DEP_3) | instskip(NEXT) | instid1(VALU_DEP_2)
	v_cndmask_b32_e64 v20, v20, 0x6f, vcc_lo
	v_cndmask_b32_e64 v18, v18, 0xffffff92, vcc_lo
	s_delay_alu instid0(VALU_DEP_2) | instskip(SKIP_2) | instid1(VALU_DEP_4)
	v_lshrrev_b32_e32 v22, v20, v19
	v_lshl_add_u32 v21, 0x200000, v20, -1
	v_lshlrev_b32_e64 v24, v20, 0x100000
	v_add_nc_u32_e32 v20, v20, v18
	s_delay_alu instid0(VALU_DEP_4) | instskip(NEXT) | instid1(VALU_DEP_4)
	v_bfe_u32 v23, v22, 21, 1
	v_and_b32_e32 v19, v21, v19
	s_delay_alu instid0(VALU_DEP_2) | instskip(NEXT) | instid1(VALU_DEP_2)
	v_add_nc_u32_e32 v21, -1, v23
	v_cmp_eq_u32_e64 s11, v19, v24
	s_delay_alu instid0(VALU_DEP_1) | instskip(SKIP_2) | instid1(VALU_DEP_2)
	v_cndmask_b32_e64 v19, 0, v21, s11
	v_lshrrev_b32_e32 v21, 23, v22
	s_mov_b32 s11, exec_lo
	v_add_nc_u32_e32 v19, v19, v22
	s_delay_alu instid0(VALU_DEP_2) | instskip(NEXT) | instid1(VALU_DEP_2)
	v_xor_b32_e32 v21, 1, v21
	v_and_b32_e32 v18, 0x1fffff, v19
	s_delay_alu instid0(VALU_DEP_1) | instskip(NEXT) | instid1(VALU_DEP_3)
	v_add_nc_u32_e32 v19, v18, v22
                                        ; implicit-def: $vgpr18
	v_cmpx_ne_u32_e64 v20, v21
	s_xor_b32 s11, exec_lo, s11
; %bb.2865:                             ;   in Loop: Header=BB6_2854 Depth=2
	s_delay_alu instid0(VALU_DEP_2) | instskip(SKIP_2) | instid1(VALU_DEP_2)
	v_cmp_lt_u32_e32 vcc_lo, 0xffffff, v19
	v_sub_nc_u32_e32 v18, v20, v21
	v_cndmask_b32_e64 v20, 0, 1, vcc_lo
	v_add_co_ci_u32_e32 v18, vcc_lo, 0, v18, vcc_lo
	s_delay_alu instid0(VALU_DEP_2)
	v_lshrrev_b32_e32 v19, v20, v19
; %bb.2866:                             ;   in Loop: Header=BB6_2854 Depth=2
	s_and_not1_saveexec_b32 s11, s11
	s_cbranch_execz .LBB6_2851
; %bb.2867:                             ;   in Loop: Header=BB6_2854 Depth=2
	s_delay_alu instid0(VALU_DEP_1)
	v_bfe_u32 v18, v19, 23, 1
	s_branch .LBB6_2851
.LBB6_2868:                             ;   in Loop: Header=BB6_2854 Depth=2
	s_mov_b32 s11, -1
	s_mov_b32 s26, exec_lo
                                        ; implicit-def: $sgpr24
	v_cmpx_eq_u16_e32 0x80, v19
; %bb.2869:                             ;   in Loop: Header=BB6_2854 Depth=2
	s_mov_b32 s24, 0x7f800001
	s_xor_b32 s11, exec_lo, -1
; %bb.2870:                             ;   in Loop: Header=BB6_2854 Depth=2
	s_or_b32 exec_lo, exec_lo, s26
	s_delay_alu instid0(SALU_CYCLE_1)
	s_and_b32 s11, s11, exec_lo
	s_or_saveexec_b32 s25, s25
	v_mov_b32_e32 v18, s24
	s_xor_b32 exec_lo, exec_lo, s25
	s_cbranch_execz .LBB6_2856
.LBB6_2871:                             ;   in Loop: Header=BB6_2854 Depth=2
	v_cmp_ne_u16_e32 vcc_lo, 0, v19
	v_mov_b32_e32 v18, 0
	s_and_not1_b32 s11, s11, exec_lo
	s_and_b32 s24, vcc_lo, exec_lo
	s_delay_alu instid0(SALU_CYCLE_1)
	s_or_b32 s11, s11, s24
	s_or_b32 exec_lo, exec_lo, s25
	s_and_saveexec_b32 s24, s11
	s_cbranch_execnz .LBB6_2857
	s_branch .LBB6_2858
.LBB6_2872:                             ;   in Loop: Header=BB6_2854 Depth=2
	s_mov_b32 s11, -1
	s_mov_b32 s26, exec_lo
                                        ; implicit-def: $sgpr24
	v_cmpx_eq_u16_e32 0x80, v20
; %bb.2873:                             ;   in Loop: Header=BB6_2854 Depth=2
	s_mov_b32 s24, 0x7f800001
	s_xor_b32 s11, exec_lo, -1
; %bb.2874:                             ;   in Loop: Header=BB6_2854 Depth=2
	s_or_b32 exec_lo, exec_lo, s26
	s_delay_alu instid0(SALU_CYCLE_1)
	s_and_b32 s11, s11, exec_lo
                                        ; implicit-def: $vgpr20
	s_or_saveexec_b32 s25, s25
	v_mov_b32_e32 v19, s24
	s_xor_b32 exec_lo, exec_lo, s25
	s_cbranch_execz .LBB6_2860
.LBB6_2875:                             ;   in Loop: Header=BB6_2854 Depth=2
	v_cmp_ne_u16_e32 vcc_lo, 0, v20
	v_mov_b32_e32 v19, 0
	s_and_not1_b32 s11, s11, exec_lo
	s_and_b32 s24, vcc_lo, exec_lo
	s_delay_alu instid0(SALU_CYCLE_1)
	s_or_b32 s11, s11, s24
	s_or_b32 exec_lo, exec_lo, s25
	s_and_saveexec_b32 s24, s11
	s_cbranch_execnz .LBB6_2861
	s_branch .LBB6_2862
.LBB6_2876:                             ;   in Loop: Header=BB6_53 Depth=1
	s_or_b32 exec_lo, exec_lo, s12
	v_cmp_ne_u32_e64 s11, 0, v87
.LBB6_2877:                             ;   in Loop: Header=BB6_53 Depth=1
	s_and_saveexec_b32 s12, s3
	s_cbranch_execz .LBB6_2899
; %bb.2878:                             ;   in Loop: Header=BB6_53 Depth=1
	s_and_saveexec_b32 s23, s4
	s_delay_alu instid0(SALU_CYCLE_1)
	s_xor_b32 s23, exec_lo, s23
	s_cbranch_execz .LBB6_2896
; %bb.2879:                             ;   in Loop: Header=BB6_53 Depth=1
	s_and_saveexec_b32 s24, s5
	s_cbranch_execz .LBB6_2895
; %bb.2880:                             ;   in Loop: Header=BB6_53 Depth=1
	s_mov_b32 s26, exec_lo
	s_mov_b32 s25, exec_lo
	v_mbcnt_lo_u32_b32 v10, s26, 0
	s_waitcnt lgkmcnt(0)
	s_waitcnt_vscnt null, 0x0
	buffer_gl1_inv
	buffer_gl0_inv
	v_cmpx_eq_u32_e32 0, v10
	s_cbranch_execz .LBB6_2882
; %bb.2881:                             ;   in Loop: Header=BB6_53 Depth=1
	s_bcnt1_i32_b32 s26, s26
	s_delay_alu instid0(SALU_CYCLE_1)
	v_mov_b32_e32 v29, s26
	ds_add_u64 v0, v[29:30]
	s_cbranch_execz .LBB6_2882
; %bb.6439:
	s_getpc_b64 s[34:35]
.Lpost_getpc73:
	s_add_u32 s34, s34, (.LBB6_6313-.Lpost_getpc73)&4294967295
	s_addc_u32 s35, s35, (.LBB6_6313-.Lpost_getpc73)>>32
	s_setpc_b64 s[34:35]
.LBB6_2882:                             ;   in Loop: Header=BB6_53 Depth=1
	s_or_b32 exec_lo, exec_lo, s25
	s_cbranch_execz .LBB6_2883
; %bb.6441:
	s_getpc_b64 s[34:35]
.Lpost_getpc74:
	s_add_u32 s34, s34, (.LBB6_6289-.Lpost_getpc74)&4294967295
	s_addc_u32 s35, s35, (.LBB6_6289-.Lpost_getpc74)>>32
	s_setpc_b64 s[34:35]
.LBB6_2883:                             ;   in Loop: Header=BB6_53 Depth=1
	ds_load_b64 v[10:11], v0
	v_add_co_u32 v70, vcc_lo, v70, v115
	v_add_co_ci_u32_e32 v71, vcc_lo, 0, v71, vcc_lo
	s_mov_b32 s25, exec_lo
	s_waitcnt lgkmcnt(0)
	s_delay_alu instid0(VALU_DEP_1)
	v_cmpx_lt_u64_e64 v[10:11], v[70:71]
	s_cbranch_execz .LBB6_2894
; %bb.2884:                             ;   in Loop: Header=BB6_53 Depth=1
	s_mov_b32 s26, 0
	s_mov_b32 s29, 0
                                        ; implicit-def: $sgpr27
                                        ; implicit-def: $sgpr28
	s_branch .LBB6_2886
.LBB6_2885:                             ;   in Loop: Header=BB6_2886 Depth=2
	s_or_b32 exec_lo, exec_lo, s30
	s_delay_alu instid0(SALU_CYCLE_1) | instskip(NEXT) | instid1(SALU_CYCLE_1)
	s_and_b32 vcc_lo, exec_lo, vcc_lo
	s_or_b32 s26, vcc_lo, s26
	s_and_not1_b32 s27, s27, exec_lo
	s_and_b32 vcc_lo, s28, exec_lo
	s_delay_alu instid0(SALU_CYCLE_1)
	s_or_b32 s27, s27, vcc_lo
	s_and_not1_b32 exec_lo, exec_lo, s26
	s_cbranch_execz .LBB6_2892
.LBB6_2886:                             ;   Parent Loop BB6_53 Depth=1
                                        ; =>  This Inner Loop Header: Depth=2
	s_add_i32 s29, s29, 1
                                        ; implicit-def: $sgpr30
	s_delay_alu instid0(SALU_CYCLE_1) | instskip(SKIP_1) | instid1(SALU_CYCLE_1)
	s_cmpk_lg_i32 s29, 0x2710
	s_cselect_b32 vcc_hi, -1, 0
	s_and_b32 vcc_lo, exec_lo, vcc_hi
	s_cbranch_vccz .LBB6_2890
.LBB6_2887:                             ;   in Loop: Header=BB6_2886 Depth=2
	s_and_not1_b32 s28, s28, exec_lo
	s_and_b32 s30, s30, exec_lo
	s_mov_b32 vcc_lo, -1
	s_or_b32 s28, s28, s30
	s_and_saveexec_b32 s30, vcc_hi
	s_cbranch_execz .LBB6_2885
; %bb.2888:                             ;   in Loop: Header=BB6_2886 Depth=2
	s_sleep 1
	s_cbranch_execz .LBB6_2889
; %bb.6443:
	s_getpc_b64 s[34:35]
.Lpost_getpc75:
	s_add_u32 s34, s34, (.LBB6_6333-.Lpost_getpc75)&4294967295
	s_addc_u32 s35, s35, (.LBB6_6333-.Lpost_getpc75)>>32
	s_setpc_b64 s[34:35]
.LBB6_2889:                             ;   in Loop: Header=BB6_2886 Depth=2
	ds_load_b64 v[10:11], v0
	s_and_not1_b32 s28, s28, exec_lo
	s_waitcnt lgkmcnt(0)
	v_cmp_ge_u64_e32 vcc_lo, v[10:11], v[70:71]
	s_or_not1_b32 vcc_lo, vcc_lo, exec_lo
	s_branch .LBB6_2885
.LBB6_2890:                             ;   in Loop: Header=BB6_2886 Depth=2
	s_cbranch_execz .LBB6_2891
; %bb.6445:
	s_getpc_b64 s[34:35]
.Lpost_getpc76:
	s_add_u32 s34, s34, (.LBB6_6339-.Lpost_getpc76)&4294967295
	s_addc_u32 s35, s35, (.LBB6_6339-.Lpost_getpc76)>>32
	s_setpc_b64 s[34:35]
.LBB6_2891:                             ;   in Loop: Header=BB6_2886 Depth=2
	ds_load_b64 v[10:11], v0
	s_mov_b32 s29, 0
	s_mov_b32 s30, -1
	s_waitcnt lgkmcnt(0)
	flat_load_b32 v10, v[10:11] glc
	s_waitcnt vmcnt(0) lgkmcnt(0)
	buffer_gl1_inv
	buffer_gl0_inv
	v_cmp_eq_u32_e32 vcc_lo, 0, v10
	s_and_not1_b32 vcc_hi, vcc_hi, exec_lo
	s_and_b32 vcc_lo, vcc_lo, exec_lo
	s_delay_alu instid0(SALU_CYCLE_1)
	s_or_b32 vcc_hi, vcc_hi, vcc_lo
	s_branch .LBB6_2887
.LBB6_2892:                             ;   in Loop: Header=BB6_53 Depth=1
	s_or_b32 exec_lo, exec_lo, s26
	s_and_saveexec_b32 s26, s27
	s_delay_alu instid0(SALU_CYCLE_1)
	s_xor_b32 s26, exec_lo, s26
	s_cbranch_execz .LBB6_2894
; %bb.2893:                             ;   in Loop: Header=BB6_53 Depth=1
	ds_store_b32 v0, v145
	s_cbranch_execz .LBB6_2894
; %bb.6447:
	s_getpc_b64 s[34:35]
.Lpost_getpc77:
	s_add_u32 s34, s34, (.LBB6_6363-.Lpost_getpc77)&4294967295
	s_addc_u32 s35, s35, (.LBB6_6363-.Lpost_getpc77)>>32
	s_setpc_b64 s[34:35]
.LBB6_2894:                             ;   in Loop: Header=BB6_53 Depth=1
	s_or_b32 exec_lo, exec_lo, s25
	;;#ASMSTART
	s_wakeup
	;;#ASMEND
.LBB6_2895:                             ;   in Loop: Header=BB6_53 Depth=1
	s_or_b32 exec_lo, exec_lo, s24
.LBB6_2896:                             ;   in Loop: Header=BB6_53 Depth=1
	s_and_not1_saveexec_b32 s23, s23
	s_cbranch_execz .LBB6_2898
; %bb.2897:                             ;   in Loop: Header=BB6_53 Depth=1
	s_waitcnt lgkmcnt(0)
	s_waitcnt_vscnt null, 0x0
	buffer_gl1_inv
	buffer_gl0_inv
	s_barrier
.LBB6_2898:                             ;   in Loop: Header=BB6_53 Depth=1
	s_or_b32 exec_lo, exec_lo, s23
.LBB6_2899:                             ;   in Loop: Header=BB6_53 Depth=1
	s_delay_alu instid0(SALU_CYCLE_1) | instskip(SKIP_1) | instid1(VALU_DEP_1)
	s_or_b32 exec_lo, exec_lo, s12
	v_and_b32_e32 v10, 16, v103
	v_cmp_ne_u32_e32 vcc_lo, 0, v10
	s_and_b32 s12, vcc_lo, s11
	s_delay_alu instid0(SALU_CYCLE_1)
	s_and_saveexec_b32 s11, s12
	s_cbranch_execz .LBB6_2901
; %bb.2900:                             ;   in Loop: Header=BB6_53 Depth=1
	s_waitcnt lgkmcnt(0)
	s_waitcnt_vscnt null, 0x0
	buffer_gl1_inv
	buffer_gl0_inv
.LBB6_2901:                             ;   in Loop: Header=BB6_53 Depth=1
	s_or_b32 exec_lo, exec_lo, s11
	v_cmp_ne_u32_e32 vcc_lo, 0, v10
	s_xor_b32 s11, s10, -1
	s_delay_alu instid0(SALU_CYCLE_1) | instskip(NEXT) | instid1(SALU_CYCLE_1)
	s_and_b32 s12, vcc_lo, s11
	s_and_saveexec_b32 s11, s12
	s_cbranch_execz .LBB6_2903
; %bb.2902:                             ;   in Loop: Header=BB6_53 Depth=1
	s_waitcnt lgkmcnt(0)
	s_waitcnt_vscnt null, 0x0
	flat_store_b32 v[82:83], v145
.LBB6_2903:                             ;   in Loop: Header=BB6_53 Depth=1
	s_or_b32 exec_lo, exec_lo, s11
	v_and_b32_e32 v10, 48, v103
	s_mov_b32 s11, exec_lo
	s_delay_alu instid0(VALU_DEP_1)
	v_cmpx_ne_u32_e32 0, v10
	s_cbranch_execz .LBB6_2905
; %bb.2904:                             ;   in Loop: Header=BB6_53 Depth=1
	v_add_co_u32 v8, vcc_lo, v8, 1
	v_add_co_ci_u32_e32 v9, vcc_lo, 0, v9, vcc_lo
	s_waitcnt lgkmcnt(0)
	s_waitcnt_vscnt null, 0x0
	flat_store_b64 v[64:65], v[8:9]
.LBB6_2905:                             ;   in Loop: Header=BB6_53 Depth=1
	s_or_b32 exec_lo, exec_lo, s11
	v_mov_b32_e32 v12, v96
.LBB6_2906:                             ;   in Loop: Header=BB6_53 Depth=1
	s_or_b32 exec_lo, exec_lo, s22
	s_and_saveexec_b32 s12, s21
	s_cbranch_execz .LBB6_2966
; %bb.2907:                             ;   in Loop: Header=BB6_53 Depth=1
	v_and_b32_e32 v10, 12, v103
	s_mov_b32 s21, -1
	s_mov_b32 s11, exec_lo
	s_delay_alu instid0(VALU_DEP_1)
	v_cmpx_ne_u32_e32 0, v10
	s_cbranch_execz .LBB6_2921
; %bb.2908:                             ;   in Loop: Header=BB6_53 Depth=1
	v_and_b32_e32 v13, 8, v103
	s_delay_alu instid0(VALU_DEP_1) | instskip(SKIP_4) | instid1(VALU_DEP_1)
	v_add_co_u32 v14, vcc_lo, v68, v13
	v_add_co_ci_u32_e32 v15, vcc_lo, 0, v69, vcc_lo
	s_waitcnt lgkmcnt(0)
	v_add_co_u32 v10, vcc_lo, v8, 1
	v_add_co_ci_u32_e32 v11, vcc_lo, 0, v9, vcc_lo
	v_cmp_lt_u64_e32 vcc_lo, v[14:15], v[10:11]
	v_mov_b32_e32 v14, 1
	s_and_saveexec_b32 s21, vcc_lo
	s_cbranch_execz .LBB6_2920
; %bb.2909:                             ;   in Loop: Header=BB6_53 Depth=1
	v_mov_b32_e32 v14, 0
	s_mov_b32 s22, 0
                                        ; implicit-def: $sgpr23
	s_branch .LBB6_2913
.LBB6_2910:                             ;   in Loop: Header=BB6_2913 Depth=2
	s_or_b32 exec_lo, exec_lo, s27
	v_mov_b32_e32 v15, 0
	s_or_not1_b32 s26, s26, exec_lo
.LBB6_2911:                             ;   in Loop: Header=BB6_2913 Depth=2
	s_or_b32 exec_lo, exec_lo, s25
	s_delay_alu instid0(VALU_DEP_1) | instskip(SKIP_2) | instid1(SALU_CYCLE_1)
	v_mov_b32_e32 v14, v15
	s_and_not1_b32 s23, s23, exec_lo
	s_and_b32 s25, s26, exec_lo
	s_or_b32 s23, s23, s25
.LBB6_2912:                             ;   in Loop: Header=BB6_2913 Depth=2
	s_or_b32 exec_lo, exec_lo, s24
	s_waitcnt vmcnt(0) lgkmcnt(0)
	v_add_co_u32 v15, vcc_lo, v68, v13
	v_add_co_ci_u32_e32 v16, vcc_lo, 0, v69, vcc_lo
	s_xor_b32 s24, s23, -1
	s_delay_alu instid0(VALU_DEP_1) | instskip(SKIP_1) | instid1(SALU_CYCLE_1)
	v_cmp_ge_u64_e32 vcc_lo, v[15:16], v[10:11]
	s_or_b32 s24, s24, vcc_lo
	s_and_b32 s24, exec_lo, s24
	s_delay_alu instid0(SALU_CYCLE_1) | instskip(NEXT) | instid1(SALU_CYCLE_1)
	s_or_b32 s22, s24, s22
	s_and_not1_b32 exec_lo, exec_lo, s22
	s_cbranch_execz .LBB6_2919
.LBB6_2913:                             ;   Parent Loop BB6_53 Depth=1
                                        ; =>  This Inner Loop Header: Depth=2
	s_sleep 1
	flat_load_b64 v[68:69], v[64:65] glc
	v_and_b32_e32 v15, 64, v103
	s_and_not1_b32 s23, s23, exec_lo
	s_mov_b32 s24, exec_lo
	s_delay_alu instid0(VALU_DEP_1)
	v_cmpx_eq_u32_e32 0, v15
	s_cbranch_execz .LBB6_2912
; %bb.2914:                             ;   in Loop: Header=BB6_2913 Depth=2
	v_add_nc_u32_e32 v15, 1, v14
	s_mov_b32 s26, -1
	s_mov_b32 s25, exec_lo
	v_cmpx_lt_i32_e32 0x270e, v14
	s_cbranch_execz .LBB6_2911
; %bb.2915:                             ;   in Loop: Header=BB6_2913 Depth=2
	s_cbranch_execnz .LBB6_6187
; %bb.2916:                             ;   in Loop: Header=BB6_2913 Depth=2
	ds_load_b64 v[14:15], v0
	s_mov_b32 s27, exec_lo
	s_waitcnt vmcnt(0) lgkmcnt(0)
	s_waitcnt_vscnt null, 0x0
	flat_load_b32 v14, v[14:15] glc
	s_waitcnt vmcnt(0) lgkmcnt(0)
	buffer_gl1_inv
	buffer_gl0_inv
	v_cmpx_ne_u32_e32 0, v14
	s_cbranch_execz .LBB6_2910
; %bb.2917:                             ;   in Loop: Header=BB6_2913 Depth=2
	ds_store_b32 v0, v14
	s_cbranch_execnz .LBB6_6211
; %bb.2918:                             ;   in Loop: Header=BB6_2913 Depth=2
	v_or_b32_e32 v103, 64, v103
	s_xor_b32 s26, exec_lo, -1
	s_branch .LBB6_2910
.LBB6_2919:                             ;   in Loop: Header=BB6_53 Depth=1
	s_or_b32 exec_lo, exec_lo, s22
	v_and_b32_e32 v14, 12, v103
.LBB6_2920:                             ;   in Loop: Header=BB6_53 Depth=1
	s_or_b32 exec_lo, exec_lo, s21
	s_delay_alu instid0(VALU_DEP_1)
	v_cmp_eq_u32_e32 vcc_lo, 0, v14
	;;#ASMSTART
	s_wakeup
	;;#ASMEND
	s_or_not1_b32 s21, vcc_lo, exec_lo
.LBB6_2921:                             ;   in Loop: Header=BB6_53 Depth=1
	s_or_b32 exec_lo, exec_lo, s11
	v_sub_nc_u32_e32 v10, v86, v12
	s_xor_b32 s11, s21, -1
	s_delay_alu instid0(VALU_DEP_1)
	v_min_i32_e32 v10, v96, v10
	s_and_saveexec_b32 s21, s11
	s_cbranch_execz .LBB6_2936
; %bb.2922:                             ;   in Loop: Header=BB6_53 Depth=1
	v_and_b32_e32 v11, 0x108, v103
	s_mov_b32 s11, exec_lo
	s_delay_alu instid0(VALU_DEP_1)
	v_cmpx_ne_u32_e32 0x108, v11
	s_xor_b32 s11, exec_lo, s11
                                        ; implicit-def: $vgpr12_vgpr13
	s_cbranch_execz .LBB6_2924
; %bb.2923:                             ;   in Loop: Header=BB6_53 Depth=1
	s_waitcnt lgkmcnt(0)
	v_and_b32_e32 v12, 7, v8
.LBB6_2924:                             ;   in Loop: Header=BB6_53 Depth=1
	s_and_not1_saveexec_b32 s11, s11
	s_cbranch_execz .LBB6_2926
; %bb.2925:                             ;   in Loop: Header=BB6_53 Depth=1
	s_waitcnt lgkmcnt(0)
	v_and_b32_e32 v12, 7, v8
	v_ashrrev_i32_e32 v11, 31, v10
	s_delay_alu instid0(VALU_DEP_2)
	v_mad_u64_u32 v[13:14], null, v12, 24, v[6:7]
	flat_store_b64 v[13:14], v[10:11] offset:8
.LBB6_2926:                             ;   in Loop: Header=BB6_53 Depth=1
	s_or_b32 exec_lo, exec_lo, s11
	v_and_b32_e32 v11, 0x100, v103
	s_mov_b32 s11, -1
	s_mov_b32 s22, exec_lo
                                        ; implicit-def: $vgpr13_vgpr14
	s_delay_alu instid0(VALU_DEP_1)
	v_cmpx_ne_u32_e32 0, v11
	s_cbranch_execnz .LBB6_2929
; %bb.2927:                             ;   in Loop: Header=BB6_53 Depth=1
	s_or_b32 exec_lo, exec_lo, s22
	s_and_saveexec_b32 s22, s11
	s_cbranch_execnz .LBB6_2932
.LBB6_2928:                             ;   in Loop: Header=BB6_53 Depth=1
	s_or_b32 exec_lo, exec_lo, s22
	s_cbranch_execnz .LBB6_6179
	s_branch .LBB6_2933
.LBB6_2929:                             ;   in Loop: Header=BB6_53 Depth=1
	v_mad_u64_u32 v[15:16], null, v12, 24, v[6:7]
	s_mov_b32 s23, exec_lo
	s_delay_alu instid0(VALU_DEP_1) | instskip(NEXT) | instid1(VALU_DEP_1)
	v_mov_b32_e32 v11, v16
	v_mad_u64_u32 v[13:14], null, v30, 24, v[11:12]
	s_delay_alu instid0(VALU_DEP_1)
	v_mov_b32_e32 v16, v13
                                        ; implicit-def: $vgpr13_vgpr14
	flat_load_b32 v11, v[15:16]
	s_waitcnt vmcnt(0) lgkmcnt(0)
	v_cmp_ne_u32_e32 vcc_lo, 1, v11
	v_cmpx_eq_u32_e32 1, v11
	s_cbranch_execz .LBB6_2931
; %bb.2930:                             ;   in Loop: Header=BB6_53 Depth=1
	flat_load_b32 v13, v[15:16] offset:4 glc
	s_waitcnt vmcnt(0) lgkmcnt(0)
	v_ashrrev_i32_e32 v14, 31, v13
.LBB6_2931:                             ;   in Loop: Header=BB6_53 Depth=1
	s_or_b32 exec_lo, exec_lo, s23
	s_delay_alu instid0(SALU_CYCLE_1)
	s_or_not1_b32 s11, vcc_lo, exec_lo
	s_or_b32 exec_lo, exec_lo, s22
	s_and_saveexec_b32 s22, s11
	s_cbranch_execz .LBB6_2928
.LBB6_2932:                             ;   in Loop: Header=BB6_53 Depth=1
	v_mul_lo_u32 v11, v30, v113
	v_mul_lo_u32 v15, v12, v114
	v_mad_u64_u32 v[13:14], null, v12, v113, 0
	s_delay_alu instid0(VALU_DEP_1)
	v_add3_u32 v14, v14, v15, v11
	s_or_b32 exec_lo, exec_lo, s22
	s_cbranch_execnz .LBB6_6179
.LBB6_2933:                             ;   in Loop: Header=BB6_53 Depth=1
	s_waitcnt lgkmcnt(0)
	s_delay_alu instid0(VALU_DEP_2)
	v_add_co_u32 v11, vcc_lo, v66, v13
	v_and_b32_e32 v15, 0x2000, v103
	v_add_co_ci_u32_e32 v12, vcc_lo, v67, v14, vcc_lo
	s_mov_b32 s11, exec_lo
	ds_store_b64 v0, v[11:12]
	v_cmpx_ne_u32_e32 0, v15
	s_cbranch_execz .LBB6_2935
; %bb.2934:                             ;   in Loop: Header=BB6_53 Depth=1
	ds_load_b64 v[11:12], v0 offset:584
	s_waitcnt lgkmcnt(0)
	v_add_co_u32 v11, vcc_lo, v11, 1
	v_add_co_ci_u32_e32 v12, vcc_lo, 0, v12, vcc_lo
	ds_store_b64 v0, v[11:12] offset:584
.LBB6_2935:                             ;   in Loop: Header=BB6_53 Depth=1
	s_or_b32 exec_lo, exec_lo, s11
	v_add_co_u32 v8, vcc_lo, v8, 1
	v_add_co_ci_u32_e32 v9, vcc_lo, 0, v9, vcc_lo
.LBB6_2936:                             ;   in Loop: Header=BB6_53 Depth=1
	s_or_b32 exec_lo, exec_lo, s21
	s_and_saveexec_b32 s11, s3
	s_cbranch_execz .LBB6_2958
; %bb.2937:                             ;   in Loop: Header=BB6_53 Depth=1
	s_and_saveexec_b32 s21, s4
	s_delay_alu instid0(SALU_CYCLE_1)
	s_xor_b32 s21, exec_lo, s21
	s_cbranch_execz .LBB6_2955
; %bb.2938:                             ;   in Loop: Header=BB6_53 Depth=1
	s_and_saveexec_b32 s22, s5
	s_cbranch_execz .LBB6_2954
; %bb.2939:                             ;   in Loop: Header=BB6_53 Depth=1
	s_mov_b32 s24, exec_lo
	s_mov_b32 s23, exec_lo
	v_mbcnt_lo_u32_b32 v11, s24, 0
	s_waitcnt lgkmcnt(0)
	s_waitcnt_vscnt null, 0x0
	buffer_gl1_inv
	buffer_gl0_inv
	v_cmpx_eq_u32_e32 0, v11
	s_cbranch_execz .LBB6_2941
; %bb.2940:                             ;   in Loop: Header=BB6_53 Depth=1
	s_bcnt1_i32_b32 s24, s24
	s_delay_alu instid0(SALU_CYCLE_1)
	v_mov_b32_e32 v29, s24
	ds_add_u64 v0, v[29:30]
	s_cbranch_execnz .LBB6_6239
.LBB6_2941:                             ;   in Loop: Header=BB6_53 Depth=1
	s_or_b32 exec_lo, exec_lo, s23
	s_cbranch_execnz .LBB6_6225
; %bb.2942:                             ;   in Loop: Header=BB6_53 Depth=1
	ds_load_b64 v[11:12], v0
	v_add_co_u32 v70, vcc_lo, v70, v115
	v_add_co_ci_u32_e32 v71, vcc_lo, 0, v71, vcc_lo
	s_mov_b32 s23, exec_lo
	s_waitcnt lgkmcnt(0)
	s_delay_alu instid0(VALU_DEP_1)
	v_cmpx_lt_u64_e64 v[11:12], v[70:71]
	s_cbranch_execz .LBB6_2953
; %bb.2943:                             ;   in Loop: Header=BB6_53 Depth=1
	s_mov_b32 s24, 0
	s_mov_b32 s27, 0
                                        ; implicit-def: $sgpr25
                                        ; implicit-def: $sgpr26
	s_branch .LBB6_2945
.LBB6_2944:                             ;   in Loop: Header=BB6_2945 Depth=2
	s_or_b32 exec_lo, exec_lo, vcc_hi
	s_delay_alu instid0(SALU_CYCLE_1) | instskip(NEXT) | instid1(SALU_CYCLE_1)
	s_and_b32 s28, exec_lo, s29
	s_or_b32 s24, s28, s24
	s_and_not1_b32 s25, s25, exec_lo
	s_and_b32 s28, s26, exec_lo
	s_delay_alu instid0(SALU_CYCLE_1)
	s_or_b32 s25, s25, s28
	s_and_not1_b32 exec_lo, exec_lo, s24
	s_cbranch_execz .LBB6_2951
.LBB6_2945:                             ;   Parent Loop BB6_53 Depth=1
                                        ; =>  This Inner Loop Header: Depth=2
	s_add_i32 s27, s27, 1
                                        ; implicit-def: $sgpr29
	s_delay_alu instid0(SALU_CYCLE_1) | instskip(SKIP_1) | instid1(SALU_CYCLE_1)
	s_cmpk_lg_i32 s27, 0x2710
	s_cselect_b32 s28, -1, 0
	s_and_b32 vcc_lo, exec_lo, s28
	s_cbranch_vccz .LBB6_2949
.LBB6_2946:                             ;   in Loop: Header=BB6_2945 Depth=2
	s_and_not1_b32 s26, s26, exec_lo
	s_and_b32 vcc_lo, s29, exec_lo
	s_mov_b32 s29, -1
	s_or_b32 s26, s26, vcc_lo
	s_and_saveexec_b32 vcc_hi, s28
	s_cbranch_execz .LBB6_2944
; %bb.2947:                             ;   in Loop: Header=BB6_2945 Depth=2
	s_sleep 1
	s_cbranch_execz .LBB6_2948
; %bb.6449:
	s_getpc_b64 s[34:35]
.Lpost_getpc78:
	s_add_u32 s34, s34, (.LBB6_6285-.Lpost_getpc78)&4294967295
	s_addc_u32 s35, s35, (.LBB6_6285-.Lpost_getpc78)>>32
	s_setpc_b64 s[34:35]
.LBB6_2948:                             ;   in Loop: Header=BB6_2945 Depth=2
	ds_load_b64 v[11:12], v0
	s_and_not1_b32 s26, s26, exec_lo
	s_waitcnt lgkmcnt(0)
	v_cmp_ge_u64_e32 vcc_lo, v[11:12], v[70:71]
	s_or_not1_b32 s29, vcc_lo, exec_lo
	s_branch .LBB6_2944
.LBB6_2949:                             ;   in Loop: Header=BB6_2945 Depth=2
	s_cbranch_execz .LBB6_2950
; %bb.6451:
	s_getpc_b64 s[34:35]
.Lpost_getpc79:
	s_add_u32 s34, s34, (.LBB6_6305-.Lpost_getpc79)&4294967295
	s_addc_u32 s35, s35, (.LBB6_6305-.Lpost_getpc79)>>32
	s_setpc_b64 s[34:35]
.LBB6_2950:                             ;   in Loop: Header=BB6_2945 Depth=2
	ds_load_b64 v[11:12], v0
	s_and_not1_b32 s28, s28, exec_lo
	s_mov_b32 s27, 0
	s_mov_b32 s29, -1
	s_waitcnt lgkmcnt(0)
	flat_load_b32 v11, v[11:12] glc
	s_waitcnt vmcnt(0) lgkmcnt(0)
	buffer_gl1_inv
	buffer_gl0_inv
	v_cmp_eq_u32_e32 vcc_lo, 0, v11
	s_and_b32 vcc_lo, vcc_lo, exec_lo
	s_delay_alu instid0(SALU_CYCLE_1)
	s_or_b32 s28, s28, vcc_lo
	s_branch .LBB6_2946
.LBB6_2951:                             ;   in Loop: Header=BB6_53 Depth=1
	s_or_b32 exec_lo, exec_lo, s24
	s_and_saveexec_b32 s24, s25
	s_delay_alu instid0(SALU_CYCLE_1)
	s_xor_b32 s24, exec_lo, s24
	s_cbranch_execz .LBB6_2953
; %bb.2952:                             ;   in Loop: Header=BB6_53 Depth=1
	ds_store_b32 v0, v145
	s_cbranch_execz .LBB6_2953
; %bb.6453:
	s_getpc_b64 s[34:35]
.Lpost_getpc80:
	s_add_u32 s34, s34, (.LBB6_6353-.Lpost_getpc80)&4294967295
	s_addc_u32 s35, s35, (.LBB6_6353-.Lpost_getpc80)>>32
	s_setpc_b64 s[34:35]
.LBB6_2953:                             ;   in Loop: Header=BB6_53 Depth=1
	s_or_b32 exec_lo, exec_lo, s23
	;;#ASMSTART
	s_wakeup
	;;#ASMEND
.LBB6_2954:                             ;   in Loop: Header=BB6_53 Depth=1
	s_or_b32 exec_lo, exec_lo, s22
.LBB6_2955:                             ;   in Loop: Header=BB6_53 Depth=1
	s_and_not1_saveexec_b32 s21, s21
	s_cbranch_execz .LBB6_2957
; %bb.2956:                             ;   in Loop: Header=BB6_53 Depth=1
	s_waitcnt lgkmcnt(0)
	s_waitcnt_vscnt null, 0x0
	buffer_gl1_inv
	buffer_gl0_inv
	s_barrier
.LBB6_2957:                             ;   in Loop: Header=BB6_53 Depth=1
	s_or_b32 exec_lo, exec_lo, s21
.LBB6_2958:                             ;   in Loop: Header=BB6_53 Depth=1
	s_delay_alu instid0(SALU_CYCLE_1)
	s_or_b32 exec_lo, exec_lo, s11
	s_cbranch_execnz .LBB6_6166
; %bb.2959:                             ;   in Loop: Header=BB6_53 Depth=1
	ds_load_b32 v11, v0
	v_cmp_lt_i32_e32 vcc_lo, 0, v10
	s_waitcnt lgkmcnt(0)
	v_readfirstlane_b32 s11, v11
	v_and_b32_e32 v11, 16, v103
	s_delay_alu instid0(VALU_DEP_2) | instskip(NEXT) | instid1(VALU_DEP_1)
	s_cmp_eq_u32 s11, 0
	v_cmp_ne_u32_e64 s11, 0, v11
	s_cselect_b32 s21, -1, 0
	s_delay_alu instid0(SALU_CYCLE_1)
	s_and_b32 s21, vcc_lo, s21
	s_delay_alu instid0(VALU_DEP_1) | instid1(SALU_CYCLE_1)
	s_and_b32 s21, s11, s21
	s_delay_alu instid0(SALU_CYCLE_1)
	s_and_saveexec_b32 s11, s21
	s_cbranch_execz .LBB6_2961
; %bb.2960:                             ;   in Loop: Header=BB6_53 Depth=1
	s_waitcnt_vscnt null, 0x0
	buffer_gl1_inv
	buffer_gl0_inv
.LBB6_2961:                             ;   in Loop: Header=BB6_53 Depth=1
	s_or_b32 exec_lo, exec_lo, s11
	v_cmp_ne_u32_e32 vcc_lo, 0, v11
	s_xor_b32 s11, s10, -1
	s_delay_alu instid0(SALU_CYCLE_1) | instskip(NEXT) | instid1(SALU_CYCLE_1)
	s_and_b32 s21, vcc_lo, s11
	s_and_saveexec_b32 s11, s21
	s_cbranch_execz .LBB6_2963
; %bb.2962:                             ;   in Loop: Header=BB6_53 Depth=1
	s_waitcnt_vscnt null, 0x0
	flat_store_b32 v[82:83], v145
.LBB6_2963:                             ;   in Loop: Header=BB6_53 Depth=1
	s_or_b32 exec_lo, exec_lo, s11
	v_and_b32_e32 v10, 48, v103
	s_mov_b32 s11, exec_lo
	s_delay_alu instid0(VALU_DEP_1)
	v_cmpx_ne_u32_e32 0, v10
	s_cbranch_execz .LBB6_2965
; %bb.2964:                             ;   in Loop: Header=BB6_53 Depth=1
	v_add_co_u32 v8, vcc_lo, v8, 1
	v_add_co_ci_u32_e32 v9, vcc_lo, 0, v9, vcc_lo
	s_waitcnt lgkmcnt(0)
	s_waitcnt_vscnt null, 0x0
	flat_store_b64 v[64:65], v[8:9]
.LBB6_2965:                             ;   in Loop: Header=BB6_53 Depth=1
	s_or_b32 exec_lo, exec_lo, s11
.LBB6_2966:                             ;   in Loop: Header=BB6_53 Depth=1
	s_delay_alu instid0(SALU_CYCLE_1) | instskip(SKIP_2) | instid1(VALU_DEP_1)
	s_or_b32 exec_lo, exec_lo, s12
	v_add_co_u32 v84, vcc_lo, v84, v80
	v_add_co_ci_u32_e32 v85, vcc_lo, 0, v85, vcc_lo
	v_cmp_ge_u64_e32 vcc_lo, v[84:85], v[4:5]
	s_or_b32 s18, vcc_lo, s18
	s_delay_alu instid0(SALU_CYCLE_1)
	s_and_not1_b32 exec_lo, exec_lo, s18
	s_cbranch_execnz .LBB6_53
; %bb.2967:
	s_or_b32 exec_lo, exec_lo, s18
.LBB6_2968:
	s_delay_alu instid0(SALU_CYCLE_1)
	s_or_b32 exec_lo, exec_lo, s17
                                        ; implicit-def: $vgpr52_vgpr53
                                        ; implicit-def: $vgpr4_vgpr5
                                        ; implicit-def: $vgpr113
                                        ; implicit-def: $vgpr68_vgpr69
                                        ; implicit-def: $vgpr66_vgpr67
                                        ; implicit-def: $vgpr64_vgpr65
                                        ; implicit-def: $vgpr0
                                        ; implicit-def: $vgpr26
                                        ; implicit-def: $vgpr80_vgpr81
.LBB6_2969:
	s_and_not1_saveexec_b32 s11, s16
	s_cbranch_execz .LBB6_5875
; %bb.2970:
	v_mov_b32_e32 v70, 0
	v_mov_b32_e32 v71, 0
	s_and_saveexec_b32 s12, s1
	s_cbranch_execz .LBB6_5874
; %bb.2971:
	v_cmp_ge_i32_e64 s1, v0, v1
	s_cbranch_execnz .LBB6_6124
; %bb.2972:
	v_ashrrev_i32_e32 v10, 31, v0
	v_lshrrev_b32_e32 v87, 5, v1
	v_dual_mov_b32 v30, 0 :: v_dual_and_b32 v11, 31, v31
	s_ashr_i32 s4, s14, 31
	s_delay_alu instid0(VALU_DEP_3)
	v_lshrrev_b32_e32 v10, 27, v10
	s_waitcnt lgkmcnt(2)
	v_dual_mov_b32 v82, 0 :: v_dual_lshlrev_b32 v101, 9, v87
	s_lshr_b32 s4, s4, 24
	v_and_b32_e32 v128, 0xffffffe0, v1
	v_dual_mov_b32 v83, 0 :: v_dual_add_nc_u32 v10, v0, v10
	s_delay_alu instid0(VALU_DEP_3) | instskip(SKIP_2) | instid1(VALU_DEP_3)
	v_add_nc_u32_e32 v14, 0xfffffe00, v101
	v_mov_b32_e32 v70, v82
	s_add_i32 s10, s14, s4
	v_dual_mov_b32 v71, v83 :: v_dual_and_b32 v12, 0xffffffe0, v10
	v_ashrrev_i32_e32 v100, 5, v10
	v_lshl_add_u32 v10, v87, 11, 0xfffff800
	v_cmp_eq_u32_e64 s4, 0, v11
	s_delay_alu instid0(VALU_DEP_4)
	v_sub_nc_u32_e32 v102, v0, v12
	v_lshl_add_u32 v11, v87, 10, 0xfffffc00
	v_lshlrev_b32_e32 v12, 11, v100
	v_ashrrev_i32_e32 v13, 31, v10
	v_add_co_u32 v115, s5, 0x800, v10
	v_ashrrev_i32_e32 v10, 31, v14
	v_add_co_u32 v118, s7, 0x200, v14
	v_lshl_add_u32 v114, v102, 4, v12
	v_cmp_eq_u32_e32 vcc_lo, 32, v1
	s_delay_alu instid0(VALU_DEP_4)
	v_add_co_ci_u32_e64 v119, s7, 0, v10, s7
	v_ashrrev_i32_e32 v10, 31, v11
	v_add_co_u32 v129, s7, 0x400, v11
	v_add_co_ci_u32_e64 v116, s5, 0, v13, s5
	v_cmp_ne_u32_e64 s2, 32, v1
	v_cmp_ne_u32_e64 s3, v112, v1
	v_cmp_le_i32_e64 s5, v102, v26
	v_cmp_gt_i32_e64 s6, 1, v102
	v_ashrrev_i32_e32 v117, 31, v114
	v_add_co_ci_u32_e64 v130, s7, 0, v10, s7
	v_ashrrev_i32_e32 v131, 31, v128
	v_mov_b32_e32 v132, 1
	s_ashr_i32 s17, s10, 8
	s_mov_b32 s16, 0
	s_xor_b32 s18, vcc_lo, -1
.LBB6_2973:                             ; =>This Loop Header: Depth=1
                                        ;     Child Loop BB6_2983 Depth 2
                                        ;     Child Loop BB6_3010 Depth 2
	;; [unrolled: 1-line block ×10, first 2 shown]
	v_sub_co_u32 v10, vcc_lo, v4, v82
	v_sub_co_ci_u32_e32 v11, vcc_lo, v5, v83, vcc_lo
	v_mov_b32_e32 v14, 0
	s_delay_alu instid0(VALU_DEP_2) | instskip(SKIP_2) | instid1(VALU_DEP_2)
	v_cmp_lt_u64_e32 vcc_lo, v[80:81], v[10:11]
	v_cndmask_b32_e32 v84, v10, v80, vcc_lo
	v_cndmask_b32_e64 v85, v11, 0, vcc_lo
	v_add_nc_u32_e32 v10, 15, v84
	s_delay_alu instid0(VALU_DEP_2) | instskip(NEXT) | instid1(VALU_DEP_2)
	v_cmp_eq_u64_e32 vcc_lo, 0, v[84:85]
	v_and_b32_e32 v10, 0x7ffffff0, v10
	s_or_b32 s19, s1, vcc_lo
	s_delay_alu instid0(SALU_CYCLE_1) | instskip(NEXT) | instid1(VALU_DEP_1)
	s_xor_b32 s7, s19, -1
	v_max_i32_e32 v133, s17, v10
	s_and_saveexec_b32 s20, s7
	s_cbranch_execz .LBB6_5819
; %bb.2974:                             ;   in Loop: Header=BB6_2973 Depth=1
	s_and_saveexec_b32 s10, s0
	s_cbranch_execz .LBB6_2977
; %bb.2975:                             ;   in Loop: Header=BB6_2973 Depth=1
	s_cbranch_execnz .LBB6_6156
; %bb.2976:                             ;   in Loop: Header=BB6_2973 Depth=1
	ds_load_2addr_b64 v[10:13], v0 offset1:1
	ds_load_b64 v[14:15], v0
	v_add_co_u32 v16, vcc_lo, v82, v52
	v_add_co_ci_u32_e32 v17, vcc_lo, v83, v53, vcc_lo
	s_waitcnt lgkmcnt(1)
	s_delay_alu instid0(VALU_DEP_2) | instskip(NEXT) | instid1(VALU_DEP_2)
	v_add_co_u32 v10, vcc_lo, v10, v16
	v_add_co_ci_u32_e32 v11, vcc_lo, v11, v17, vcc_lo
	s_waitcnt lgkmcnt(0)
	v_add_co_u32 v18, vcc_lo, v14, v16
	v_add_co_ci_u32_e32 v19, vcc_lo, v15, v17, vcc_lo
	v_cmp_ne_u64_e32 vcc_lo, 0, v[14:15]
	v_add_co_u32 v12, s7, v12, v16
	s_delay_alu instid0(VALU_DEP_1) | instskip(NEXT) | instid1(VALU_DEP_4)
	v_add_co_ci_u32_e64 v13, s7, v13, v17, s7
	v_dual_cndmask_b32 v15, 0, v19 :: v_dual_cndmask_b32 v14, 0, v18
	ds_store_b64 v0, v[10:11]
	ds_store_b64 v0, v[12:13]
	ds_store_b64 v0, v[14:15]
.LBB6_2977:                             ;   in Loop: Header=BB6_2973 Depth=1
	s_or_b32 exec_lo, exec_lo, s10
	v_and_b32_e32 v10, 4, v103
	s_mov_b32 s10, -1
	s_mov_b32 s7, exec_lo
	s_delay_alu instid0(VALU_DEP_1)
	v_cmpx_ne_u32_e32 0, v10
	s_cbranch_execz .LBB6_2991
; %bb.2978:                             ;   in Loop: Header=BB6_2973 Depth=1
	s_waitcnt lgkmcnt(0)
	v_add_co_u32 v10, vcc_lo, v8, 1
	v_add_co_ci_u32_e32 v11, vcc_lo, 0, v9, vcc_lo
	v_mov_b32_e32 v12, 1
	s_mov_b32 s10, exec_lo
	s_delay_alu instid0(VALU_DEP_2)
	v_cmpx_lt_u64_e64 v[68:69], v[10:11]
	s_cbranch_execz .LBB6_2990
; %bb.2979:                             ;   in Loop: Header=BB6_2973 Depth=1
	v_mov_b32_e32 v12, 0
	s_mov_b32 s21, 0
                                        ; implicit-def: $sgpr22
	s_branch .LBB6_2983
.LBB6_2980:                             ;   in Loop: Header=BB6_2983 Depth=2
	s_or_b32 exec_lo, exec_lo, s26
	v_mov_b32_e32 v13, 0
	s_or_not1_b32 s25, s25, exec_lo
.LBB6_2981:                             ;   in Loop: Header=BB6_2983 Depth=2
	s_or_b32 exec_lo, exec_lo, s24
	s_delay_alu instid0(VALU_DEP_1) | instskip(SKIP_2) | instid1(SALU_CYCLE_1)
	v_mov_b32_e32 v12, v13
	s_and_not1_b32 s22, s22, exec_lo
	s_and_b32 s24, s25, exec_lo
	s_or_b32 s22, s22, s24
.LBB6_2982:                             ;   in Loop: Header=BB6_2983 Depth=2
	s_or_b32 exec_lo, exec_lo, s23
	s_waitcnt vmcnt(0) lgkmcnt(0)
	v_cmp_ge_u64_e32 vcc_lo, v[68:69], v[10:11]
	s_xor_b32 s23, s22, -1
	s_delay_alu instid0(SALU_CYCLE_1) | instskip(NEXT) | instid1(SALU_CYCLE_1)
	s_or_b32 s23, s23, vcc_lo
	s_and_b32 s23, exec_lo, s23
	s_delay_alu instid0(SALU_CYCLE_1) | instskip(NEXT) | instid1(SALU_CYCLE_1)
	s_or_b32 s21, s23, s21
	s_and_not1_b32 exec_lo, exec_lo, s21
	s_cbranch_execz .LBB6_2989
.LBB6_2983:                             ;   Parent Loop BB6_2973 Depth=1
                                        ; =>  This Inner Loop Header: Depth=2
	s_sleep 1
	flat_load_b64 v[68:69], v[64:65] glc
	v_and_b32_e32 v13, 64, v103
	s_and_not1_b32 s22, s22, exec_lo
	s_mov_b32 s23, exec_lo
	s_delay_alu instid0(VALU_DEP_1)
	v_cmpx_eq_u32_e32 0, v13
	s_cbranch_execz .LBB6_2982
; %bb.2984:                             ;   in Loop: Header=BB6_2983 Depth=2
	v_add_nc_u32_e32 v13, 1, v12
	s_mov_b32 s25, -1
	s_mov_b32 s24, exec_lo
	v_cmpx_lt_i32_e32 0x270e, v12
	s_cbranch_execz .LBB6_2981
; %bb.2985:                             ;   in Loop: Header=BB6_2983 Depth=2
	s_cbranch_execnz .LBB6_6181
; %bb.2986:                             ;   in Loop: Header=BB6_2983 Depth=2
	ds_load_b64 v[12:13], v0
	s_mov_b32 s26, exec_lo
	s_waitcnt vmcnt(0) lgkmcnt(0)
	s_waitcnt_vscnt null, 0x0
	flat_load_b32 v12, v[12:13] glc
	s_waitcnt vmcnt(0) lgkmcnt(0)
	buffer_gl1_inv
	buffer_gl0_inv
	v_cmpx_ne_u32_e32 0, v12
	s_cbranch_execz .LBB6_2980
; %bb.2987:                             ;   in Loop: Header=BB6_2983 Depth=2
	ds_store_b32 v0, v12
	s_cbranch_execnz .LBB6_6209
; %bb.2988:                             ;   in Loop: Header=BB6_2983 Depth=2
	v_or_b32_e32 v103, 64, v103
	s_xor_b32 s25, exec_lo, -1
	s_branch .LBB6_2980
.LBB6_2989:                             ;   in Loop: Header=BB6_2973 Depth=1
	s_or_b32 exec_lo, exec_lo, s21
	v_and_b32_e32 v12, 4, v103
.LBB6_2990:                             ;   in Loop: Header=BB6_2973 Depth=1
	s_or_b32 exec_lo, exec_lo, s10
	s_delay_alu instid0(VALU_DEP_1)
	v_cmp_eq_u32_e32 vcc_lo, 0, v12
	;;#ASMSTART
	s_wakeup
	;;#ASMEND
	s_or_not1_b32 s10, vcc_lo, exec_lo
.LBB6_2991:                             ;   in Loop: Header=BB6_2973 Depth=1
	s_or_b32 exec_lo, exec_lo, s7
	s_xor_b32 s7, s10, -1
	s_delay_alu instid0(SALU_CYCLE_1)
	s_and_saveexec_b32 s10, s7
	s_cbranch_execz .LBB6_3001
; %bb.2992:                             ;   in Loop: Header=BB6_2973 Depth=1
	v_and_b32_e32 v10, 0x100, v103
	s_waitcnt lgkmcnt(0)
	v_and_b32_e32 v14, 7, v8
	s_mov_b32 s7, -1
	s_delay_alu instid0(VALU_DEP_2)
	v_cmp_ne_u32_e32 vcc_lo, 0, v10
                                        ; implicit-def: $vgpr10_vgpr11
	s_and_saveexec_b32 s21, vcc_lo
	s_cbranch_execz .LBB6_2996
; %bb.2993:                             ;   in Loop: Header=BB6_2973 Depth=1
	v_mad_u64_u32 v[12:13], null, v14, 24, v[6:7]
	flat_load_b32 v10, v[12:13]
	s_waitcnt vmcnt(0) lgkmcnt(0)
	v_cmp_ne_u32_e32 vcc_lo, 1, v10
	v_cmp_eq_u32_e64 s7, 1, v10
                                        ; implicit-def: $vgpr10_vgpr11
	s_delay_alu instid0(VALU_DEP_1)
	s_and_saveexec_b32 s22, s7
	s_cbranch_execz .LBB6_2995
; %bb.2994:                             ;   in Loop: Header=BB6_2973 Depth=1
	flat_load_b32 v10, v[12:13] offset:4 glc
	s_waitcnt vmcnt(0) lgkmcnt(0)
	v_ashrrev_i32_e32 v11, 31, v10
.LBB6_2995:                             ;   in Loop: Header=BB6_2973 Depth=1
	s_or_b32 exec_lo, exec_lo, s22
	s_delay_alu instid0(SALU_CYCLE_1)
	s_or_not1_b32 s7, vcc_lo, exec_lo
.LBB6_2996:                             ;   in Loop: Header=BB6_2973 Depth=1
	s_or_b32 exec_lo, exec_lo, s21
	s_and_saveexec_b32 s21, s7
; %bb.2997:                             ;   in Loop: Header=BB6_2973 Depth=1
	v_mad_i64_i32 v[10:11], null, v14, v113, 0
; %bb.2998:                             ;   in Loop: Header=BB6_2973 Depth=1
	s_or_b32 exec_lo, exec_lo, s21
	s_delay_alu instid0(VALU_DEP_1) | instskip(SKIP_1) | instid1(VALU_DEP_3)
	v_add_co_u32 v10, vcc_lo, v66, v10
	v_and_b32_e32 v12, 0x2000, v103
	v_add_co_ci_u32_e32 v11, vcc_lo, v67, v11, vcc_lo
	s_mov_b32 s7, exec_lo
	ds_store_b64 v0, v[10:11] offset:728
	v_cmpx_ne_u32_e32 0, v12
	s_cbranch_execz .LBB6_3000
; %bb.2999:                             ;   in Loop: Header=BB6_2973 Depth=1
	ds_load_b64 v[10:11], v0 offset:584
	s_waitcnt lgkmcnt(0)
	v_add_co_u32 v10, vcc_lo, v10, 1
	v_add_co_ci_u32_e32 v11, vcc_lo, 0, v11, vcc_lo
	ds_store_b64 v0, v[10:11] offset:584
.LBB6_3000:                             ;   in Loop: Header=BB6_2973 Depth=1
	s_or_b32 exec_lo, exec_lo, s7
	v_add_co_u32 v8, vcc_lo, v8, 1
	v_add_co_ci_u32_e32 v9, vcc_lo, 0, v9, vcc_lo
.LBB6_3001:                             ;   in Loop: Header=BB6_2973 Depth=1
	s_or_b32 exec_lo, exec_lo, s10
	s_and_saveexec_b32 s7, s2
	s_cbranch_execz .LBB6_3023
; %bb.3002:                             ;   in Loop: Header=BB6_2973 Depth=1
	s_and_saveexec_b32 s10, s3
	s_delay_alu instid0(SALU_CYCLE_1)
	s_xor_b32 s10, exec_lo, s10
	s_cbranch_execz .LBB6_3020
; %bb.3003:                             ;   in Loop: Header=BB6_2973 Depth=1
	s_and_saveexec_b32 s21, s4
	s_cbranch_execz .LBB6_3019
; %bb.3004:                             ;   in Loop: Header=BB6_2973 Depth=1
	s_mov_b32 s23, exec_lo
	s_mov_b32 s22, exec_lo
	v_mbcnt_lo_u32_b32 v10, s23, 0
	s_waitcnt lgkmcnt(0)
	s_waitcnt_vscnt null, 0x0
	buffer_gl1_inv
	buffer_gl0_inv
	v_cmpx_eq_u32_e32 0, v10
	s_cbranch_execz .LBB6_3006
; %bb.3005:                             ;   in Loop: Header=BB6_2973 Depth=1
	s_bcnt1_i32_b32 s23, s23
	s_delay_alu instid0(SALU_CYCLE_1)
	v_mov_b32_e32 v29, s23
	ds_add_u64 v0, v[29:30]
	s_cbranch_execnz .LBB6_6227
.LBB6_3006:                             ;   in Loop: Header=BB6_2973 Depth=1
	s_or_b32 exec_lo, exec_lo, s22
	s_cbranch_execnz .LBB6_6215
; %bb.3007:                             ;   in Loop: Header=BB6_2973 Depth=1
	ds_load_b64 v[10:11], v0
	v_add_co_u32 v70, vcc_lo, v70, v87
	v_add_co_ci_u32_e32 v71, vcc_lo, 0, v71, vcc_lo
	s_mov_b32 s22, exec_lo
	s_waitcnt lgkmcnt(0)
	s_delay_alu instid0(VALU_DEP_1)
	v_cmpx_lt_u64_e64 v[10:11], v[70:71]
	s_cbranch_execz .LBB6_3018
; %bb.3008:                             ;   in Loop: Header=BB6_2973 Depth=1
	s_mov_b32 s23, 0
	s_mov_b32 s26, 0
                                        ; implicit-def: $sgpr24
                                        ; implicit-def: $sgpr25
	s_branch .LBB6_3010
.LBB6_3009:                             ;   in Loop: Header=BB6_3010 Depth=2
	s_or_b32 exec_lo, exec_lo, s29
	s_delay_alu instid0(SALU_CYCLE_1) | instskip(NEXT) | instid1(SALU_CYCLE_1)
	s_and_b32 s27, exec_lo, s28
	s_or_b32 s23, s27, s23
	s_and_not1_b32 s24, s24, exec_lo
	s_and_b32 s27, s25, exec_lo
	s_delay_alu instid0(SALU_CYCLE_1)
	s_or_b32 s24, s24, s27
	s_and_not1_b32 exec_lo, exec_lo, s23
	s_cbranch_execz .LBB6_3016
.LBB6_3010:                             ;   Parent Loop BB6_2973 Depth=1
                                        ; =>  This Inner Loop Header: Depth=2
	s_add_i32 s26, s26, 1
                                        ; implicit-def: $sgpr28
	s_delay_alu instid0(SALU_CYCLE_1) | instskip(SKIP_1) | instid1(SALU_CYCLE_1)
	s_cmpk_lg_i32 s26, 0x2710
	s_cselect_b32 s27, -1, 0
	s_and_b32 vcc_lo, exec_lo, s27
	s_cbranch_vccz .LBB6_3014
.LBB6_3011:                             ;   in Loop: Header=BB6_3010 Depth=2
	s_and_not1_b32 s25, s25, exec_lo
	s_and_b32 s29, s28, exec_lo
	s_mov_b32 s28, -1
	s_or_b32 s25, s25, s29
	s_and_saveexec_b32 s29, s27
	s_cbranch_execz .LBB6_3009
; %bb.3012:                             ;   in Loop: Header=BB6_3010 Depth=2
	s_sleep 1
	s_cbranch_execnz .LBB6_6259
; %bb.3013:                             ;   in Loop: Header=BB6_3010 Depth=2
	ds_load_b64 v[10:11], v0
	s_and_not1_b32 s25, s25, exec_lo
	s_waitcnt lgkmcnt(0)
	v_cmp_ge_u64_e32 vcc_lo, v[10:11], v[70:71]
	s_or_not1_b32 s28, vcc_lo, exec_lo
	s_branch .LBB6_3009
.LBB6_3014:                             ;   in Loop: Header=BB6_3010 Depth=2
	s_cbranch_execnz .LBB6_6271
; %bb.3015:                             ;   in Loop: Header=BB6_3010 Depth=2
	ds_load_b64 v[10:11], v0
	s_and_not1_b32 s27, s27, exec_lo
	s_mov_b32 s26, 0
	s_mov_b32 s28, -1
	s_waitcnt lgkmcnt(0)
	flat_load_b32 v10, v[10:11] glc
	s_waitcnt vmcnt(0) lgkmcnt(0)
	buffer_gl1_inv
	buffer_gl0_inv
	v_cmp_eq_u32_e32 vcc_lo, 0, v10
	s_and_b32 s29, vcc_lo, exec_lo
	s_delay_alu instid0(SALU_CYCLE_1)
	s_or_b32 s27, s27, s29
	s_branch .LBB6_3011
.LBB6_3016:                             ;   in Loop: Header=BB6_2973 Depth=1
	s_or_b32 exec_lo, exec_lo, s23
	s_and_saveexec_b32 s23, s24
	s_delay_alu instid0(SALU_CYCLE_1)
	s_xor_b32 s23, exec_lo, s23
	s_cbranch_execz .LBB6_3018
; %bb.3017:                             ;   in Loop: Header=BB6_2973 Depth=1
	ds_store_b32 v0, v132
	s_cbranch_execz .LBB6_3018
; %bb.6455:
	s_getpc_b64 s[34:35]
.Lpost_getpc81:
	s_add_u32 s34, s34, (.LBB6_6345-.Lpost_getpc81)&4294967295
	s_addc_u32 s35, s35, (.LBB6_6345-.Lpost_getpc81)>>32
	s_setpc_b64 s[34:35]
.LBB6_3018:                             ;   in Loop: Header=BB6_2973 Depth=1
	s_or_b32 exec_lo, exec_lo, s22
	;;#ASMSTART
	s_wakeup
	;;#ASMEND
.LBB6_3019:                             ;   in Loop: Header=BB6_2973 Depth=1
	s_or_b32 exec_lo, exec_lo, s21
.LBB6_3020:                             ;   in Loop: Header=BB6_2973 Depth=1
	s_and_not1_saveexec_b32 s10, s10
	s_cbranch_execz .LBB6_3022
; %bb.3021:                             ;   in Loop: Header=BB6_2973 Depth=1
	s_waitcnt lgkmcnt(0)
	s_waitcnt_vscnt null, 0x0
	buffer_gl1_inv
	buffer_gl0_inv
	s_barrier
.LBB6_3022:                             ;   in Loop: Header=BB6_2973 Depth=1
	s_or_b32 exec_lo, exec_lo, s10
.LBB6_3023:                             ;   in Loop: Header=BB6_2973 Depth=1
	s_delay_alu instid0(SALU_CYCLE_1)
	s_or_b32 exec_lo, exec_lo, s7
	s_cbranch_execnz .LBB6_6152
; %bb.3024:                             ;   in Loop: Header=BB6_2973 Depth=1
	ds_load_b32 v10, v0
	v_and_b32_e32 v11, 0x4000, v103
	s_delay_alu instid0(VALU_DEP_1) | instskip(SKIP_1) | instid1(SALU_CYCLE_1)
	v_cmp_ne_u32_e32 vcc_lo, 0, v11
	s_and_b32 s10, s18, vcc_lo
	s_and_saveexec_b32 s7, s10
	s_cbranch_execz .LBB6_3046
; %bb.3025:                             ;   in Loop: Header=BB6_2973 Depth=1
	s_and_saveexec_b32 s10, s3
	s_delay_alu instid0(SALU_CYCLE_1)
	s_xor_b32 s10, exec_lo, s10
	s_cbranch_execz .LBB6_3043
; %bb.3026:                             ;   in Loop: Header=BB6_2973 Depth=1
	s_and_saveexec_b32 s21, s4
	s_cbranch_execz .LBB6_3042
; %bb.3027:                             ;   in Loop: Header=BB6_2973 Depth=1
	s_mov_b32 s23, exec_lo
	s_mov_b32 s22, exec_lo
	v_mbcnt_lo_u32_b32 v11, s23, 0
	s_waitcnt lgkmcnt(0)
	s_waitcnt_vscnt null, 0x0
	buffer_gl1_inv
	buffer_gl0_inv
	v_cmpx_eq_u32_e32 0, v11
	s_cbranch_execz .LBB6_3029
; %bb.3028:                             ;   in Loop: Header=BB6_2973 Depth=1
	s_bcnt1_i32_b32 s23, s23
	s_delay_alu instid0(SALU_CYCLE_1)
	v_mov_b32_e32 v29, s23
	ds_add_u64 v0, v[29:30]
	s_cbranch_execnz .LBB6_6255
.LBB6_3029:                             ;   in Loop: Header=BB6_2973 Depth=1
	s_or_b32 exec_lo, exec_lo, s22
	s_cbranch_execnz .LBB6_6241
; %bb.3030:                             ;   in Loop: Header=BB6_2973 Depth=1
	ds_load_b64 v[11:12], v0
	v_add_co_u32 v70, vcc_lo, v70, v87
	v_add_co_ci_u32_e32 v71, vcc_lo, 0, v71, vcc_lo
	s_mov_b32 s22, exec_lo
	s_waitcnt lgkmcnt(0)
	s_delay_alu instid0(VALU_DEP_1)
	v_cmpx_lt_u64_e64 v[11:12], v[70:71]
	s_cbranch_execz .LBB6_3041
; %bb.3031:                             ;   in Loop: Header=BB6_2973 Depth=1
	s_mov_b32 s23, 0
	s_mov_b32 s26, 0
                                        ; implicit-def: $sgpr24
                                        ; implicit-def: $sgpr25
	s_branch .LBB6_3033
.LBB6_3032:                             ;   in Loop: Header=BB6_3033 Depth=2
	s_or_b32 exec_lo, exec_lo, s29
	s_delay_alu instid0(SALU_CYCLE_1) | instskip(NEXT) | instid1(SALU_CYCLE_1)
	s_and_b32 s27, exec_lo, s28
	s_or_b32 s23, s27, s23
	s_and_not1_b32 s24, s24, exec_lo
	s_and_b32 s27, s25, exec_lo
	s_delay_alu instid0(SALU_CYCLE_1)
	s_or_b32 s24, s24, s27
	s_and_not1_b32 exec_lo, exec_lo, s23
	s_cbranch_execz .LBB6_3039
.LBB6_3033:                             ;   Parent Loop BB6_2973 Depth=1
                                        ; =>  This Inner Loop Header: Depth=2
	s_add_i32 s26, s26, 1
                                        ; implicit-def: $sgpr28
	s_delay_alu instid0(SALU_CYCLE_1) | instskip(SKIP_1) | instid1(SALU_CYCLE_1)
	s_cmpk_lg_i32 s26, 0x2710
	s_cselect_b32 s27, -1, 0
	s_and_b32 vcc_lo, exec_lo, s27
	s_cbranch_vccz .LBB6_3037
.LBB6_3034:                             ;   in Loop: Header=BB6_3033 Depth=2
	s_and_not1_b32 s25, s25, exec_lo
	s_and_b32 s29, s28, exec_lo
	s_mov_b32 s28, -1
	s_or_b32 s25, s25, s29
	s_and_saveexec_b32 s29, s27
	s_cbranch_execz .LBB6_3032
; %bb.3035:                             ;   in Loop: Header=BB6_3033 Depth=2
	s_sleep 1
	s_cbranch_execnz .LBB6_6307
; %bb.3036:                             ;   in Loop: Header=BB6_3033 Depth=2
	ds_load_b64 v[11:12], v0
	s_and_not1_b32 s25, s25, exec_lo
	s_waitcnt lgkmcnt(0)
	v_cmp_ge_u64_e32 vcc_lo, v[11:12], v[70:71]
	s_or_not1_b32 s28, vcc_lo, exec_lo
	s_branch .LBB6_3032
.LBB6_3037:                             ;   in Loop: Header=BB6_3033 Depth=2
	s_cbranch_execnz .LBB6_6317
; %bb.3038:                             ;   in Loop: Header=BB6_3033 Depth=2
	ds_load_b64 v[11:12], v0
	s_and_not1_b32 s27, s27, exec_lo
	s_mov_b32 s26, 0
	s_mov_b32 s28, -1
	s_waitcnt lgkmcnt(0)
	flat_load_b32 v11, v[11:12] glc
	s_waitcnt vmcnt(0) lgkmcnt(0)
	buffer_gl1_inv
	buffer_gl0_inv
	v_cmp_eq_u32_e32 vcc_lo, 0, v11
	s_and_b32 s29, vcc_lo, exec_lo
	s_delay_alu instid0(SALU_CYCLE_1)
	s_or_b32 s27, s27, s29
	s_branch .LBB6_3034
.LBB6_3039:                             ;   in Loop: Header=BB6_2973 Depth=1
	s_or_b32 exec_lo, exec_lo, s23
	s_and_saveexec_b32 s23, s24
	s_delay_alu instid0(SALU_CYCLE_1)
	s_xor_b32 s23, exec_lo, s23
	s_cbranch_execz .LBB6_3041
; %bb.3040:                             ;   in Loop: Header=BB6_2973 Depth=1
	ds_store_b32 v0, v132
	s_cbranch_execz .LBB6_3041
; %bb.6457:
	s_getpc_b64 s[34:35]
.Lpost_getpc82:
	s_add_u32 s34, s34, (.LBB6_6355-.Lpost_getpc82)&4294967295
	s_addc_u32 s35, s35, (.LBB6_6355-.Lpost_getpc82)>>32
	s_setpc_b64 s[34:35]
.LBB6_3041:                             ;   in Loop: Header=BB6_2973 Depth=1
	s_or_b32 exec_lo, exec_lo, s22
	;;#ASMSTART
	s_wakeup
	;;#ASMEND
.LBB6_3042:                             ;   in Loop: Header=BB6_2973 Depth=1
	s_or_b32 exec_lo, exec_lo, s21
.LBB6_3043:                             ;   in Loop: Header=BB6_2973 Depth=1
	s_and_not1_saveexec_b32 s10, s10
	s_cbranch_execz .LBB6_3045
; %bb.3044:                             ;   in Loop: Header=BB6_2973 Depth=1
	s_waitcnt lgkmcnt(0)
	s_waitcnt_vscnt null, 0x0
	buffer_gl1_inv
	buffer_gl0_inv
	s_barrier
.LBB6_3045:                             ;   in Loop: Header=BB6_2973 Depth=1
	s_or_b32 exec_lo, exec_lo, s10
.LBB6_3046:                             ;   in Loop: Header=BB6_2973 Depth=1
	s_delay_alu instid0(SALU_CYCLE_1)
	s_or_b32 exec_lo, exec_lo, s7
	s_cbranch_execnz .LBB6_6185
; %bb.3047:                             ;   in Loop: Header=BB6_2973 Depth=1
	ds_load_b64 v[11:12], v0
	v_min_u32_e32 v133, v133, v84
	s_waitcnt lgkmcnt(0)
	v_cmp_eq_u64_e32 vcc_lo, 0, v[11:12]
	s_or_b32 s7, vcc_lo, vcc_lo
	s_delay_alu instid0(SALU_CYCLE_1)
	s_and_b32 vcc_lo, exec_lo, s7
	s_mov_b32 s7, 0
	s_cbranch_vccnz .LBB6_5792
; %bb.3048:                             ;   in Loop: Header=BB6_2973 Depth=1
	s_mov_b32 s7, -1
	s_and_saveexec_b32 s10, s5
	s_cbranch_execz .LBB6_3050
; %bb.3049:                             ;   in Loop: Header=BB6_2973 Depth=1
	ds_load_b32 v11, v0 offset:720
	s_waitcnt lgkmcnt(0)
	v_and_b32_e32 v11, 15, v11
	s_delay_alu instid0(VALU_DEP_1)
	v_cmp_eq_u32_e32 vcc_lo, 0, v11
	s_or_not1_b32 s7, vcc_lo, exec_lo
.LBB6_3050:                             ;   in Loop: Header=BB6_2973 Depth=1
	s_or_b32 exec_lo, exec_lo, s10
	s_and_saveexec_b32 s10, s6
	s_cbranch_execz .LBB6_3052
; %bb.3051:                             ;   in Loop: Header=BB6_2973 Depth=1
	ds_load_b32 v11, v0 offset:784
	s_waitcnt lgkmcnt(0)
	v_and_b32_e32 v11, 15, v11
	s_delay_alu instid0(VALU_DEP_1) | instskip(SKIP_3) | instid1(SALU_CYCLE_1)
	v_cmp_eq_u32_e32 vcc_lo, 0, v11
	s_and_b32 s21, s7, vcc_lo
	s_and_not1_b32 s7, s7, exec_lo
	s_and_b32 s21, s21, exec_lo
	s_or_b32 s7, s7, s21
.LBB6_3052:                             ;   in Loop: Header=BB6_2973 Depth=1
	s_or_b32 exec_lo, exec_lo, s10
	v_cmp_eq_u32_e32 vcc_lo, 0, v10
	s_xor_b32 s7, s7, -1
	v_mov_b32_e32 v18, v0
	v_cndmask_b32_e64 v11, 0, 1, s7
	;;#ASMSTART
	;;#ASMEND
	v_cndmask_b32_e32 v134, 0, v133, vcc_lo
	s_delay_alu instid0(VALU_DEP_2)
	v_cmp_ne_u32_e32 vcc_lo, 0, v11
	v_mov_b32_e32 v16, 0
	v_mov_b32_e32 v10, v100
	s_mov_b32 s7, -1
	v_mov_b32_e32 v17, v134
	s_cbranch_vccnz .LBB6_4988
; %bb.3053:                             ;   in Loop: Header=BB6_2973 Depth=1
	v_lshrrev_b32_e32 v10, 11, v134
	s_mov_b32 s10, exec_lo
	s_delay_alu instid0(VALU_DEP_1) | instskip(NEXT) | instid1(VALU_DEP_1)
	v_sub_nc_u32_e32 v135, v10, v100
	v_cmpx_lt_i32_e32 0, v135
	s_cbranch_execz .LBB6_4594
; %bb.3054:                             ;   in Loop: Header=BB6_2973 Depth=1
	s_cbranch_execnz .LBB6_6273
; %bb.3055:                             ;   in Loop: Header=BB6_2973 Depth=1
	ds_load_b128 v[10:13], v0
	ds_load_b64 v[14:15], v0
	s_mov_b32 s21, 0
	s_waitcnt lgkmcnt(1)
	v_add_co_u32 v85, vcc_lo, v10, v114
	v_add_co_ci_u32_e32 v86, vcc_lo, v11, v117, vcc_lo
	v_add_co_u32 v96, vcc_lo, v12, v114
	v_add_co_ci_u32_e32 v97, vcc_lo, v13, v117, vcc_lo
	s_waitcnt lgkmcnt(0)
	v_add_co_u32 v98, vcc_lo, v14, v114
	v_add_co_ci_u32_e32 v99, vcc_lo, v15, v117, vcc_lo
	s_branch .LBB6_3059
.LBB6_3056:                             ;   in Loop: Header=BB6_3059 Depth=2
	s_or_b32 exec_lo, exec_lo, s7
	s_delay_alu instid0(VALU_DEP_1) | instskip(NEXT) | instid1(VALU_DEP_2)
	v_lshrrev_b32_e32 v57, 21, v57
	v_cmp_gt_i32_e32 vcc_lo, 32, v13
	v_min_i32_e32 v58, 31, v13
	v_lshrrev_b32_e32 v17, 24, v17
	s_delay_alu instid0(VALU_DEP_2) | instskip(NEXT) | instid1(VALU_DEP_2)
	v_dual_cndmask_b32 v57, 3, v57 :: v_dual_lshlrev_b32 v58, 2, v58
	v_and_b32_e32 v17, 0x80, v17
	s_delay_alu instid0(VALU_DEP_2) | instskip(SKIP_1) | instid1(VALU_DEP_2)
	v_or_b32_e32 v13, v13, v57
	v_and_b32_e32 v59, 3, v57
	v_cmp_ne_u32_e32 vcc_lo, 0, v13
	v_and_b32_e32 v58, 0xfc, v58
	s_delay_alu instid0(VALU_DEP_1) | instskip(NEXT) | instid1(VALU_DEP_1)
	v_or3_b32 v17, v17, v58, v59
	v_lshlrev_b32_e32 v17, 8, v17
	s_delay_alu instid0(VALU_DEP_1)
	v_cndmask_b32_e32 v13, 0, v17, vcc_lo
.LBB6_3057:                             ;   in Loop: Header=BB6_3059 Depth=2
	s_or_b32 exec_lo, exec_lo, s23
.LBB6_3058:                             ;   in Loop: Header=BB6_3059 Depth=2
	s_delay_alu instid0(SALU_CYCLE_1)
	s_or_b32 exec_lo, exec_lo, s22
	v_or_b32_e32 v17, v19, v180
	v_and_b32_e32 v19, 0xff, v178
	v_lshlrev_b32_e32 v178, 24, v18
	v_lshlrev_b32_e32 v18, 8, v177
	v_and_b32_e32 v177, 0xff, v182
	v_lshlrev_b32_e32 v180, 8, v181
	v_and_b32_e32 v22, 0xff, v22
	v_lshlrev_b32_e32 v17, 16, v17
	v_perm_b32 v35, v18, v35, 0xc0c0500
	v_or_b32_e32 v18, v21, v40
	v_lshlrev_b32_e32 v19, 16, v19
	v_lshlrev_b32_e32 v20, 24, v20
	;; [unrolled: 1-line block ×3, first 2 shown]
	v_perm_b32 v23, v180, v23, 0xc0c0500
	v_and_b32_e32 v24, 0xff, v24
	v_lshlrev_b32_e32 v177, 16, v18
	v_or3_b32 v18, v179, v22, v17
	v_or_b32_e32 v22, v27, v164
	v_or3_b32 v17, v178, v19, v35
	v_or3_b32 v19, v20, v21, v23
	;; [unrolled: 1-line block ×3, first 2 shown]
	v_and_b32_e32 v23, 0xff, v162
	v_lshlrev_b32_e32 v24, 8, v161
	v_and_b32_e32 v21, 0xff, v32
	v_lshlrev_b32_e32 v22, 16, v22
	v_lshlrev_b32_e32 v26, 24, v26
	v_and_b32_e32 v27, 0xff, v166
	v_lshlrev_b32_e32 v32, 8, v165
	v_lshlrev_b32_e32 v23, 16, v23
	v_perm_b32 v24, v24, v51, 0xc0c0500
	v_lshlrev_b32_e32 v28, 24, v28
	v_lshlrev_b32_e32 v27, 16, v27
	v_perm_b32 v32, v32, v33, 0xc0c0500
	v_or3_b32 v22, v163, v21, v22
	v_or_b32_e32 v29, v29, v176
	v_or3_b32 v21, v26, v23, v24
	v_or_b32_e32 v24, v37, v148
	v_or3_b32 v23, v28, v27, v32
	v_and_b32_e32 v26, 0xff, v34
	v_lshlrev_b32_e32 v27, 16, v29
	v_lshlrev_b32_e32 v32, 8, v145
	;; [unrolled: 1-line block ×3, first 2 shown]
	v_and_b32_e32 v24, 0xff, v146
	v_and_b32_e32 v34, 0xff, v150
	v_lshlrev_b32_e32 v35, 8, v149
	v_and_b32_e32 v28, 0xff, v48
	v_lshlrev_b32_e32 v33, 24, v36
	v_lshlrev_b32_e32 v36, 16, v24
	v_perm_b32 v32, v32, v144, 0xc0c0500
	v_lshlrev_b32_e32 v37, 24, v38
	v_lshlrev_b32_e32 v34, 16, v34
	v_perm_b32 v35, v35, v49, 0xc0c0500
	v_or3_b32 v24, v167, v26, v27
	v_or3_b32 v27, v147, v28, v29
	v_or_b32_e32 v29, v39, v160
	v_or3_b32 v26, v33, v36, v32
	v_or3_b32 v28, v37, v34, v35
	v_or_b32_e32 v11, v11, v44
	v_and_b32_e32 v33, 0xff, v42
	v_lshlrev_b32_e32 v34, 8, v41
	v_and_b32_e32 v35, 0xff, v46
	v_lshlrev_b32_e32 v36, 8, v45
	v_or_b32_e32 v13, v13, v56
	v_and_b32_e32 v32, 0xff, v50
	v_lshlrev_b32_e32 v29, 16, v29
	v_and_b32_e32 v14, 0xff, v14
	v_lshlrev_b32_e32 v11, 16, v11
	v_lshlrev_b32_e32 v10, 24, v10
	;; [unrolled: 1-line block ×3, first 2 shown]
	v_perm_b32 v25, v34, v25, 0xc0c0500
	v_lshlrev_b32_e32 v12, 24, v12
	v_lshlrev_b32_e32 v34, 16, v35
	v_perm_b32 v15, v36, v15, 0xc0c0500
	v_and_b32_e32 v16, 0xff, v16
	v_lshlrev_b32_e32 v13, 16, v13
	v_add_co_u32 v85, vcc_lo, v85, v115
	v_or3_b32 v29, v151, v32, v29
	v_sub_nc_u32_e32 v135, v135, v87
	v_add_co_ci_u32_e32 v86, vcc_lo, v86, v116, vcc_lo
	v_add_co_u32 v96, vcc_lo, v96, v115
	v_or3_b32 v11, v43, v14, v11
	v_or3_b32 v10, v10, v33, v25
	;; [unrolled: 1-line block ×4, first 2 shown]
	v_add_co_ci_u32_e32 v97, vcc_lo, v97, v116, vcc_lo
	s_clause 0x3
	global_store_b128 v[98:99], v[26:29], off glc slc dlc
	global_store_b128 v[98:99], v[21:24], off offset:512 glc slc dlc
	global_store_b128 v[98:99], v[17:20], off offset:1024 glc slc dlc
	global_store_b128 v[98:99], v[10:13], off offset:1536 glc slc dlc
	v_cmp_gt_i32_e32 vcc_lo, 1, v135
	v_add_co_u32 v98, s7, v98, v115
	s_delay_alu instid0(VALU_DEP_1) | instskip(SKIP_1) | instid1(SALU_CYCLE_1)
	v_add_co_ci_u32_e64 v99, s7, v99, v116, s7
	s_or_b32 s21, vcc_lo, s21
	s_and_not1_b32 exec_lo, exec_lo, s21
	s_cbranch_execz .LBB6_4593
.LBB6_3059:                             ;   Parent Loop BB6_2973 Depth=1
                                        ; =>  This Inner Loop Header: Depth=2
	s_clause 0x3
	global_load_b128 v[48:51], v[85:86], off slc dlc
	global_load_b128 v[32:35], v[85:86], off offset:512 slc dlc
	global_load_b128 v[22:25], v[85:86], off offset:1024 slc dlc
	;; [unrolled: 1-line block ×3, first 2 shown]
	s_clause 0x3
	global_load_b128 v[36:39], v[96:97], off slc dlc
	global_load_b128 v[26:29], v[96:97], off offset:512 slc dlc
	global_load_b128 v[18:21], v[96:97], off offset:1024 slc dlc
	;; [unrolled: 1-line block ×3, first 2 shown]
	s_mov_b32 s7, 0
	s_mov_b32 s23, exec_lo
                                        ; implicit-def: $sgpr22
	s_waitcnt vmcnt(7)
	v_and_b32_e32 v145, 0xff, v48
	s_delay_alu instid0(VALU_DEP_1)
	v_cmpx_lt_i16_e64 0x7f, v145
	s_xor_b32 s23, exec_lo, s23
	s_cbranch_execnz .LBB6_4081
; %bb.3060:                             ;   in Loop: Header=BB6_3059 Depth=2
	s_or_saveexec_b32 s23, s23
	v_mov_b32_e32 v144, s22
	s_xor_b32 exec_lo, exec_lo, s23
	s_cbranch_execnz .LBB6_4084
.LBB6_3061:                             ;   in Loop: Header=BB6_3059 Depth=2
	s_or_b32 exec_lo, exec_lo, s23
	s_and_saveexec_b32 s22, s7
	s_cbranch_execz .LBB6_3063
.LBB6_3062:                             ;   in Loop: Header=BB6_3059 Depth=2
	v_bfe_u32 v147, v48, 2, 5
	v_lshlrev_b32_e32 v148, 24, v48
	s_delay_alu instid0(VALU_DEP_2) | instskip(SKIP_1) | instid1(VALU_DEP_1)
	v_cmp_eq_u32_e32 vcc_lo, 0, v147
	v_and_b32_e32 v144, 3, v48
	v_clz_i32_u32_e32 v145, v144
	s_delay_alu instid0(VALU_DEP_1) | instskip(NEXT) | instid1(VALU_DEP_1)
	v_min_u32_e32 v145, 32, v145
	v_subrev_nc_u32_e32 v146, 29, v145
	v_sub_nc_u32_e32 v145, 30, v145
	s_delay_alu instid0(VALU_DEP_1) | instskip(NEXT) | instid1(VALU_DEP_1)
	v_dual_cndmask_b32 v145, v147, v145 :: v_dual_lshlrev_b32 v146, v146, v48
	v_and_b32_e32 v146, 3, v146
	s_delay_alu instid0(VALU_DEP_2) | instskip(NEXT) | instid1(VALU_DEP_2)
	v_lshl_add_u32 v145, v145, 23, 0x37800000
	v_cndmask_b32_e32 v144, v144, v146, vcc_lo
	v_and_b32_e32 v146, 0x80000000, v148
	s_delay_alu instid0(VALU_DEP_2) | instskip(NEXT) | instid1(VALU_DEP_1)
	v_lshlrev_b32_e32 v144, 21, v144
	v_or3_b32 v144, v146, v145, v144
.LBB6_3063:                             ;   in Loop: Header=BB6_3059 Depth=2
	s_or_b32 exec_lo, exec_lo, s22
	s_waitcnt vmcnt(3)
	v_and_b32_e32 v146, 0xff, v36
	s_mov_b32 s7, 0
	s_mov_b32 s23, exec_lo
                                        ; implicit-def: $sgpr22
	s_delay_alu instid0(VALU_DEP_1)
	v_cmpx_lt_i16_e64 0x7f, v146
	s_xor_b32 s23, exec_lo, s23
	s_cbranch_execnz .LBB6_4085
; %bb.3064:                             ;   in Loop: Header=BB6_3059 Depth=2
	s_or_saveexec_b32 s23, s23
	v_mov_b32_e32 v145, s22
	s_xor_b32 exec_lo, exec_lo, s23
	s_cbranch_execnz .LBB6_4088
.LBB6_3065:                             ;   in Loop: Header=BB6_3059 Depth=2
	s_or_b32 exec_lo, exec_lo, s23
	s_and_saveexec_b32 s22, s7
	s_cbranch_execz .LBB6_3067
.LBB6_3066:                             ;   in Loop: Header=BB6_3059 Depth=2
	v_bfe_u32 v148, v36, 2, 5
	v_lshlrev_b32_e32 v149, 24, v36
	s_delay_alu instid0(VALU_DEP_2) | instskip(SKIP_1) | instid1(VALU_DEP_1)
	v_cmp_eq_u32_e32 vcc_lo, 0, v148
	v_and_b32_e32 v145, 3, v36
	v_clz_i32_u32_e32 v146, v145
	s_delay_alu instid0(VALU_DEP_1) | instskip(NEXT) | instid1(VALU_DEP_1)
	v_min_u32_e32 v146, 32, v146
	v_subrev_nc_u32_e32 v147, 29, v146
	v_sub_nc_u32_e32 v146, 30, v146
	s_delay_alu instid0(VALU_DEP_1) | instskip(NEXT) | instid1(VALU_DEP_1)
	v_dual_cndmask_b32 v146, v148, v146 :: v_dual_lshlrev_b32 v147, v147, v36
	v_and_b32_e32 v147, 3, v147
	s_delay_alu instid0(VALU_DEP_2) | instskip(NEXT) | instid1(VALU_DEP_2)
	v_lshl_add_u32 v146, v146, 23, 0x37800000
	v_cndmask_b32_e32 v145, v145, v147, vcc_lo
	v_and_b32_e32 v147, 0x80000000, v149
	s_delay_alu instid0(VALU_DEP_2) | instskip(NEXT) | instid1(VALU_DEP_1)
	v_lshlrev_b32_e32 v145, 21, v145
	v_or3_b32 v145, v147, v146, v145
.LBB6_3067:                             ;   in Loop: Header=BB6_3059 Depth=2
	s_or_b32 exec_lo, exec_lo, s22
	s_delay_alu instid0(VALU_DEP_1) | instskip(NEXT) | instid1(VALU_DEP_1)
	v_mul_f32_e32 v145, v144, v145
	v_and_b32_e32 v144, 0x7f800000, v145
	s_delay_alu instid0(VALU_DEP_1)
	v_cmp_ne_u32_e32 vcc_lo, 0x7f800000, v144
	v_mov_b32_e32 v144, 0x80
	s_and_saveexec_b32 s22, vcc_lo
	s_cbranch_execz .LBB6_3075
; %bb.3068:                             ;   in Loop: Header=BB6_3059 Depth=2
	v_mov_b32_e32 v144, 0
	s_mov_b32 s23, exec_lo
	v_cmpx_ne_u32_e32 0, v145
	s_cbranch_execz .LBB6_3074
; %bb.3069:                             ;   in Loop: Header=BB6_3059 Depth=2
	v_bfe_u32 v144, v145, 23, 8
	s_delay_alu instid0(VALU_DEP_1) | instskip(SKIP_1) | instid1(VALU_DEP_2)
	v_sub_nc_u32_e32 v147, 0x70, v144
	v_cmp_gt_u32_e32 vcc_lo, 0x71, v144
	v_dual_cndmask_b32 v147, 0, v147 :: v_dual_and_b32 v146, 0x7fffff, v145
	s_delay_alu instid0(VALU_DEP_1) | instskip(SKIP_2) | instid1(VALU_DEP_4)
	v_or_b32_e32 v148, 0x800000, v146
	v_cmp_eq_u32_e32 vcc_lo, 0, v144
	v_add_nc_u32_e32 v144, 0xffffff91, v144
	v_cndmask_b32_e64 v147, v147, 0x6f, vcc_lo
	s_delay_alu instid0(VALU_DEP_2) | instskip(SKIP_1) | instid1(VALU_DEP_3)
	v_cndmask_b32_e64 v144, v144, 0xffffff92, vcc_lo
	v_cndmask_b32_e32 v146, v148, v146, vcc_lo
	v_lshl_add_u32 v148, 0x200000, v147, -1
	v_lshlrev_b32_e64 v151, v147, 0x100000
	s_delay_alu instid0(VALU_DEP_3) | instskip(SKIP_1) | instid1(VALU_DEP_4)
	v_lshrrev_b32_e32 v149, v147, v146
	v_add_nc_u32_e32 v147, v147, v144
	v_and_b32_e32 v146, v148, v146
	s_delay_alu instid0(VALU_DEP_3) | instskip(NEXT) | instid1(VALU_DEP_2)
	v_bfe_u32 v150, v149, 21, 1
	v_cmp_eq_u32_e64 s7, v146, v151
	s_delay_alu instid0(VALU_DEP_2) | instskip(NEXT) | instid1(VALU_DEP_1)
	v_add_nc_u32_e32 v148, -1, v150
	v_cndmask_b32_e64 v146, 0, v148, s7
	v_lshrrev_b32_e32 v148, 23, v149
	s_mov_b32 s7, exec_lo
	s_delay_alu instid0(VALU_DEP_2) | instskip(NEXT) | instid1(VALU_DEP_2)
	v_add_nc_u32_e32 v146, v146, v149
	v_xor_b32_e32 v148, 1, v148
	s_delay_alu instid0(VALU_DEP_2) | instskip(NEXT) | instid1(VALU_DEP_1)
	v_and_b32_e32 v144, 0x1fffff, v146
	v_add_nc_u32_e32 v146, v144, v149
                                        ; implicit-def: $vgpr144
	s_delay_alu instid0(VALU_DEP_3)
	v_cmpx_ne_u32_e64 v147, v148
	s_xor_b32 s7, exec_lo, s7
; %bb.3070:                             ;   in Loop: Header=BB6_3059 Depth=2
	s_delay_alu instid0(VALU_DEP_2) | instskip(SKIP_2) | instid1(VALU_DEP_2)
	v_cmp_lt_u32_e32 vcc_lo, 0xffffff, v146
	v_sub_nc_u32_e32 v144, v147, v148
	v_cndmask_b32_e64 v147, 0, 1, vcc_lo
	v_add_co_ci_u32_e32 v144, vcc_lo, 0, v144, vcc_lo
	s_delay_alu instid0(VALU_DEP_2)
	v_lshrrev_b32_e32 v146, v147, v146
; %bb.3071:                             ;   in Loop: Header=BB6_3059 Depth=2
	s_and_not1_saveexec_b32 s7, s7
; %bb.3072:                             ;   in Loop: Header=BB6_3059 Depth=2
	s_delay_alu instid0(VALU_DEP_1)
	v_bfe_u32 v144, v146, 23, 1
; %bb.3073:                             ;   in Loop: Header=BB6_3059 Depth=2
	s_or_b32 exec_lo, exec_lo, s7
	v_lshrrev_b32_e32 v146, 21, v146
	s_delay_alu instid0(VALU_DEP_2) | instskip(SKIP_2) | instid1(VALU_DEP_2)
	v_cmp_gt_i32_e32 vcc_lo, 32, v144
	v_lshrrev_b32_e32 v145, 24, v145
	v_min_i32_e32 v147, 31, v144
	v_dual_cndmask_b32 v146, 3, v146 :: v_dual_and_b32 v145, 0x80, v145
	s_delay_alu instid0(VALU_DEP_1) | instskip(SKIP_1) | instid1(VALU_DEP_2)
	v_or_b32_e32 v144, v144, v146
	v_and_b32_e32 v148, 3, v146
	v_cmp_ne_u32_e32 vcc_lo, 0, v144
	v_lshlrev_b32_e32 v147, 2, v147
	s_delay_alu instid0(VALU_DEP_1) | instskip(NEXT) | instid1(VALU_DEP_1)
	v_or3_b32 v145, v147, v145, v148
	v_cndmask_b32_e32 v144, 0, v145, vcc_lo
.LBB6_3074:                             ;   in Loop: Header=BB6_3059 Depth=2
	s_or_b32 exec_lo, exec_lo, s23
.LBB6_3075:                             ;   in Loop: Header=BB6_3059 Depth=2
	s_delay_alu instid0(SALU_CYCLE_1) | instskip(SKIP_3) | instid1(VALU_DEP_1)
	s_or_b32 exec_lo, exec_lo, s22
	v_lshrrev_b16 v146, 8, v48
	s_mov_b32 s7, 0
	s_mov_b32 s23, exec_lo
                                        ; implicit-def: $sgpr22
	v_cmpx_lt_i16_e64 0x7f, v146
	s_xor_b32 s23, exec_lo, s23
	s_cbranch_execnz .LBB6_4089
; %bb.3076:                             ;   in Loop: Header=BB6_3059 Depth=2
	s_or_saveexec_b32 s23, s23
	v_mov_b32_e32 v145, s22
	s_xor_b32 exec_lo, exec_lo, s23
	s_cbranch_execnz .LBB6_4092
.LBB6_3077:                             ;   in Loop: Header=BB6_3059 Depth=2
	s_or_b32 exec_lo, exec_lo, s23
	s_and_saveexec_b32 s22, s7
	s_cbranch_execz .LBB6_3079
.LBB6_3078:                             ;   in Loop: Header=BB6_3059 Depth=2
	v_and_b32_e32 v145, 0xffff, v146
	s_delay_alu instid0(VALU_DEP_1) | instskip(NEXT) | instid1(VALU_DEP_1)
	v_and_b32_e32 v147, 3, v145
	v_clz_i32_u32_e32 v148, v147
	s_delay_alu instid0(VALU_DEP_1) | instskip(NEXT) | instid1(VALU_DEP_1)
	v_min_u32_e32 v148, 32, v148
	v_subrev_nc_u32_e32 v149, 29, v148
	v_sub_nc_u32_e32 v148, 30, v148
	s_delay_alu instid0(VALU_DEP_2) | instskip(SKIP_1) | instid1(VALU_DEP_2)
	v_lshlrev_b32_e32 v149, v149, v145
	v_bfe_u32 v145, v145, 2, 5
	v_and_b32_e32 v149, 3, v149
	s_delay_alu instid0(VALU_DEP_2) | instskip(SKIP_1) | instid1(VALU_DEP_1)
	v_cmp_eq_u32_e32 vcc_lo, 0, v145
	v_dual_cndmask_b32 v145, v145, v148 :: v_dual_lshlrev_b32 v146, 24, v146
	v_dual_cndmask_b32 v147, v147, v149 :: v_dual_and_b32 v146, 0x80000000, v146
	s_delay_alu instid0(VALU_DEP_2) | instskip(NEXT) | instid1(VALU_DEP_2)
	v_lshl_add_u32 v145, v145, 23, 0x37800000
	v_lshlrev_b32_e32 v147, 21, v147
	s_delay_alu instid0(VALU_DEP_1)
	v_or3_b32 v145, v146, v145, v147
.LBB6_3079:                             ;   in Loop: Header=BB6_3059 Depth=2
	s_or_b32 exec_lo, exec_lo, s22
	v_lshrrev_b16 v146, 8, v36
	s_mov_b32 s7, 0
	s_mov_b32 s23, exec_lo
                                        ; implicit-def: $sgpr22
	s_delay_alu instid0(VALU_DEP_1)
	v_cmpx_lt_i16_e64 0x7f, v146
	s_xor_b32 s23, exec_lo, s23
	s_cbranch_execnz .LBB6_4093
; %bb.3080:                             ;   in Loop: Header=BB6_3059 Depth=2
	s_or_saveexec_b32 s23, s23
	v_mov_b32_e32 v147, s22
	s_xor_b32 exec_lo, exec_lo, s23
	s_cbranch_execnz .LBB6_4096
.LBB6_3081:                             ;   in Loop: Header=BB6_3059 Depth=2
	s_or_b32 exec_lo, exec_lo, s23
	s_and_saveexec_b32 s22, s7
	s_cbranch_execz .LBB6_3083
.LBB6_3082:                             ;   in Loop: Header=BB6_3059 Depth=2
	v_and_b32_e32 v147, 0xffff, v146
	v_lshlrev_b32_e32 v146, 24, v146
	s_delay_alu instid0(VALU_DEP_2) | instskip(NEXT) | instid1(VALU_DEP_2)
	v_and_b32_e32 v148, 3, v147
	v_and_b32_e32 v146, 0x80000000, v146
	s_delay_alu instid0(VALU_DEP_2) | instskip(NEXT) | instid1(VALU_DEP_1)
	v_clz_i32_u32_e32 v149, v148
	v_min_u32_e32 v149, 32, v149
	s_delay_alu instid0(VALU_DEP_1) | instskip(SKIP_1) | instid1(VALU_DEP_2)
	v_subrev_nc_u32_e32 v150, 29, v149
	v_sub_nc_u32_e32 v149, 30, v149
	v_lshlrev_b32_e32 v150, v150, v147
	v_bfe_u32 v147, v147, 2, 5
	s_delay_alu instid0(VALU_DEP_2) | instskip(NEXT) | instid1(VALU_DEP_2)
	v_and_b32_e32 v150, 3, v150
	v_cmp_eq_u32_e32 vcc_lo, 0, v147
	s_delay_alu instid0(VALU_DEP_2) | instskip(NEXT) | instid1(VALU_DEP_1)
	v_dual_cndmask_b32 v147, v147, v149 :: v_dual_cndmask_b32 v148, v148, v150
	v_lshl_add_u32 v147, v147, 23, 0x37800000
	s_delay_alu instid0(VALU_DEP_2) | instskip(NEXT) | instid1(VALU_DEP_1)
	v_lshlrev_b32_e32 v148, 21, v148
	v_or3_b32 v147, v146, v147, v148
.LBB6_3083:                             ;   in Loop: Header=BB6_3059 Depth=2
	s_or_b32 exec_lo, exec_lo, s22
	s_delay_alu instid0(VALU_DEP_1) | instskip(NEXT) | instid1(VALU_DEP_1)
	v_mul_f32_e32 v146, v145, v147
	v_and_b32_e32 v145, 0x7f800000, v146
	s_delay_alu instid0(VALU_DEP_1)
	v_cmp_ne_u32_e32 vcc_lo, 0x7f800000, v145
	v_mov_b32_e32 v145, 0x80
	s_and_saveexec_b32 s22, vcc_lo
	s_cbranch_execz .LBB6_3091
; %bb.3084:                             ;   in Loop: Header=BB6_3059 Depth=2
	v_mov_b32_e32 v145, 0
	s_mov_b32 s23, exec_lo
	v_cmpx_ne_u32_e32 0, v146
	s_cbranch_execz .LBB6_3090
; %bb.3085:                             ;   in Loop: Header=BB6_3059 Depth=2
	v_bfe_u32 v145, v146, 23, 8
	s_delay_alu instid0(VALU_DEP_1) | instskip(SKIP_1) | instid1(VALU_DEP_2)
	v_sub_nc_u32_e32 v148, 0x70, v145
	v_cmp_gt_u32_e32 vcc_lo, 0x71, v145
	v_dual_cndmask_b32 v148, 0, v148 :: v_dual_and_b32 v147, 0x7fffff, v146
	s_delay_alu instid0(VALU_DEP_1) | instskip(SKIP_2) | instid1(VALU_DEP_4)
	v_or_b32_e32 v149, 0x800000, v147
	v_cmp_eq_u32_e32 vcc_lo, 0, v145
	v_add_nc_u32_e32 v145, 0xffffff91, v145
	v_cndmask_b32_e64 v148, v148, 0x6f, vcc_lo
	s_delay_alu instid0(VALU_DEP_2) | instskip(SKIP_1) | instid1(VALU_DEP_3)
	v_cndmask_b32_e64 v145, v145, 0xffffff92, vcc_lo
	v_cndmask_b32_e32 v147, v149, v147, vcc_lo
	v_lshl_add_u32 v149, 0x200000, v148, -1
	v_lshlrev_b32_e64 v160, v148, 0x100000
	s_delay_alu instid0(VALU_DEP_3) | instskip(SKIP_1) | instid1(VALU_DEP_4)
	v_lshrrev_b32_e32 v150, v148, v147
	v_add_nc_u32_e32 v148, v148, v145
	v_and_b32_e32 v147, v149, v147
	s_delay_alu instid0(VALU_DEP_3) | instskip(NEXT) | instid1(VALU_DEP_2)
	v_bfe_u32 v151, v150, 21, 1
	v_cmp_eq_u32_e64 s7, v147, v160
	s_delay_alu instid0(VALU_DEP_2) | instskip(NEXT) | instid1(VALU_DEP_1)
	v_add_nc_u32_e32 v149, -1, v151
	v_cndmask_b32_e64 v147, 0, v149, s7
	v_lshrrev_b32_e32 v149, 23, v150
	s_mov_b32 s7, exec_lo
	s_delay_alu instid0(VALU_DEP_2) | instskip(NEXT) | instid1(VALU_DEP_2)
	v_add_nc_u32_e32 v147, v147, v150
	v_xor_b32_e32 v149, 1, v149
	s_delay_alu instid0(VALU_DEP_2) | instskip(NEXT) | instid1(VALU_DEP_1)
	v_and_b32_e32 v145, 0x1fffff, v147
	v_add_nc_u32_e32 v147, v145, v150
                                        ; implicit-def: $vgpr145
	s_delay_alu instid0(VALU_DEP_3)
	v_cmpx_ne_u32_e64 v148, v149
	s_xor_b32 s7, exec_lo, s7
; %bb.3086:                             ;   in Loop: Header=BB6_3059 Depth=2
	s_delay_alu instid0(VALU_DEP_2) | instskip(SKIP_2) | instid1(VALU_DEP_2)
	v_cmp_lt_u32_e32 vcc_lo, 0xffffff, v147
	v_sub_nc_u32_e32 v145, v148, v149
	v_cndmask_b32_e64 v148, 0, 1, vcc_lo
	v_add_co_ci_u32_e32 v145, vcc_lo, 0, v145, vcc_lo
	s_delay_alu instid0(VALU_DEP_2)
	v_lshrrev_b32_e32 v147, v148, v147
; %bb.3087:                             ;   in Loop: Header=BB6_3059 Depth=2
	s_and_not1_saveexec_b32 s7, s7
; %bb.3088:                             ;   in Loop: Header=BB6_3059 Depth=2
	s_delay_alu instid0(VALU_DEP_1)
	v_bfe_u32 v145, v147, 23, 1
; %bb.3089:                             ;   in Loop: Header=BB6_3059 Depth=2
	s_or_b32 exec_lo, exec_lo, s7
	v_lshrrev_b32_e32 v147, 21, v147
	s_delay_alu instid0(VALU_DEP_2) | instskip(SKIP_2) | instid1(VALU_DEP_2)
	v_cmp_gt_i32_e32 vcc_lo, 32, v145
	v_lshrrev_b32_e32 v146, 24, v146
	v_min_i32_e32 v148, 31, v145
	v_dual_cndmask_b32 v147, 3, v147 :: v_dual_and_b32 v146, 0x80, v146
	s_delay_alu instid0(VALU_DEP_1) | instskip(SKIP_1) | instid1(VALU_DEP_2)
	v_or_b32_e32 v145, v145, v147
	v_and_b32_e32 v149, 3, v147
	v_cmp_ne_u32_e32 vcc_lo, 0, v145
	v_lshlrev_b32_e32 v148, 2, v148
	s_delay_alu instid0(VALU_DEP_1) | instskip(NEXT) | instid1(VALU_DEP_1)
	v_or3_b32 v146, v148, v146, v149
	v_cndmask_b32_e32 v145, 0, v146, vcc_lo
.LBB6_3090:                             ;   in Loop: Header=BB6_3059 Depth=2
	s_or_b32 exec_lo, exec_lo, s23
.LBB6_3091:                             ;   in Loop: Header=BB6_3059 Depth=2
	s_delay_alu instid0(SALU_CYCLE_1) | instskip(SKIP_3) | instid1(VALU_DEP_1)
	s_or_b32 exec_lo, exec_lo, s22
	v_lshrrev_b32_e32 v147, 16, v48
	s_mov_b32 s7, 0
	s_mov_b32 s23, exec_lo
                                        ; implicit-def: $sgpr22
	v_and_b32_e32 v148, 0xff, v147
	s_delay_alu instid0(VALU_DEP_1)
	v_cmpx_lt_i16_e64 0x7f, v148
	s_xor_b32 s23, exec_lo, s23
	s_cbranch_execnz .LBB6_4097
; %bb.3092:                             ;   in Loop: Header=BB6_3059 Depth=2
	s_or_saveexec_b32 s23, s23
	v_mov_b32_e32 v146, s22
	s_xor_b32 exec_lo, exec_lo, s23
	s_cbranch_execnz .LBB6_4100
.LBB6_3093:                             ;   in Loop: Header=BB6_3059 Depth=2
	s_or_b32 exec_lo, exec_lo, s23
	s_and_saveexec_b32 s22, s7
	s_cbranch_execz .LBB6_3095
.LBB6_3094:                             ;   in Loop: Header=BB6_3059 Depth=2
	v_bfe_u32 v146, v48, 16, 2
	v_lshlrev_b32_e32 v150, 8, v48
	s_delay_alu instid0(VALU_DEP_2) | instskip(NEXT) | instid1(VALU_DEP_1)
	v_clz_i32_u32_e32 v148, v146
	v_min_u32_e32 v148, 32, v148
	s_delay_alu instid0(VALU_DEP_1) | instskip(SKIP_1) | instid1(VALU_DEP_2)
	v_subrev_nc_u32_e32 v149, 29, v148
	v_sub_nc_u32_e32 v148, 30, v148
	v_lshlrev_b32_e32 v147, v149, v147
	v_bfe_u32 v149, v48, 18, 5
	s_delay_alu instid0(VALU_DEP_1) | instskip(NEXT) | instid1(VALU_DEP_3)
	v_cmp_eq_u32_e32 vcc_lo, 0, v149
	v_dual_cndmask_b32 v148, v149, v148 :: v_dual_and_b32 v147, 3, v147
	s_delay_alu instid0(VALU_DEP_1) | instskip(NEXT) | instid1(VALU_DEP_2)
	v_dual_cndmask_b32 v146, v146, v147 :: v_dual_and_b32 v147, 0x80000000, v150
	v_lshl_add_u32 v148, v148, 23, 0x37800000
	s_delay_alu instid0(VALU_DEP_2) | instskip(NEXT) | instid1(VALU_DEP_1)
	v_lshlrev_b32_e32 v146, 21, v146
	v_or3_b32 v146, v147, v148, v146
.LBB6_3095:                             ;   in Loop: Header=BB6_3059 Depth=2
	s_or_b32 exec_lo, exec_lo, s22
	v_lshrrev_b32_e32 v147, 16, v36
	s_mov_b32 s7, 0
	s_mov_b32 s23, exec_lo
                                        ; implicit-def: $sgpr22
	s_delay_alu instid0(VALU_DEP_1) | instskip(NEXT) | instid1(VALU_DEP_1)
	v_and_b32_e32 v149, 0xff, v147
	v_cmpx_lt_i16_e64 0x7f, v149
	s_xor_b32 s23, exec_lo, s23
	s_cbranch_execnz .LBB6_4101
; %bb.3096:                             ;   in Loop: Header=BB6_3059 Depth=2
	s_or_saveexec_b32 s23, s23
	v_mov_b32_e32 v148, s22
	s_xor_b32 exec_lo, exec_lo, s23
	s_cbranch_execnz .LBB6_4104
.LBB6_3097:                             ;   in Loop: Header=BB6_3059 Depth=2
	s_or_b32 exec_lo, exec_lo, s23
	s_and_saveexec_b32 s22, s7
	s_cbranch_execz .LBB6_3099
.LBB6_3098:                             ;   in Loop: Header=BB6_3059 Depth=2
	v_bfe_u32 v148, v36, 16, 2
	v_lshlrev_b32_e32 v151, 8, v36
	s_delay_alu instid0(VALU_DEP_2) | instskip(NEXT) | instid1(VALU_DEP_1)
	v_clz_i32_u32_e32 v149, v148
	v_min_u32_e32 v149, 32, v149
	s_delay_alu instid0(VALU_DEP_1) | instskip(SKIP_1) | instid1(VALU_DEP_2)
	v_subrev_nc_u32_e32 v150, 29, v149
	v_sub_nc_u32_e32 v149, 30, v149
	v_lshlrev_b32_e32 v147, v150, v147
	v_bfe_u32 v150, v36, 18, 5
	s_delay_alu instid0(VALU_DEP_2) | instskip(NEXT) | instid1(VALU_DEP_2)
	v_and_b32_e32 v147, 3, v147
	v_cmp_eq_u32_e32 vcc_lo, 0, v150
	v_cndmask_b32_e32 v149, v150, v149, vcc_lo
	s_delay_alu instid0(VALU_DEP_3) | instskip(SKIP_1) | instid1(VALU_DEP_3)
	v_cndmask_b32_e32 v147, v148, v147, vcc_lo
	v_and_b32_e32 v148, 0x80000000, v151
	v_lshl_add_u32 v149, v149, 23, 0x37800000
	s_delay_alu instid0(VALU_DEP_3) | instskip(NEXT) | instid1(VALU_DEP_1)
	v_lshlrev_b32_e32 v147, 21, v147
	v_or3_b32 v148, v148, v149, v147
.LBB6_3099:                             ;   in Loop: Header=BB6_3059 Depth=2
	s_or_b32 exec_lo, exec_lo, s22
	s_delay_alu instid0(VALU_DEP_1) | instskip(NEXT) | instid1(VALU_DEP_1)
	v_mul_f32_e32 v147, v146, v148
	v_and_b32_e32 v146, 0x7f800000, v147
	s_delay_alu instid0(VALU_DEP_1)
	v_cmp_ne_u32_e32 vcc_lo, 0x7f800000, v146
	v_mov_b32_e32 v146, 0x80
	s_and_saveexec_b32 s22, vcc_lo
	s_cbranch_execz .LBB6_3107
; %bb.3100:                             ;   in Loop: Header=BB6_3059 Depth=2
	v_mov_b32_e32 v146, 0
	s_mov_b32 s23, exec_lo
	v_cmpx_ne_u32_e32 0, v147
	s_cbranch_execz .LBB6_3106
; %bb.3101:                             ;   in Loop: Header=BB6_3059 Depth=2
	v_bfe_u32 v146, v147, 23, 8
	s_delay_alu instid0(VALU_DEP_1) | instskip(SKIP_1) | instid1(VALU_DEP_2)
	v_sub_nc_u32_e32 v149, 0x70, v146
	v_cmp_gt_u32_e32 vcc_lo, 0x71, v146
	v_dual_cndmask_b32 v149, 0, v149 :: v_dual_and_b32 v148, 0x7fffff, v147
	s_delay_alu instid0(VALU_DEP_1) | instskip(SKIP_2) | instid1(VALU_DEP_4)
	v_or_b32_e32 v150, 0x800000, v148
	v_cmp_eq_u32_e32 vcc_lo, 0, v146
	v_add_nc_u32_e32 v146, 0xffffff91, v146
	v_cndmask_b32_e64 v149, v149, 0x6f, vcc_lo
	s_delay_alu instid0(VALU_DEP_2) | instskip(SKIP_1) | instid1(VALU_DEP_3)
	v_cndmask_b32_e64 v146, v146, 0xffffff92, vcc_lo
	v_cndmask_b32_e32 v148, v150, v148, vcc_lo
	v_lshl_add_u32 v150, 0x200000, v149, -1
	v_lshlrev_b32_e64 v161, v149, 0x100000
	s_delay_alu instid0(VALU_DEP_3) | instskip(SKIP_1) | instid1(VALU_DEP_4)
	v_lshrrev_b32_e32 v151, v149, v148
	v_add_nc_u32_e32 v149, v149, v146
	v_and_b32_e32 v148, v150, v148
	s_delay_alu instid0(VALU_DEP_3) | instskip(NEXT) | instid1(VALU_DEP_2)
	v_bfe_u32 v160, v151, 21, 1
	v_cmp_eq_u32_e64 s7, v148, v161
	s_delay_alu instid0(VALU_DEP_2) | instskip(NEXT) | instid1(VALU_DEP_1)
	v_add_nc_u32_e32 v150, -1, v160
	v_cndmask_b32_e64 v148, 0, v150, s7
	v_lshrrev_b32_e32 v150, 23, v151
	s_mov_b32 s7, exec_lo
	s_delay_alu instid0(VALU_DEP_2) | instskip(NEXT) | instid1(VALU_DEP_2)
	v_add_nc_u32_e32 v148, v148, v151
	v_xor_b32_e32 v150, 1, v150
	s_delay_alu instid0(VALU_DEP_2) | instskip(NEXT) | instid1(VALU_DEP_1)
	v_and_b32_e32 v146, 0x1fffff, v148
	v_add_nc_u32_e32 v148, v146, v151
                                        ; implicit-def: $vgpr146
	s_delay_alu instid0(VALU_DEP_3)
	v_cmpx_ne_u32_e64 v149, v150
	s_xor_b32 s7, exec_lo, s7
; %bb.3102:                             ;   in Loop: Header=BB6_3059 Depth=2
	s_delay_alu instid0(VALU_DEP_2) | instskip(SKIP_2) | instid1(VALU_DEP_2)
	v_cmp_lt_u32_e32 vcc_lo, 0xffffff, v148
	v_sub_nc_u32_e32 v146, v149, v150
	v_cndmask_b32_e64 v149, 0, 1, vcc_lo
	v_add_co_ci_u32_e32 v146, vcc_lo, 0, v146, vcc_lo
	s_delay_alu instid0(VALU_DEP_2)
	v_lshrrev_b32_e32 v148, v149, v148
; %bb.3103:                             ;   in Loop: Header=BB6_3059 Depth=2
	s_and_not1_saveexec_b32 s7, s7
; %bb.3104:                             ;   in Loop: Header=BB6_3059 Depth=2
	s_delay_alu instid0(VALU_DEP_1)
	v_bfe_u32 v146, v148, 23, 1
; %bb.3105:                             ;   in Loop: Header=BB6_3059 Depth=2
	s_or_b32 exec_lo, exec_lo, s7
	v_lshrrev_b32_e32 v148, 21, v148
	s_delay_alu instid0(VALU_DEP_2) | instskip(SKIP_2) | instid1(VALU_DEP_2)
	v_cmp_gt_i32_e32 vcc_lo, 32, v146
	v_lshrrev_b32_e32 v147, 24, v147
	v_min_i32_e32 v149, 31, v146
	v_dual_cndmask_b32 v148, 3, v148 :: v_dual_and_b32 v147, 0x80, v147
	s_delay_alu instid0(VALU_DEP_1) | instskip(SKIP_1) | instid1(VALU_DEP_2)
	v_or_b32_e32 v146, v146, v148
	v_and_b32_e32 v150, 3, v148
	v_cmp_ne_u32_e32 vcc_lo, 0, v146
	v_lshlrev_b32_e32 v149, 2, v149
	s_delay_alu instid0(VALU_DEP_1) | instskip(NEXT) | instid1(VALU_DEP_1)
	v_or3_b32 v147, v149, v147, v150
	v_cndmask_b32_e32 v146, 0, v147, vcc_lo
.LBB6_3106:                             ;   in Loop: Header=BB6_3059 Depth=2
	s_or_b32 exec_lo, exec_lo, s23
.LBB6_3107:                             ;   in Loop: Header=BB6_3059 Depth=2
	s_delay_alu instid0(SALU_CYCLE_1) | instskip(SKIP_3) | instid1(VALU_DEP_1)
	s_or_b32 exec_lo, exec_lo, s22
	v_lshrrev_b32_e32 v148, 24, v48
	s_mov_b32 s7, 0
	s_mov_b32 s23, exec_lo
                                        ; implicit-def: $sgpr22
	v_cmpx_lt_i16_e64 0x7f, v148
	s_xor_b32 s23, exec_lo, s23
	s_cbranch_execnz .LBB6_4105
; %bb.3108:                             ;   in Loop: Header=BB6_3059 Depth=2
	s_or_saveexec_b32 s23, s23
	v_mov_b32_e32 v147, s22
	s_xor_b32 exec_lo, exec_lo, s23
	s_cbranch_execnz .LBB6_4108
.LBB6_3109:                             ;   in Loop: Header=BB6_3059 Depth=2
	s_or_b32 exec_lo, exec_lo, s23
	s_and_saveexec_b32 s22, s7
	s_cbranch_execz .LBB6_3111
.LBB6_3110:                             ;   in Loop: Header=BB6_3059 Depth=2
	v_bfe_u32 v147, v48, 24, 2
	s_delay_alu instid0(VALU_DEP_1) | instskip(NEXT) | instid1(VALU_DEP_1)
	v_clz_i32_u32_e32 v149, v147
	v_min_u32_e32 v149, 32, v149
	s_delay_alu instid0(VALU_DEP_1) | instskip(SKIP_1) | instid1(VALU_DEP_2)
	v_subrev_nc_u32_e32 v150, 29, v149
	v_sub_nc_u32_e32 v149, 30, v149
	v_lshlrev_b32_e32 v148, v150, v148
	v_bfe_u32 v150, v48, 26, 5
	v_and_b32_e32 v48, 0x80000000, v48
	s_delay_alu instid0(VALU_DEP_2) | instskip(NEXT) | instid1(VALU_DEP_4)
	v_cmp_eq_u32_e32 vcc_lo, 0, v150
	v_dual_cndmask_b32 v149, v150, v149 :: v_dual_and_b32 v148, 3, v148
	s_delay_alu instid0(VALU_DEP_1) | instskip(NEXT) | instid1(VALU_DEP_2)
	v_cndmask_b32_e32 v147, v147, v148, vcc_lo
	v_lshl_add_u32 v148, v149, 23, 0x37800000
	s_delay_alu instid0(VALU_DEP_2) | instskip(NEXT) | instid1(VALU_DEP_1)
	v_lshlrev_b32_e32 v147, 21, v147
	v_or3_b32 v147, v48, v148, v147
.LBB6_3111:                             ;   in Loop: Header=BB6_3059 Depth=2
	s_or_b32 exec_lo, exec_lo, s22
	v_lshrrev_b32_e32 v48, 24, v36
	s_mov_b32 s7, 0
	s_mov_b32 s23, exec_lo
                                        ; implicit-def: $sgpr22
	s_delay_alu instid0(VALU_DEP_1)
	v_cmpx_lt_i16_e32 0x7f, v48
	s_xor_b32 s23, exec_lo, s23
	s_cbranch_execnz .LBB6_4109
; %bb.3112:                             ;   in Loop: Header=BB6_3059 Depth=2
	s_or_saveexec_b32 s23, s23
	v_mov_b32_e32 v148, s22
	s_xor_b32 exec_lo, exec_lo, s23
	s_cbranch_execnz .LBB6_4112
.LBB6_3113:                             ;   in Loop: Header=BB6_3059 Depth=2
	s_or_b32 exec_lo, exec_lo, s23
	s_and_saveexec_b32 s22, s7
	s_cbranch_execz .LBB6_3115
.LBB6_3114:                             ;   in Loop: Header=BB6_3059 Depth=2
	v_bfe_u32 v148, v36, 24, 2
	s_delay_alu instid0(VALU_DEP_1) | instskip(NEXT) | instid1(VALU_DEP_1)
	v_clz_i32_u32_e32 v149, v148
	v_min_u32_e32 v149, 32, v149
	s_delay_alu instid0(VALU_DEP_1) | instskip(SKIP_1) | instid1(VALU_DEP_2)
	v_subrev_nc_u32_e32 v150, 29, v149
	v_sub_nc_u32_e32 v149, 30, v149
	v_lshlrev_b32_e32 v48, v150, v48
	v_bfe_u32 v150, v36, 26, 5
	v_and_b32_e32 v36, 0x80000000, v36
	s_delay_alu instid0(VALU_DEP_2) | instskip(NEXT) | instid1(VALU_DEP_4)
	v_cmp_eq_u32_e32 vcc_lo, 0, v150
	v_dual_cndmask_b32 v149, v150, v149 :: v_dual_and_b32 v48, 3, v48
	s_delay_alu instid0(VALU_DEP_1) | instskip(NEXT) | instid1(VALU_DEP_2)
	v_cndmask_b32_e32 v48, v148, v48, vcc_lo
	v_lshl_add_u32 v148, v149, 23, 0x37800000
	s_delay_alu instid0(VALU_DEP_2) | instskip(NEXT) | instid1(VALU_DEP_1)
	v_lshlrev_b32_e32 v48, 21, v48
	v_or3_b32 v148, v36, v148, v48
.LBB6_3115:                             ;   in Loop: Header=BB6_3059 Depth=2
	s_or_b32 exec_lo, exec_lo, s22
	s_delay_alu instid0(VALU_DEP_1) | instskip(NEXT) | instid1(VALU_DEP_1)
	v_mul_f32_e32 v48, v147, v148
	v_and_b32_e32 v36, 0x7f800000, v48
	s_delay_alu instid0(VALU_DEP_1)
	v_cmp_ne_u32_e32 vcc_lo, 0x7f800000, v36
	v_mov_b32_e32 v36, 0x80
	s_and_saveexec_b32 s22, vcc_lo
	s_cbranch_execz .LBB6_3123
; %bb.3116:                             ;   in Loop: Header=BB6_3059 Depth=2
	v_mov_b32_e32 v36, 0
	s_mov_b32 s23, exec_lo
	v_cmpx_ne_u32_e32 0, v48
	s_cbranch_execz .LBB6_3122
; %bb.3117:                             ;   in Loop: Header=BB6_3059 Depth=2
	v_bfe_u32 v36, v48, 23, 8
	v_and_b32_e32 v147, 0x7fffff, v48
	s_delay_alu instid0(VALU_DEP_2) | instskip(SKIP_1) | instid1(VALU_DEP_3)
	v_sub_nc_u32_e32 v148, 0x70, v36
	v_cmp_gt_u32_e32 vcc_lo, 0x71, v36
	v_or_b32_e32 v149, 0x800000, v147
	s_delay_alu instid0(VALU_DEP_3) | instskip(SKIP_1) | instid1(VALU_DEP_3)
	v_cndmask_b32_e32 v148, 0, v148, vcc_lo
	v_cmp_eq_u32_e32 vcc_lo, 0, v36
	v_dual_cndmask_b32 v147, v149, v147 :: v_dual_add_nc_u32 v36, 0xffffff91, v36
	s_delay_alu instid0(VALU_DEP_3) | instskip(NEXT) | instid1(VALU_DEP_2)
	v_cndmask_b32_e64 v148, v148, 0x6f, vcc_lo
	v_cndmask_b32_e64 v36, v36, 0xffffff92, vcc_lo
	s_delay_alu instid0(VALU_DEP_2) | instskip(SKIP_2) | instid1(VALU_DEP_4)
	v_lshrrev_b32_e32 v150, v148, v147
	v_lshl_add_u32 v149, 0x200000, v148, -1
	v_lshlrev_b32_e64 v160, v148, 0x100000
	v_add_nc_u32_e32 v148, v148, v36
	s_delay_alu instid0(VALU_DEP_4) | instskip(NEXT) | instid1(VALU_DEP_4)
	v_bfe_u32 v151, v150, 21, 1
	v_and_b32_e32 v147, v149, v147
	s_delay_alu instid0(VALU_DEP_2) | instskip(NEXT) | instid1(VALU_DEP_2)
	v_add_nc_u32_e32 v149, -1, v151
	v_cmp_eq_u32_e64 s7, v147, v160
	s_delay_alu instid0(VALU_DEP_1) | instskip(SKIP_2) | instid1(VALU_DEP_2)
	v_cndmask_b32_e64 v147, 0, v149, s7
	v_lshrrev_b32_e32 v149, 23, v150
	s_mov_b32 s7, exec_lo
	v_add_nc_u32_e32 v147, v147, v150
	s_delay_alu instid0(VALU_DEP_2) | instskip(NEXT) | instid1(VALU_DEP_2)
	v_xor_b32_e32 v149, 1, v149
	v_and_b32_e32 v36, 0x1fffff, v147
	s_delay_alu instid0(VALU_DEP_1) | instskip(NEXT) | instid1(VALU_DEP_3)
	v_add_nc_u32_e32 v147, v36, v150
                                        ; implicit-def: $vgpr36
	v_cmpx_ne_u32_e64 v148, v149
	s_xor_b32 s7, exec_lo, s7
; %bb.3118:                             ;   in Loop: Header=BB6_3059 Depth=2
	s_delay_alu instid0(VALU_DEP_2) | instskip(SKIP_2) | instid1(VALU_DEP_2)
	v_cmp_lt_u32_e32 vcc_lo, 0xffffff, v147
	v_sub_nc_u32_e32 v36, v148, v149
	v_cndmask_b32_e64 v148, 0, 1, vcc_lo
	v_add_co_ci_u32_e32 v36, vcc_lo, 0, v36, vcc_lo
	s_delay_alu instid0(VALU_DEP_2)
	v_lshrrev_b32_e32 v147, v148, v147
; %bb.3119:                             ;   in Loop: Header=BB6_3059 Depth=2
	s_and_not1_saveexec_b32 s7, s7
; %bb.3120:                             ;   in Loop: Header=BB6_3059 Depth=2
	s_delay_alu instid0(VALU_DEP_1)
	v_bfe_u32 v36, v147, 23, 1
; %bb.3121:                             ;   in Loop: Header=BB6_3059 Depth=2
	s_or_b32 exec_lo, exec_lo, s7
	v_lshrrev_b32_e32 v147, 21, v147
	s_delay_alu instid0(VALU_DEP_2) | instskip(SKIP_2) | instid1(VALU_DEP_2)
	v_cmp_gt_i32_e32 vcc_lo, 32, v36
	v_lshrrev_b32_e32 v48, 24, v48
	v_min_i32_e32 v148, 31, v36
	v_dual_cndmask_b32 v147, 3, v147 :: v_dual_and_b32 v48, 0x80, v48
	s_delay_alu instid0(VALU_DEP_2) | instskip(NEXT) | instid1(VALU_DEP_2)
	v_lshlrev_b32_e32 v148, 2, v148
	v_or_b32_e32 v36, v36, v147
	s_delay_alu instid0(VALU_DEP_1) | instskip(SKIP_1) | instid1(VALU_DEP_1)
	v_cmp_ne_u32_e32 vcc_lo, 0, v36
	v_and_b32_e32 v149, 3, v147
	v_or3_b32 v48, v148, v48, v149
	s_delay_alu instid0(VALU_DEP_1)
	v_cndmask_b32_e32 v36, 0, v48, vcc_lo
.LBB6_3122:                             ;   in Loop: Header=BB6_3059 Depth=2
	s_or_b32 exec_lo, exec_lo, s23
.LBB6_3123:                             ;   in Loop: Header=BB6_3059 Depth=2
	s_delay_alu instid0(SALU_CYCLE_1) | instskip(SKIP_3) | instid1(VALU_DEP_1)
	s_or_b32 exec_lo, exec_lo, s22
	v_and_b32_e32 v147, 0xff, v49
	s_mov_b32 s7, 0
	s_mov_b32 s23, exec_lo
                                        ; implicit-def: $sgpr22
	v_cmpx_lt_i16_e64 0x7f, v147
	s_xor_b32 s23, exec_lo, s23
	s_cbranch_execnz .LBB6_4113
; %bb.3124:                             ;   in Loop: Header=BB6_3059 Depth=2
	s_or_saveexec_b32 s23, s23
	v_mov_b32_e32 v48, s22
	s_xor_b32 exec_lo, exec_lo, s23
	s_cbranch_execnz .LBB6_4116
.LBB6_3125:                             ;   in Loop: Header=BB6_3059 Depth=2
	s_or_b32 exec_lo, exec_lo, s23
	s_and_saveexec_b32 s22, s7
	s_cbranch_execz .LBB6_3127
.LBB6_3126:                             ;   in Loop: Header=BB6_3059 Depth=2
	v_bfe_u32 v149, v49, 2, 5
	v_lshlrev_b32_e32 v150, 24, v49
	s_delay_alu instid0(VALU_DEP_2) | instskip(SKIP_1) | instid1(VALU_DEP_1)
	v_cmp_eq_u32_e32 vcc_lo, 0, v149
	v_and_b32_e32 v48, 3, v49
	v_clz_i32_u32_e32 v147, v48
	s_delay_alu instid0(VALU_DEP_1) | instskip(NEXT) | instid1(VALU_DEP_1)
	v_min_u32_e32 v147, 32, v147
	v_subrev_nc_u32_e32 v148, 29, v147
	v_sub_nc_u32_e32 v147, 30, v147
	s_delay_alu instid0(VALU_DEP_1) | instskip(NEXT) | instid1(VALU_DEP_1)
	v_dual_cndmask_b32 v147, v149, v147 :: v_dual_lshlrev_b32 v148, v148, v49
	v_and_b32_e32 v148, 3, v148
	s_delay_alu instid0(VALU_DEP_2) | instskip(NEXT) | instid1(VALU_DEP_2)
	v_lshl_add_u32 v147, v147, 23, 0x37800000
	v_cndmask_b32_e32 v48, v48, v148, vcc_lo
	v_and_b32_e32 v148, 0x80000000, v150
	s_delay_alu instid0(VALU_DEP_2) | instskip(NEXT) | instid1(VALU_DEP_1)
	v_lshlrev_b32_e32 v48, 21, v48
	v_or3_b32 v48, v148, v147, v48
.LBB6_3127:                             ;   in Loop: Header=BB6_3059 Depth=2
	s_or_b32 exec_lo, exec_lo, s22
	v_and_b32_e32 v148, 0xff, v37
	s_mov_b32 s7, 0
	s_mov_b32 s23, exec_lo
                                        ; implicit-def: $sgpr22
	s_delay_alu instid0(VALU_DEP_1)
	v_cmpx_lt_i16_e64 0x7f, v148
	s_xor_b32 s23, exec_lo, s23
	s_cbranch_execnz .LBB6_4117
; %bb.3128:                             ;   in Loop: Header=BB6_3059 Depth=2
	s_or_saveexec_b32 s23, s23
	v_mov_b32_e32 v147, s22
	s_xor_b32 exec_lo, exec_lo, s23
	s_cbranch_execnz .LBB6_4120
.LBB6_3129:                             ;   in Loop: Header=BB6_3059 Depth=2
	s_or_b32 exec_lo, exec_lo, s23
	s_and_saveexec_b32 s22, s7
	s_cbranch_execz .LBB6_3131
.LBB6_3130:                             ;   in Loop: Header=BB6_3059 Depth=2
	v_bfe_u32 v150, v37, 2, 5
	v_lshlrev_b32_e32 v151, 24, v37
	s_delay_alu instid0(VALU_DEP_2) | instskip(SKIP_1) | instid1(VALU_DEP_1)
	v_cmp_eq_u32_e32 vcc_lo, 0, v150
	v_and_b32_e32 v147, 3, v37
	v_clz_i32_u32_e32 v148, v147
	s_delay_alu instid0(VALU_DEP_1) | instskip(NEXT) | instid1(VALU_DEP_1)
	v_min_u32_e32 v148, 32, v148
	v_subrev_nc_u32_e32 v149, 29, v148
	v_sub_nc_u32_e32 v148, 30, v148
	s_delay_alu instid0(VALU_DEP_1) | instskip(NEXT) | instid1(VALU_DEP_1)
	v_dual_cndmask_b32 v148, v150, v148 :: v_dual_lshlrev_b32 v149, v149, v37
	v_and_b32_e32 v149, 3, v149
	s_delay_alu instid0(VALU_DEP_2) | instskip(NEXT) | instid1(VALU_DEP_2)
	v_lshl_add_u32 v148, v148, 23, 0x37800000
	v_cndmask_b32_e32 v147, v147, v149, vcc_lo
	v_and_b32_e32 v149, 0x80000000, v151
	s_delay_alu instid0(VALU_DEP_2) | instskip(NEXT) | instid1(VALU_DEP_1)
	v_lshlrev_b32_e32 v147, 21, v147
	v_or3_b32 v147, v149, v148, v147
.LBB6_3131:                             ;   in Loop: Header=BB6_3059 Depth=2
	s_or_b32 exec_lo, exec_lo, s22
	s_delay_alu instid0(VALU_DEP_1) | instskip(NEXT) | instid1(VALU_DEP_1)
	v_mul_f32_e32 v147, v48, v147
	v_and_b32_e32 v48, 0x7f800000, v147
	s_delay_alu instid0(VALU_DEP_1)
	v_cmp_ne_u32_e32 vcc_lo, 0x7f800000, v48
	v_mov_b32_e32 v48, 0x80
	s_and_saveexec_b32 s22, vcc_lo
	s_cbranch_execz .LBB6_3139
; %bb.3132:                             ;   in Loop: Header=BB6_3059 Depth=2
	v_mov_b32_e32 v48, 0
	s_mov_b32 s23, exec_lo
	v_cmpx_ne_u32_e32 0, v147
	s_cbranch_execz .LBB6_3138
; %bb.3133:                             ;   in Loop: Header=BB6_3059 Depth=2
	v_bfe_u32 v48, v147, 23, 8
	s_delay_alu instid0(VALU_DEP_1) | instskip(SKIP_1) | instid1(VALU_DEP_2)
	v_sub_nc_u32_e32 v149, 0x70, v48
	v_cmp_gt_u32_e32 vcc_lo, 0x71, v48
	v_dual_cndmask_b32 v149, 0, v149 :: v_dual_and_b32 v148, 0x7fffff, v147
	s_delay_alu instid0(VALU_DEP_1) | instskip(SKIP_2) | instid1(VALU_DEP_4)
	v_or_b32_e32 v150, 0x800000, v148
	v_cmp_eq_u32_e32 vcc_lo, 0, v48
	v_add_nc_u32_e32 v48, 0xffffff91, v48
	v_cndmask_b32_e64 v149, v149, 0x6f, vcc_lo
	s_delay_alu instid0(VALU_DEP_4) | instskip(NEXT) | instid1(VALU_DEP_3)
	v_cndmask_b32_e32 v148, v150, v148, vcc_lo
	v_cndmask_b32_e64 v48, v48, 0xffffff92, vcc_lo
	s_delay_alu instid0(VALU_DEP_3) | instskip(NEXT) | instid1(VALU_DEP_3)
	v_lshl_add_u32 v150, 0x200000, v149, -1
	v_lshrrev_b32_e32 v151, v149, v148
	v_lshlrev_b32_e64 v161, v149, 0x100000
	s_delay_alu instid0(VALU_DEP_4) | instskip(NEXT) | instid1(VALU_DEP_4)
	v_add_nc_u32_e32 v149, v149, v48
	v_and_b32_e32 v148, v150, v148
	s_delay_alu instid0(VALU_DEP_4) | instskip(NEXT) | instid1(VALU_DEP_2)
	v_bfe_u32 v160, v151, 21, 1
	v_cmp_eq_u32_e64 s7, v148, v161
	s_delay_alu instid0(VALU_DEP_2) | instskip(NEXT) | instid1(VALU_DEP_1)
	v_add_nc_u32_e32 v150, -1, v160
	v_cndmask_b32_e64 v148, 0, v150, s7
	v_lshrrev_b32_e32 v150, 23, v151
	s_mov_b32 s7, exec_lo
	s_delay_alu instid0(VALU_DEP_2) | instskip(NEXT) | instid1(VALU_DEP_2)
	v_add_nc_u32_e32 v148, v148, v151
	v_xor_b32_e32 v150, 1, v150
	s_delay_alu instid0(VALU_DEP_2) | instskip(NEXT) | instid1(VALU_DEP_1)
	v_and_b32_e32 v48, 0x1fffff, v148
	v_add_nc_u32_e32 v148, v48, v151
                                        ; implicit-def: $vgpr48
	s_delay_alu instid0(VALU_DEP_3)
	v_cmpx_ne_u32_e64 v149, v150
	s_xor_b32 s7, exec_lo, s7
; %bb.3134:                             ;   in Loop: Header=BB6_3059 Depth=2
	s_delay_alu instid0(VALU_DEP_2) | instskip(SKIP_2) | instid1(VALU_DEP_2)
	v_cmp_lt_u32_e32 vcc_lo, 0xffffff, v148
	v_sub_nc_u32_e32 v48, v149, v150
	v_cndmask_b32_e64 v149, 0, 1, vcc_lo
	v_add_co_ci_u32_e32 v48, vcc_lo, 0, v48, vcc_lo
	s_delay_alu instid0(VALU_DEP_2)
	v_lshrrev_b32_e32 v148, v149, v148
; %bb.3135:                             ;   in Loop: Header=BB6_3059 Depth=2
	s_and_not1_saveexec_b32 s7, s7
; %bb.3136:                             ;   in Loop: Header=BB6_3059 Depth=2
	s_delay_alu instid0(VALU_DEP_1)
	v_bfe_u32 v48, v148, 23, 1
; %bb.3137:                             ;   in Loop: Header=BB6_3059 Depth=2
	s_or_b32 exec_lo, exec_lo, s7
	v_lshrrev_b32_e32 v148, 21, v148
	s_delay_alu instid0(VALU_DEP_2) | instskip(SKIP_2) | instid1(VALU_DEP_2)
	v_cmp_gt_i32_e32 vcc_lo, 32, v48
	v_lshrrev_b32_e32 v147, 24, v147
	v_min_i32_e32 v149, 31, v48
	v_dual_cndmask_b32 v148, 3, v148 :: v_dual_and_b32 v147, 0x80, v147
	s_delay_alu instid0(VALU_DEP_1) | instskip(SKIP_1) | instid1(VALU_DEP_2)
	v_or_b32_e32 v48, v48, v148
	v_and_b32_e32 v150, 3, v148
	v_cmp_ne_u32_e32 vcc_lo, 0, v48
	v_lshlrev_b32_e32 v149, 2, v149
	s_delay_alu instid0(VALU_DEP_1) | instskip(NEXT) | instid1(VALU_DEP_1)
	v_or3_b32 v147, v149, v147, v150
	v_cndmask_b32_e32 v48, 0, v147, vcc_lo
.LBB6_3138:                             ;   in Loop: Header=BB6_3059 Depth=2
	s_or_b32 exec_lo, exec_lo, s23
.LBB6_3139:                             ;   in Loop: Header=BB6_3059 Depth=2
	s_delay_alu instid0(SALU_CYCLE_1) | instskip(SKIP_3) | instid1(VALU_DEP_1)
	s_or_b32 exec_lo, exec_lo, s22
	v_lshrrev_b16 v148, 8, v49
	s_mov_b32 s7, 0
	s_mov_b32 s23, exec_lo
                                        ; implicit-def: $sgpr22
	v_cmpx_lt_i16_e64 0x7f, v148
	s_xor_b32 s23, exec_lo, s23
	s_cbranch_execnz .LBB6_4121
; %bb.3140:                             ;   in Loop: Header=BB6_3059 Depth=2
	s_or_saveexec_b32 s23, s23
	v_mov_b32_e32 v147, s22
	s_xor_b32 exec_lo, exec_lo, s23
	s_cbranch_execnz .LBB6_4124
.LBB6_3141:                             ;   in Loop: Header=BB6_3059 Depth=2
	s_or_b32 exec_lo, exec_lo, s23
	s_and_saveexec_b32 s22, s7
	s_cbranch_execz .LBB6_3143
.LBB6_3142:                             ;   in Loop: Header=BB6_3059 Depth=2
	v_and_b32_e32 v147, 0xffff, v148
	s_delay_alu instid0(VALU_DEP_1) | instskip(NEXT) | instid1(VALU_DEP_1)
	v_and_b32_e32 v149, 3, v147
	v_clz_i32_u32_e32 v150, v149
	s_delay_alu instid0(VALU_DEP_1) | instskip(NEXT) | instid1(VALU_DEP_1)
	v_min_u32_e32 v150, 32, v150
	v_subrev_nc_u32_e32 v151, 29, v150
	v_sub_nc_u32_e32 v150, 30, v150
	s_delay_alu instid0(VALU_DEP_2) | instskip(SKIP_1) | instid1(VALU_DEP_2)
	v_lshlrev_b32_e32 v151, v151, v147
	v_bfe_u32 v147, v147, 2, 5
	v_and_b32_e32 v151, 3, v151
	s_delay_alu instid0(VALU_DEP_2) | instskip(SKIP_1) | instid1(VALU_DEP_1)
	v_cmp_eq_u32_e32 vcc_lo, 0, v147
	v_dual_cndmask_b32 v147, v147, v150 :: v_dual_lshlrev_b32 v148, 24, v148
	v_dual_cndmask_b32 v149, v149, v151 :: v_dual_and_b32 v148, 0x80000000, v148
	s_delay_alu instid0(VALU_DEP_2) | instskip(NEXT) | instid1(VALU_DEP_2)
	v_lshl_add_u32 v147, v147, 23, 0x37800000
	v_lshlrev_b32_e32 v149, 21, v149
	s_delay_alu instid0(VALU_DEP_1)
	v_or3_b32 v147, v148, v147, v149
.LBB6_3143:                             ;   in Loop: Header=BB6_3059 Depth=2
	s_or_b32 exec_lo, exec_lo, s22
	v_lshrrev_b16 v148, 8, v37
	s_mov_b32 s7, 0
	s_mov_b32 s23, exec_lo
                                        ; implicit-def: $sgpr22
	s_delay_alu instid0(VALU_DEP_1)
	v_cmpx_lt_i16_e64 0x7f, v148
	s_xor_b32 s23, exec_lo, s23
	s_cbranch_execnz .LBB6_4125
; %bb.3144:                             ;   in Loop: Header=BB6_3059 Depth=2
	s_or_saveexec_b32 s23, s23
	v_mov_b32_e32 v149, s22
	s_xor_b32 exec_lo, exec_lo, s23
	s_cbranch_execnz .LBB6_4128
.LBB6_3145:                             ;   in Loop: Header=BB6_3059 Depth=2
	s_or_b32 exec_lo, exec_lo, s23
	s_and_saveexec_b32 s22, s7
	s_cbranch_execz .LBB6_3147
.LBB6_3146:                             ;   in Loop: Header=BB6_3059 Depth=2
	v_and_b32_e32 v149, 0xffff, v148
	v_lshlrev_b32_e32 v148, 24, v148
	s_delay_alu instid0(VALU_DEP_2) | instskip(NEXT) | instid1(VALU_DEP_2)
	v_and_b32_e32 v150, 3, v149
	v_and_b32_e32 v148, 0x80000000, v148
	s_delay_alu instid0(VALU_DEP_2) | instskip(NEXT) | instid1(VALU_DEP_1)
	v_clz_i32_u32_e32 v151, v150
	v_min_u32_e32 v151, 32, v151
	s_delay_alu instid0(VALU_DEP_1) | instskip(SKIP_1) | instid1(VALU_DEP_2)
	v_subrev_nc_u32_e32 v160, 29, v151
	v_sub_nc_u32_e32 v151, 30, v151
	v_lshlrev_b32_e32 v160, v160, v149
	v_bfe_u32 v149, v149, 2, 5
	s_delay_alu instid0(VALU_DEP_2) | instskip(NEXT) | instid1(VALU_DEP_2)
	v_and_b32_e32 v160, 3, v160
	v_cmp_eq_u32_e32 vcc_lo, 0, v149
	s_delay_alu instid0(VALU_DEP_2) | instskip(NEXT) | instid1(VALU_DEP_1)
	v_dual_cndmask_b32 v149, v149, v151 :: v_dual_cndmask_b32 v150, v150, v160
	v_lshl_add_u32 v149, v149, 23, 0x37800000
	s_delay_alu instid0(VALU_DEP_2) | instskip(NEXT) | instid1(VALU_DEP_1)
	v_lshlrev_b32_e32 v150, 21, v150
	v_or3_b32 v149, v148, v149, v150
.LBB6_3147:                             ;   in Loop: Header=BB6_3059 Depth=2
	s_or_b32 exec_lo, exec_lo, s22
	s_delay_alu instid0(VALU_DEP_1) | instskip(NEXT) | instid1(VALU_DEP_1)
	v_mul_f32_e32 v148, v147, v149
	v_and_b32_e32 v147, 0x7f800000, v148
	s_delay_alu instid0(VALU_DEP_1)
	v_cmp_ne_u32_e32 vcc_lo, 0x7f800000, v147
	v_mov_b32_e32 v147, 0x8000
	s_and_saveexec_b32 s22, vcc_lo
	s_cbranch_execz .LBB6_3155
; %bb.3148:                             ;   in Loop: Header=BB6_3059 Depth=2
	v_mov_b32_e32 v147, 0
	s_mov_b32 s23, exec_lo
	v_cmpx_ne_u32_e32 0, v148
	s_cbranch_execz .LBB6_3154
; %bb.3149:                             ;   in Loop: Header=BB6_3059 Depth=2
	v_bfe_u32 v147, v148, 23, 8
	s_delay_alu instid0(VALU_DEP_1) | instskip(SKIP_1) | instid1(VALU_DEP_2)
	v_sub_nc_u32_e32 v150, 0x70, v147
	v_cmp_gt_u32_e32 vcc_lo, 0x71, v147
	v_dual_cndmask_b32 v150, 0, v150 :: v_dual_and_b32 v149, 0x7fffff, v148
	s_delay_alu instid0(VALU_DEP_1) | instskip(SKIP_2) | instid1(VALU_DEP_4)
	v_or_b32_e32 v151, 0x800000, v149
	v_cmp_eq_u32_e32 vcc_lo, 0, v147
	v_add_nc_u32_e32 v147, 0xffffff91, v147
	v_cndmask_b32_e64 v150, v150, 0x6f, vcc_lo
	s_delay_alu instid0(VALU_DEP_2) | instskip(SKIP_1) | instid1(VALU_DEP_3)
	v_cndmask_b32_e64 v147, v147, 0xffffff92, vcc_lo
	v_cndmask_b32_e32 v149, v151, v149, vcc_lo
	v_lshl_add_u32 v151, 0x200000, v150, -1
	v_lshlrev_b32_e64 v162, v150, 0x100000
	s_delay_alu instid0(VALU_DEP_3) | instskip(SKIP_1) | instid1(VALU_DEP_4)
	v_lshrrev_b32_e32 v160, v150, v149
	v_add_nc_u32_e32 v150, v150, v147
	v_and_b32_e32 v149, v151, v149
	s_delay_alu instid0(VALU_DEP_3) | instskip(NEXT) | instid1(VALU_DEP_2)
	v_bfe_u32 v161, v160, 21, 1
	v_cmp_eq_u32_e64 s7, v149, v162
	s_delay_alu instid0(VALU_DEP_2) | instskip(NEXT) | instid1(VALU_DEP_1)
	v_add_nc_u32_e32 v151, -1, v161
	v_cndmask_b32_e64 v149, 0, v151, s7
	v_lshrrev_b32_e32 v151, 23, v160
	s_mov_b32 s7, exec_lo
	s_delay_alu instid0(VALU_DEP_2) | instskip(NEXT) | instid1(VALU_DEP_2)
	v_add_nc_u32_e32 v149, v149, v160
	v_xor_b32_e32 v151, 1, v151
	s_delay_alu instid0(VALU_DEP_2) | instskip(NEXT) | instid1(VALU_DEP_1)
	v_and_b32_e32 v147, 0x1fffff, v149
	v_add_nc_u32_e32 v149, v147, v160
                                        ; implicit-def: $vgpr147
	s_delay_alu instid0(VALU_DEP_3)
	v_cmpx_ne_u32_e64 v150, v151
	s_xor_b32 s7, exec_lo, s7
; %bb.3150:                             ;   in Loop: Header=BB6_3059 Depth=2
	s_delay_alu instid0(VALU_DEP_2) | instskip(SKIP_2) | instid1(VALU_DEP_2)
	v_cmp_lt_u32_e32 vcc_lo, 0xffffff, v149
	v_sub_nc_u32_e32 v147, v150, v151
	v_cndmask_b32_e64 v150, 0, 1, vcc_lo
	v_add_co_ci_u32_e32 v147, vcc_lo, 0, v147, vcc_lo
	s_delay_alu instid0(VALU_DEP_2)
	v_lshrrev_b32_e32 v149, v150, v149
; %bb.3151:                             ;   in Loop: Header=BB6_3059 Depth=2
	s_and_not1_saveexec_b32 s7, s7
; %bb.3152:                             ;   in Loop: Header=BB6_3059 Depth=2
	s_delay_alu instid0(VALU_DEP_1)
	v_bfe_u32 v147, v149, 23, 1
; %bb.3153:                             ;   in Loop: Header=BB6_3059 Depth=2
	s_or_b32 exec_lo, exec_lo, s7
	v_lshrrev_b32_e32 v149, 21, v149
	s_delay_alu instid0(VALU_DEP_2) | instskip(SKIP_2) | instid1(VALU_DEP_2)
	v_cmp_gt_i32_e32 vcc_lo, 32, v147
	v_min_i32_e32 v150, 31, v147
	v_lshrrev_b32_e32 v148, 24, v148
	v_dual_cndmask_b32 v149, 3, v149 :: v_dual_lshlrev_b32 v150, 2, v150
	s_delay_alu instid0(VALU_DEP_2) | instskip(NEXT) | instid1(VALU_DEP_2)
	v_and_b32_e32 v148, 0x80, v148
	v_or_b32_e32 v147, v147, v149
	v_and_b32_e32 v151, 3, v149
	s_delay_alu instid0(VALU_DEP_2) | instskip(SKIP_1) | instid1(VALU_DEP_1)
	v_cmp_ne_u32_e32 vcc_lo, 0, v147
	v_and_b32_e32 v150, 0xfc, v150
	v_or3_b32 v148, v148, v150, v151
	s_delay_alu instid0(VALU_DEP_1) | instskip(NEXT) | instid1(VALU_DEP_1)
	v_lshlrev_b32_e32 v148, 8, v148
	v_cndmask_b32_e32 v147, 0, v148, vcc_lo
.LBB6_3154:                             ;   in Loop: Header=BB6_3059 Depth=2
	s_or_b32 exec_lo, exec_lo, s23
.LBB6_3155:                             ;   in Loop: Header=BB6_3059 Depth=2
	s_delay_alu instid0(SALU_CYCLE_1) | instskip(SKIP_3) | instid1(VALU_DEP_1)
	s_or_b32 exec_lo, exec_lo, s22
	v_lshrrev_b32_e32 v149, 16, v49
	s_mov_b32 s7, 0
	s_mov_b32 s23, exec_lo
                                        ; implicit-def: $sgpr22
	v_and_b32_e32 v150, 0xff, v149
	s_delay_alu instid0(VALU_DEP_1)
	v_cmpx_lt_i16_e64 0x7f, v150
	s_xor_b32 s23, exec_lo, s23
	s_cbranch_execnz .LBB6_4129
; %bb.3156:                             ;   in Loop: Header=BB6_3059 Depth=2
	s_or_saveexec_b32 s23, s23
	v_mov_b32_e32 v148, s22
	s_xor_b32 exec_lo, exec_lo, s23
	s_cbranch_execnz .LBB6_4132
.LBB6_3157:                             ;   in Loop: Header=BB6_3059 Depth=2
	s_or_b32 exec_lo, exec_lo, s23
	s_and_saveexec_b32 s22, s7
	s_cbranch_execz .LBB6_3159
.LBB6_3158:                             ;   in Loop: Header=BB6_3059 Depth=2
	v_bfe_u32 v148, v49, 16, 2
	v_lshlrev_b32_e32 v160, 8, v49
	s_delay_alu instid0(VALU_DEP_2) | instskip(NEXT) | instid1(VALU_DEP_1)
	v_clz_i32_u32_e32 v150, v148
	v_min_u32_e32 v150, 32, v150
	s_delay_alu instid0(VALU_DEP_1) | instskip(SKIP_1) | instid1(VALU_DEP_2)
	v_subrev_nc_u32_e32 v151, 29, v150
	v_sub_nc_u32_e32 v150, 30, v150
	v_lshlrev_b32_e32 v149, v151, v149
	v_bfe_u32 v151, v49, 18, 5
	s_delay_alu instid0(VALU_DEP_1) | instskip(NEXT) | instid1(VALU_DEP_3)
	v_cmp_eq_u32_e32 vcc_lo, 0, v151
	v_dual_cndmask_b32 v150, v151, v150 :: v_dual_and_b32 v149, 3, v149
	s_delay_alu instid0(VALU_DEP_1) | instskip(NEXT) | instid1(VALU_DEP_2)
	v_dual_cndmask_b32 v148, v148, v149 :: v_dual_and_b32 v149, 0x80000000, v160
	v_lshl_add_u32 v150, v150, 23, 0x37800000
	s_delay_alu instid0(VALU_DEP_2) | instskip(NEXT) | instid1(VALU_DEP_1)
	v_lshlrev_b32_e32 v148, 21, v148
	v_or3_b32 v148, v149, v150, v148
.LBB6_3159:                             ;   in Loop: Header=BB6_3059 Depth=2
	s_or_b32 exec_lo, exec_lo, s22
	v_lshrrev_b32_e32 v149, 16, v37
	s_mov_b32 s7, 0
	s_mov_b32 s23, exec_lo
                                        ; implicit-def: $sgpr22
	s_delay_alu instid0(VALU_DEP_1) | instskip(NEXT) | instid1(VALU_DEP_1)
	v_and_b32_e32 v151, 0xff, v149
	v_cmpx_lt_i16_e64 0x7f, v151
	s_xor_b32 s23, exec_lo, s23
	s_cbranch_execnz .LBB6_4133
; %bb.3160:                             ;   in Loop: Header=BB6_3059 Depth=2
	s_or_saveexec_b32 s23, s23
	v_mov_b32_e32 v150, s22
	s_xor_b32 exec_lo, exec_lo, s23
	s_cbranch_execnz .LBB6_4136
.LBB6_3161:                             ;   in Loop: Header=BB6_3059 Depth=2
	s_or_b32 exec_lo, exec_lo, s23
	s_and_saveexec_b32 s22, s7
	s_cbranch_execz .LBB6_3163
.LBB6_3162:                             ;   in Loop: Header=BB6_3059 Depth=2
	v_bfe_u32 v150, v37, 16, 2
	v_lshlrev_b32_e32 v161, 8, v37
	s_delay_alu instid0(VALU_DEP_2) | instskip(NEXT) | instid1(VALU_DEP_1)
	v_clz_i32_u32_e32 v151, v150
	v_min_u32_e32 v151, 32, v151
	s_delay_alu instid0(VALU_DEP_1) | instskip(SKIP_1) | instid1(VALU_DEP_2)
	v_subrev_nc_u32_e32 v160, 29, v151
	v_sub_nc_u32_e32 v151, 30, v151
	v_lshlrev_b32_e32 v149, v160, v149
	v_bfe_u32 v160, v37, 18, 5
	s_delay_alu instid0(VALU_DEP_2) | instskip(NEXT) | instid1(VALU_DEP_2)
	v_and_b32_e32 v149, 3, v149
	v_cmp_eq_u32_e32 vcc_lo, 0, v160
	v_cndmask_b32_e32 v151, v160, v151, vcc_lo
	s_delay_alu instid0(VALU_DEP_3) | instskip(SKIP_1) | instid1(VALU_DEP_3)
	v_cndmask_b32_e32 v149, v150, v149, vcc_lo
	v_and_b32_e32 v150, 0x80000000, v161
	v_lshl_add_u32 v151, v151, 23, 0x37800000
	s_delay_alu instid0(VALU_DEP_3) | instskip(NEXT) | instid1(VALU_DEP_1)
	v_lshlrev_b32_e32 v149, 21, v149
	v_or3_b32 v150, v150, v151, v149
.LBB6_3163:                             ;   in Loop: Header=BB6_3059 Depth=2
	s_or_b32 exec_lo, exec_lo, s22
	s_delay_alu instid0(VALU_DEP_1) | instskip(NEXT) | instid1(VALU_DEP_1)
	v_mul_f32_e32 v149, v148, v150
	v_and_b32_e32 v148, 0x7f800000, v149
	s_delay_alu instid0(VALU_DEP_1)
	v_cmp_ne_u32_e32 vcc_lo, 0x7f800000, v148
	v_mov_b32_e32 v148, 0x80
	s_and_saveexec_b32 s22, vcc_lo
	s_cbranch_execz .LBB6_3171
; %bb.3164:                             ;   in Loop: Header=BB6_3059 Depth=2
	v_mov_b32_e32 v148, 0
	s_mov_b32 s23, exec_lo
	v_cmpx_ne_u32_e32 0, v149
	s_cbranch_execz .LBB6_3170
; %bb.3165:                             ;   in Loop: Header=BB6_3059 Depth=2
	v_bfe_u32 v148, v149, 23, 8
	s_delay_alu instid0(VALU_DEP_1) | instskip(SKIP_1) | instid1(VALU_DEP_2)
	v_sub_nc_u32_e32 v151, 0x70, v148
	v_cmp_gt_u32_e32 vcc_lo, 0x71, v148
	v_dual_cndmask_b32 v151, 0, v151 :: v_dual_and_b32 v150, 0x7fffff, v149
	s_delay_alu instid0(VALU_DEP_1) | instskip(SKIP_2) | instid1(VALU_DEP_4)
	v_or_b32_e32 v160, 0x800000, v150
	v_cmp_eq_u32_e32 vcc_lo, 0, v148
	v_add_nc_u32_e32 v148, 0xffffff91, v148
	v_cndmask_b32_e64 v151, v151, 0x6f, vcc_lo
	s_delay_alu instid0(VALU_DEP_2) | instskip(SKIP_1) | instid1(VALU_DEP_3)
	v_cndmask_b32_e64 v148, v148, 0xffffff92, vcc_lo
	v_cndmask_b32_e32 v150, v160, v150, vcc_lo
	v_lshl_add_u32 v160, 0x200000, v151, -1
	v_lshlrev_b32_e64 v163, v151, 0x100000
	s_delay_alu instid0(VALU_DEP_3) | instskip(SKIP_1) | instid1(VALU_DEP_4)
	v_lshrrev_b32_e32 v161, v151, v150
	v_add_nc_u32_e32 v151, v151, v148
	v_and_b32_e32 v150, v160, v150
	s_delay_alu instid0(VALU_DEP_3) | instskip(NEXT) | instid1(VALU_DEP_2)
	v_bfe_u32 v162, v161, 21, 1
	v_cmp_eq_u32_e64 s7, v150, v163
	s_delay_alu instid0(VALU_DEP_2) | instskip(NEXT) | instid1(VALU_DEP_1)
	v_add_nc_u32_e32 v160, -1, v162
	v_cndmask_b32_e64 v150, 0, v160, s7
	v_lshrrev_b32_e32 v160, 23, v161
	s_mov_b32 s7, exec_lo
	s_delay_alu instid0(VALU_DEP_2) | instskip(NEXT) | instid1(VALU_DEP_2)
	v_add_nc_u32_e32 v150, v150, v161
	v_xor_b32_e32 v160, 1, v160
	s_delay_alu instid0(VALU_DEP_2) | instskip(NEXT) | instid1(VALU_DEP_1)
	v_and_b32_e32 v148, 0x1fffff, v150
	v_add_nc_u32_e32 v150, v148, v161
                                        ; implicit-def: $vgpr148
	s_delay_alu instid0(VALU_DEP_3)
	v_cmpx_ne_u32_e64 v151, v160
	s_xor_b32 s7, exec_lo, s7
; %bb.3166:                             ;   in Loop: Header=BB6_3059 Depth=2
	s_delay_alu instid0(VALU_DEP_2) | instskip(SKIP_2) | instid1(VALU_DEP_2)
	v_cmp_lt_u32_e32 vcc_lo, 0xffffff, v150
	v_sub_nc_u32_e32 v148, v151, v160
	v_cndmask_b32_e64 v151, 0, 1, vcc_lo
	v_add_co_ci_u32_e32 v148, vcc_lo, 0, v148, vcc_lo
	s_delay_alu instid0(VALU_DEP_2)
	v_lshrrev_b32_e32 v150, v151, v150
; %bb.3167:                             ;   in Loop: Header=BB6_3059 Depth=2
	s_and_not1_saveexec_b32 s7, s7
; %bb.3168:                             ;   in Loop: Header=BB6_3059 Depth=2
	s_delay_alu instid0(VALU_DEP_1)
	v_bfe_u32 v148, v150, 23, 1
; %bb.3169:                             ;   in Loop: Header=BB6_3059 Depth=2
	s_or_b32 exec_lo, exec_lo, s7
	v_lshrrev_b32_e32 v150, 21, v150
	s_delay_alu instid0(VALU_DEP_2) | instskip(SKIP_2) | instid1(VALU_DEP_2)
	v_cmp_gt_i32_e32 vcc_lo, 32, v148
	v_min_i32_e32 v151, 31, v148
	v_lshrrev_b32_e32 v149, 24, v149
	v_dual_cndmask_b32 v150, 3, v150 :: v_dual_lshlrev_b32 v151, 2, v151
	s_delay_alu instid0(VALU_DEP_2) | instskip(NEXT) | instid1(VALU_DEP_2)
	v_and_b32_e32 v149, 0x80, v149
	v_or_b32_e32 v148, v148, v150
	v_and_b32_e32 v160, 3, v150
	s_delay_alu instid0(VALU_DEP_2) | instskip(SKIP_1) | instid1(VALU_DEP_1)
	v_cmp_ne_u32_e32 vcc_lo, 0, v148
	v_and_b32_e32 v151, 0xfc, v151
	v_or3_b32 v149, v151, v149, v160
	s_delay_alu instid0(VALU_DEP_1)
	v_cndmask_b32_e32 v148, 0, v149, vcc_lo
.LBB6_3170:                             ;   in Loop: Header=BB6_3059 Depth=2
	s_or_b32 exec_lo, exec_lo, s23
.LBB6_3171:                             ;   in Loop: Header=BB6_3059 Depth=2
	s_delay_alu instid0(SALU_CYCLE_1) | instskip(SKIP_3) | instid1(VALU_DEP_1)
	s_or_b32 exec_lo, exec_lo, s22
	v_lshrrev_b32_e32 v150, 24, v49
	s_mov_b32 s7, 0
	s_mov_b32 s23, exec_lo
                                        ; implicit-def: $sgpr22
	v_cmpx_lt_i16_e64 0x7f, v150
	s_xor_b32 s23, exec_lo, s23
	s_cbranch_execnz .LBB6_4137
; %bb.3172:                             ;   in Loop: Header=BB6_3059 Depth=2
	s_or_saveexec_b32 s23, s23
	v_mov_b32_e32 v149, s22
	s_xor_b32 exec_lo, exec_lo, s23
	s_cbranch_execnz .LBB6_4140
.LBB6_3173:                             ;   in Loop: Header=BB6_3059 Depth=2
	s_or_b32 exec_lo, exec_lo, s23
	s_and_saveexec_b32 s22, s7
	s_cbranch_execz .LBB6_3175
.LBB6_3174:                             ;   in Loop: Header=BB6_3059 Depth=2
	v_bfe_u32 v149, v49, 24, 2
	s_delay_alu instid0(VALU_DEP_1) | instskip(NEXT) | instid1(VALU_DEP_1)
	v_clz_i32_u32_e32 v151, v149
	v_min_u32_e32 v151, 32, v151
	s_delay_alu instid0(VALU_DEP_1) | instskip(SKIP_1) | instid1(VALU_DEP_2)
	v_subrev_nc_u32_e32 v160, 29, v151
	v_sub_nc_u32_e32 v151, 30, v151
	v_lshlrev_b32_e32 v150, v160, v150
	v_bfe_u32 v160, v49, 26, 5
	v_and_b32_e32 v49, 0x80000000, v49
	s_delay_alu instid0(VALU_DEP_2) | instskip(NEXT) | instid1(VALU_DEP_4)
	v_cmp_eq_u32_e32 vcc_lo, 0, v160
	v_dual_cndmask_b32 v151, v160, v151 :: v_dual_and_b32 v150, 3, v150
	s_delay_alu instid0(VALU_DEP_1) | instskip(NEXT) | instid1(VALU_DEP_2)
	v_cndmask_b32_e32 v149, v149, v150, vcc_lo
	v_lshl_add_u32 v150, v151, 23, 0x37800000
	s_delay_alu instid0(VALU_DEP_2) | instskip(NEXT) | instid1(VALU_DEP_1)
	v_lshlrev_b32_e32 v149, 21, v149
	v_or3_b32 v149, v49, v150, v149
.LBB6_3175:                             ;   in Loop: Header=BB6_3059 Depth=2
	s_or_b32 exec_lo, exec_lo, s22
	v_lshrrev_b32_e32 v49, 24, v37
	s_mov_b32 s7, 0
	s_mov_b32 s23, exec_lo
                                        ; implicit-def: $sgpr22
	s_delay_alu instid0(VALU_DEP_1)
	v_cmpx_lt_i16_e32 0x7f, v49
	s_xor_b32 s23, exec_lo, s23
	s_cbranch_execnz .LBB6_4141
; %bb.3176:                             ;   in Loop: Header=BB6_3059 Depth=2
	s_or_saveexec_b32 s23, s23
	v_mov_b32_e32 v150, s22
	s_xor_b32 exec_lo, exec_lo, s23
	s_cbranch_execnz .LBB6_4144
.LBB6_3177:                             ;   in Loop: Header=BB6_3059 Depth=2
	s_or_b32 exec_lo, exec_lo, s23
	s_and_saveexec_b32 s22, s7
	s_cbranch_execz .LBB6_3179
.LBB6_3178:                             ;   in Loop: Header=BB6_3059 Depth=2
	v_bfe_u32 v150, v37, 24, 2
	s_delay_alu instid0(VALU_DEP_1) | instskip(NEXT) | instid1(VALU_DEP_1)
	v_clz_i32_u32_e32 v151, v150
	v_min_u32_e32 v151, 32, v151
	s_delay_alu instid0(VALU_DEP_1) | instskip(SKIP_1) | instid1(VALU_DEP_2)
	v_subrev_nc_u32_e32 v160, 29, v151
	v_sub_nc_u32_e32 v151, 30, v151
	v_lshlrev_b32_e32 v49, v160, v49
	v_bfe_u32 v160, v37, 26, 5
	v_and_b32_e32 v37, 0x80000000, v37
	s_delay_alu instid0(VALU_DEP_3) | instskip(NEXT) | instid1(VALU_DEP_3)
	v_and_b32_e32 v49, 3, v49
	v_cmp_eq_u32_e32 vcc_lo, 0, v160
	v_cndmask_b32_e32 v151, v160, v151, vcc_lo
	s_delay_alu instid0(VALU_DEP_3) | instskip(NEXT) | instid1(VALU_DEP_2)
	v_cndmask_b32_e32 v49, v150, v49, vcc_lo
	v_lshl_add_u32 v150, v151, 23, 0x37800000
	s_delay_alu instid0(VALU_DEP_2) | instskip(NEXT) | instid1(VALU_DEP_1)
	v_lshlrev_b32_e32 v49, 21, v49
	v_or3_b32 v150, v37, v150, v49
.LBB6_3179:                             ;   in Loop: Header=BB6_3059 Depth=2
	s_or_b32 exec_lo, exec_lo, s22
	s_delay_alu instid0(VALU_DEP_1) | instskip(NEXT) | instid1(VALU_DEP_1)
	v_mul_f32_e32 v49, v149, v150
	v_and_b32_e32 v37, 0x7f800000, v49
	s_delay_alu instid0(VALU_DEP_1)
	v_cmp_ne_u32_e32 vcc_lo, 0x7f800000, v37
	v_mov_b32_e32 v37, 0x8000
	s_and_saveexec_b32 s22, vcc_lo
	s_cbranch_execz .LBB6_3187
; %bb.3180:                             ;   in Loop: Header=BB6_3059 Depth=2
	v_mov_b32_e32 v37, 0
	s_mov_b32 s23, exec_lo
	v_cmpx_ne_u32_e32 0, v49
	s_cbranch_execz .LBB6_3186
; %bb.3181:                             ;   in Loop: Header=BB6_3059 Depth=2
	v_bfe_u32 v37, v49, 23, 8
	s_delay_alu instid0(VALU_DEP_1) | instskip(SKIP_1) | instid1(VALU_DEP_2)
	v_sub_nc_u32_e32 v150, 0x70, v37
	v_cmp_gt_u32_e32 vcc_lo, 0x71, v37
	v_dual_cndmask_b32 v150, 0, v150 :: v_dual_and_b32 v149, 0x7fffff, v49
	s_delay_alu instid0(VALU_DEP_1) | instskip(SKIP_2) | instid1(VALU_DEP_4)
	v_or_b32_e32 v151, 0x800000, v149
	v_cmp_eq_u32_e32 vcc_lo, 0, v37
	v_add_nc_u32_e32 v37, 0xffffff91, v37
	v_cndmask_b32_e64 v150, v150, 0x6f, vcc_lo
	s_delay_alu instid0(VALU_DEP_4) | instskip(NEXT) | instid1(VALU_DEP_3)
	v_cndmask_b32_e32 v149, v151, v149, vcc_lo
	v_cndmask_b32_e64 v37, v37, 0xffffff92, vcc_lo
	s_delay_alu instid0(VALU_DEP_3) | instskip(NEXT) | instid1(VALU_DEP_3)
	v_lshl_add_u32 v151, 0x200000, v150, -1
	v_lshrrev_b32_e32 v160, v150, v149
	v_lshlrev_b32_e64 v162, v150, 0x100000
	s_delay_alu instid0(VALU_DEP_4) | instskip(NEXT) | instid1(VALU_DEP_4)
	v_add_nc_u32_e32 v150, v150, v37
	v_and_b32_e32 v149, v151, v149
	s_delay_alu instid0(VALU_DEP_4) | instskip(NEXT) | instid1(VALU_DEP_2)
	v_bfe_u32 v161, v160, 21, 1
	v_cmp_eq_u32_e64 s7, v149, v162
	s_delay_alu instid0(VALU_DEP_2) | instskip(NEXT) | instid1(VALU_DEP_1)
	v_add_nc_u32_e32 v151, -1, v161
	v_cndmask_b32_e64 v149, 0, v151, s7
	v_lshrrev_b32_e32 v151, 23, v160
	s_mov_b32 s7, exec_lo
	s_delay_alu instid0(VALU_DEP_2) | instskip(NEXT) | instid1(VALU_DEP_2)
	v_add_nc_u32_e32 v149, v149, v160
	v_xor_b32_e32 v151, 1, v151
	s_delay_alu instid0(VALU_DEP_2) | instskip(NEXT) | instid1(VALU_DEP_1)
	v_and_b32_e32 v37, 0x1fffff, v149
	v_add_nc_u32_e32 v149, v37, v160
                                        ; implicit-def: $vgpr37
	s_delay_alu instid0(VALU_DEP_3)
	v_cmpx_ne_u32_e64 v150, v151
	s_xor_b32 s7, exec_lo, s7
; %bb.3182:                             ;   in Loop: Header=BB6_3059 Depth=2
	s_delay_alu instid0(VALU_DEP_2) | instskip(SKIP_2) | instid1(VALU_DEP_2)
	v_cmp_lt_u32_e32 vcc_lo, 0xffffff, v149
	v_sub_nc_u32_e32 v37, v150, v151
	v_cndmask_b32_e64 v150, 0, 1, vcc_lo
	v_add_co_ci_u32_e32 v37, vcc_lo, 0, v37, vcc_lo
	s_delay_alu instid0(VALU_DEP_2)
	v_lshrrev_b32_e32 v149, v150, v149
; %bb.3183:                             ;   in Loop: Header=BB6_3059 Depth=2
	s_and_not1_saveexec_b32 s7, s7
; %bb.3184:                             ;   in Loop: Header=BB6_3059 Depth=2
	s_delay_alu instid0(VALU_DEP_1)
	v_bfe_u32 v37, v149, 23, 1
; %bb.3185:                             ;   in Loop: Header=BB6_3059 Depth=2
	s_or_b32 exec_lo, exec_lo, s7
	v_lshrrev_b32_e32 v149, 21, v149
	s_delay_alu instid0(VALU_DEP_2) | instskip(SKIP_2) | instid1(VALU_DEP_2)
	v_cmp_gt_i32_e32 vcc_lo, 32, v37
	v_min_i32_e32 v150, 31, v37
	v_lshrrev_b32_e32 v49, 24, v49
	v_dual_cndmask_b32 v149, 3, v149 :: v_dual_lshlrev_b32 v150, 2, v150
	s_delay_alu instid0(VALU_DEP_2) | instskip(NEXT) | instid1(VALU_DEP_2)
	v_and_b32_e32 v49, 0x80, v49
	v_or_b32_e32 v37, v37, v149
	v_and_b32_e32 v151, 3, v149
	s_delay_alu instid0(VALU_DEP_2) | instskip(SKIP_1) | instid1(VALU_DEP_1)
	v_cmp_ne_u32_e32 vcc_lo, 0, v37
	v_and_b32_e32 v150, 0xfc, v150
	v_or3_b32 v49, v49, v150, v151
	s_delay_alu instid0(VALU_DEP_1) | instskip(NEXT) | instid1(VALU_DEP_1)
	v_lshlrev_b32_e32 v49, 8, v49
	v_cndmask_b32_e32 v37, 0, v49, vcc_lo
.LBB6_3186:                             ;   in Loop: Header=BB6_3059 Depth=2
	s_or_b32 exec_lo, exec_lo, s23
.LBB6_3187:                             ;   in Loop: Header=BB6_3059 Depth=2
	s_delay_alu instid0(SALU_CYCLE_1) | instskip(SKIP_3) | instid1(VALU_DEP_1)
	s_or_b32 exec_lo, exec_lo, s22
	v_and_b32_e32 v149, 0xff, v50
	s_mov_b32 s7, 0
	s_mov_b32 s23, exec_lo
                                        ; implicit-def: $sgpr22
	v_cmpx_lt_i16_e64 0x7f, v149
	s_xor_b32 s23, exec_lo, s23
	s_cbranch_execnz .LBB6_4145
; %bb.3188:                             ;   in Loop: Header=BB6_3059 Depth=2
	s_or_saveexec_b32 s23, s23
	v_mov_b32_e32 v49, s22
	s_xor_b32 exec_lo, exec_lo, s23
	s_cbranch_execnz .LBB6_4148
.LBB6_3189:                             ;   in Loop: Header=BB6_3059 Depth=2
	s_or_b32 exec_lo, exec_lo, s23
	s_and_saveexec_b32 s22, s7
	s_cbranch_execz .LBB6_3191
.LBB6_3190:                             ;   in Loop: Header=BB6_3059 Depth=2
	v_and_b32_e32 v49, 3, v50
	v_bfe_u32 v151, v50, 2, 5
	v_lshlrev_b32_e32 v160, 24, v50
	s_delay_alu instid0(VALU_DEP_3) | instskip(NEXT) | instid1(VALU_DEP_3)
	v_clz_i32_u32_e32 v149, v49
	v_cmp_eq_u32_e32 vcc_lo, 0, v151
	s_delay_alu instid0(VALU_DEP_2) | instskip(NEXT) | instid1(VALU_DEP_1)
	v_min_u32_e32 v149, 32, v149
	v_subrev_nc_u32_e32 v150, 29, v149
	v_sub_nc_u32_e32 v149, 30, v149
	s_delay_alu instid0(VALU_DEP_1) | instskip(NEXT) | instid1(VALU_DEP_1)
	v_dual_cndmask_b32 v149, v151, v149 :: v_dual_lshlrev_b32 v150, v150, v50
	v_and_b32_e32 v150, 3, v150
	s_delay_alu instid0(VALU_DEP_2) | instskip(NEXT) | instid1(VALU_DEP_2)
	v_lshl_add_u32 v149, v149, 23, 0x37800000
	v_dual_cndmask_b32 v49, v49, v150 :: v_dual_and_b32 v150, 0x80000000, v160
	s_delay_alu instid0(VALU_DEP_1) | instskip(NEXT) | instid1(VALU_DEP_1)
	v_lshlrev_b32_e32 v49, 21, v49
	v_or3_b32 v49, v150, v149, v49
.LBB6_3191:                             ;   in Loop: Header=BB6_3059 Depth=2
	s_or_b32 exec_lo, exec_lo, s22
	v_and_b32_e32 v150, 0xff, v38
	s_mov_b32 s7, 0
	s_mov_b32 s23, exec_lo
                                        ; implicit-def: $sgpr22
	s_delay_alu instid0(VALU_DEP_1)
	v_cmpx_lt_i16_e64 0x7f, v150
	s_xor_b32 s23, exec_lo, s23
	s_cbranch_execnz .LBB6_4149
; %bb.3192:                             ;   in Loop: Header=BB6_3059 Depth=2
	s_or_saveexec_b32 s23, s23
	v_mov_b32_e32 v149, s22
	s_xor_b32 exec_lo, exec_lo, s23
	s_cbranch_execnz .LBB6_4152
.LBB6_3193:                             ;   in Loop: Header=BB6_3059 Depth=2
	s_or_b32 exec_lo, exec_lo, s23
	s_and_saveexec_b32 s22, s7
	s_cbranch_execz .LBB6_3195
.LBB6_3194:                             ;   in Loop: Header=BB6_3059 Depth=2
	v_and_b32_e32 v149, 3, v38
	v_bfe_u32 v160, v38, 2, 5
	v_lshlrev_b32_e32 v161, 24, v38
	s_delay_alu instid0(VALU_DEP_3) | instskip(NEXT) | instid1(VALU_DEP_3)
	v_clz_i32_u32_e32 v150, v149
	v_cmp_eq_u32_e32 vcc_lo, 0, v160
	s_delay_alu instid0(VALU_DEP_2) | instskip(NEXT) | instid1(VALU_DEP_1)
	v_min_u32_e32 v150, 32, v150
	v_subrev_nc_u32_e32 v151, 29, v150
	v_sub_nc_u32_e32 v150, 30, v150
	s_delay_alu instid0(VALU_DEP_2) | instskip(NEXT) | instid1(VALU_DEP_1)
	v_lshlrev_b32_e32 v151, v151, v38
	v_dual_cndmask_b32 v150, v160, v150 :: v_dual_and_b32 v151, 3, v151
	s_delay_alu instid0(VALU_DEP_1) | instskip(NEXT) | instid1(VALU_DEP_2)
	v_lshl_add_u32 v150, v150, 23, 0x37800000
	v_cndmask_b32_e32 v149, v149, v151, vcc_lo
	v_and_b32_e32 v151, 0x80000000, v161
	s_delay_alu instid0(VALU_DEP_2) | instskip(NEXT) | instid1(VALU_DEP_1)
	v_lshlrev_b32_e32 v149, 21, v149
	v_or3_b32 v149, v151, v150, v149
.LBB6_3195:                             ;   in Loop: Header=BB6_3059 Depth=2
	s_or_b32 exec_lo, exec_lo, s22
	s_delay_alu instid0(VALU_DEP_1) | instskip(NEXT) | instid1(VALU_DEP_1)
	v_mul_f32_e32 v149, v49, v149
	v_and_b32_e32 v49, 0x7f800000, v149
	s_delay_alu instid0(VALU_DEP_1)
	v_cmp_ne_u32_e32 vcc_lo, 0x7f800000, v49
	v_mov_b32_e32 v49, 0x80
	s_and_saveexec_b32 s22, vcc_lo
	s_cbranch_execz .LBB6_3203
; %bb.3196:                             ;   in Loop: Header=BB6_3059 Depth=2
	v_mov_b32_e32 v49, 0
	s_mov_b32 s23, exec_lo
	v_cmpx_ne_u32_e32 0, v149
	s_cbranch_execz .LBB6_3202
; %bb.3197:                             ;   in Loop: Header=BB6_3059 Depth=2
	v_bfe_u32 v49, v149, 23, 8
	s_delay_alu instid0(VALU_DEP_1) | instskip(SKIP_1) | instid1(VALU_DEP_2)
	v_sub_nc_u32_e32 v151, 0x70, v49
	v_cmp_gt_u32_e32 vcc_lo, 0x71, v49
	v_dual_cndmask_b32 v151, 0, v151 :: v_dual_and_b32 v150, 0x7fffff, v149
	s_delay_alu instid0(VALU_DEP_1) | instskip(SKIP_2) | instid1(VALU_DEP_4)
	v_or_b32_e32 v160, 0x800000, v150
	v_cmp_eq_u32_e32 vcc_lo, 0, v49
	v_add_nc_u32_e32 v49, 0xffffff91, v49
	v_cndmask_b32_e64 v151, v151, 0x6f, vcc_lo
	s_delay_alu instid0(VALU_DEP_4) | instskip(NEXT) | instid1(VALU_DEP_3)
	v_cndmask_b32_e32 v150, v160, v150, vcc_lo
	v_cndmask_b32_e64 v49, v49, 0xffffff92, vcc_lo
	s_delay_alu instid0(VALU_DEP_3) | instskip(NEXT) | instid1(VALU_DEP_3)
	v_lshl_add_u32 v160, 0x200000, v151, -1
	v_lshrrev_b32_e32 v161, v151, v150
	v_lshlrev_b32_e64 v163, v151, 0x100000
	s_delay_alu instid0(VALU_DEP_4) | instskip(NEXT) | instid1(VALU_DEP_4)
	v_add_nc_u32_e32 v151, v151, v49
	v_and_b32_e32 v150, v160, v150
	s_delay_alu instid0(VALU_DEP_4) | instskip(NEXT) | instid1(VALU_DEP_2)
	v_bfe_u32 v162, v161, 21, 1
	v_cmp_eq_u32_e64 s7, v150, v163
	s_delay_alu instid0(VALU_DEP_2) | instskip(NEXT) | instid1(VALU_DEP_1)
	v_add_nc_u32_e32 v160, -1, v162
	v_cndmask_b32_e64 v150, 0, v160, s7
	v_lshrrev_b32_e32 v160, 23, v161
	s_mov_b32 s7, exec_lo
	s_delay_alu instid0(VALU_DEP_2) | instskip(NEXT) | instid1(VALU_DEP_2)
	v_add_nc_u32_e32 v150, v150, v161
	v_xor_b32_e32 v160, 1, v160
	s_delay_alu instid0(VALU_DEP_2) | instskip(NEXT) | instid1(VALU_DEP_1)
	v_and_b32_e32 v49, 0x1fffff, v150
	v_add_nc_u32_e32 v150, v49, v161
                                        ; implicit-def: $vgpr49
	s_delay_alu instid0(VALU_DEP_3)
	v_cmpx_ne_u32_e64 v151, v160
	s_xor_b32 s7, exec_lo, s7
; %bb.3198:                             ;   in Loop: Header=BB6_3059 Depth=2
	s_delay_alu instid0(VALU_DEP_2) | instskip(SKIP_2) | instid1(VALU_DEP_2)
	v_cmp_lt_u32_e32 vcc_lo, 0xffffff, v150
	v_sub_nc_u32_e32 v49, v151, v160
	v_cndmask_b32_e64 v151, 0, 1, vcc_lo
	v_add_co_ci_u32_e32 v49, vcc_lo, 0, v49, vcc_lo
	s_delay_alu instid0(VALU_DEP_2)
	v_lshrrev_b32_e32 v150, v151, v150
; %bb.3199:                             ;   in Loop: Header=BB6_3059 Depth=2
	s_and_not1_saveexec_b32 s7, s7
; %bb.3200:                             ;   in Loop: Header=BB6_3059 Depth=2
	s_delay_alu instid0(VALU_DEP_1)
	v_bfe_u32 v49, v150, 23, 1
; %bb.3201:                             ;   in Loop: Header=BB6_3059 Depth=2
	s_or_b32 exec_lo, exec_lo, s7
	v_lshrrev_b32_e32 v150, 21, v150
	s_delay_alu instid0(VALU_DEP_2) | instskip(SKIP_2) | instid1(VALU_DEP_2)
	v_cmp_gt_i32_e32 vcc_lo, 32, v49
	v_lshrrev_b32_e32 v149, 24, v149
	v_min_i32_e32 v151, 31, v49
	v_dual_cndmask_b32 v150, 3, v150 :: v_dual_and_b32 v149, 0x80, v149
	s_delay_alu instid0(VALU_DEP_2) | instskip(NEXT) | instid1(VALU_DEP_2)
	v_lshlrev_b32_e32 v151, 2, v151
	v_or_b32_e32 v49, v49, v150
	s_delay_alu instid0(VALU_DEP_1) | instskip(SKIP_1) | instid1(VALU_DEP_1)
	v_cmp_ne_u32_e32 vcc_lo, 0, v49
	v_and_b32_e32 v160, 3, v150
	v_or3_b32 v149, v151, v149, v160
	s_delay_alu instid0(VALU_DEP_1)
	v_cndmask_b32_e32 v49, 0, v149, vcc_lo
.LBB6_3202:                             ;   in Loop: Header=BB6_3059 Depth=2
	s_or_b32 exec_lo, exec_lo, s23
.LBB6_3203:                             ;   in Loop: Header=BB6_3059 Depth=2
	s_delay_alu instid0(SALU_CYCLE_1) | instskip(SKIP_3) | instid1(VALU_DEP_1)
	s_or_b32 exec_lo, exec_lo, s22
	v_lshrrev_b16 v150, 8, v50
	s_mov_b32 s7, 0
	s_mov_b32 s23, exec_lo
                                        ; implicit-def: $sgpr22
	v_cmpx_lt_i16_e64 0x7f, v150
	s_xor_b32 s23, exec_lo, s23
	s_cbranch_execnz .LBB6_4153
; %bb.3204:                             ;   in Loop: Header=BB6_3059 Depth=2
	s_or_saveexec_b32 s23, s23
	v_mov_b32_e32 v149, s22
	s_xor_b32 exec_lo, exec_lo, s23
	s_cbranch_execnz .LBB6_4156
.LBB6_3205:                             ;   in Loop: Header=BB6_3059 Depth=2
	s_or_b32 exec_lo, exec_lo, s23
	s_and_saveexec_b32 s22, s7
	s_cbranch_execz .LBB6_3207
.LBB6_3206:                             ;   in Loop: Header=BB6_3059 Depth=2
	v_and_b32_e32 v149, 0xffff, v150
	s_delay_alu instid0(VALU_DEP_1) | instskip(NEXT) | instid1(VALU_DEP_1)
	v_and_b32_e32 v151, 3, v149
	v_clz_i32_u32_e32 v160, v151
	s_delay_alu instid0(VALU_DEP_1) | instskip(NEXT) | instid1(VALU_DEP_1)
	v_min_u32_e32 v160, 32, v160
	v_subrev_nc_u32_e32 v161, 29, v160
	v_sub_nc_u32_e32 v160, 30, v160
	s_delay_alu instid0(VALU_DEP_2) | instskip(SKIP_1) | instid1(VALU_DEP_2)
	v_lshlrev_b32_e32 v161, v161, v149
	v_bfe_u32 v149, v149, 2, 5
	v_and_b32_e32 v161, 3, v161
	s_delay_alu instid0(VALU_DEP_2) | instskip(SKIP_1) | instid1(VALU_DEP_1)
	v_cmp_eq_u32_e32 vcc_lo, 0, v149
	v_dual_cndmask_b32 v149, v149, v160 :: v_dual_lshlrev_b32 v150, 24, v150
	v_dual_cndmask_b32 v151, v151, v161 :: v_dual_and_b32 v150, 0x80000000, v150
	s_delay_alu instid0(VALU_DEP_2) | instskip(NEXT) | instid1(VALU_DEP_2)
	v_lshl_add_u32 v149, v149, 23, 0x37800000
	v_lshlrev_b32_e32 v151, 21, v151
	s_delay_alu instid0(VALU_DEP_1)
	v_or3_b32 v149, v150, v149, v151
.LBB6_3207:                             ;   in Loop: Header=BB6_3059 Depth=2
	s_or_b32 exec_lo, exec_lo, s22
	v_lshrrev_b16 v150, 8, v38
	s_mov_b32 s7, 0
	s_mov_b32 s23, exec_lo
                                        ; implicit-def: $sgpr22
	s_delay_alu instid0(VALU_DEP_1)
	v_cmpx_lt_i16_e64 0x7f, v150
	s_xor_b32 s23, exec_lo, s23
	s_cbranch_execnz .LBB6_4157
; %bb.3208:                             ;   in Loop: Header=BB6_3059 Depth=2
	s_or_saveexec_b32 s23, s23
	v_mov_b32_e32 v151, s22
	s_xor_b32 exec_lo, exec_lo, s23
	s_cbranch_execnz .LBB6_4160
.LBB6_3209:                             ;   in Loop: Header=BB6_3059 Depth=2
	s_or_b32 exec_lo, exec_lo, s23
	s_and_saveexec_b32 s22, s7
	s_cbranch_execz .LBB6_3211
.LBB6_3210:                             ;   in Loop: Header=BB6_3059 Depth=2
	v_and_b32_e32 v151, 0xffff, v150
	v_lshlrev_b32_e32 v150, 24, v150
	s_delay_alu instid0(VALU_DEP_2) | instskip(NEXT) | instid1(VALU_DEP_2)
	v_and_b32_e32 v160, 3, v151
	v_and_b32_e32 v150, 0x80000000, v150
	s_delay_alu instid0(VALU_DEP_2) | instskip(NEXT) | instid1(VALU_DEP_1)
	v_clz_i32_u32_e32 v161, v160
	v_min_u32_e32 v161, 32, v161
	s_delay_alu instid0(VALU_DEP_1) | instskip(SKIP_1) | instid1(VALU_DEP_2)
	v_subrev_nc_u32_e32 v162, 29, v161
	v_sub_nc_u32_e32 v161, 30, v161
	v_lshlrev_b32_e32 v162, v162, v151
	v_bfe_u32 v151, v151, 2, 5
	s_delay_alu instid0(VALU_DEP_2) | instskip(NEXT) | instid1(VALU_DEP_2)
	v_and_b32_e32 v162, 3, v162
	v_cmp_eq_u32_e32 vcc_lo, 0, v151
	s_delay_alu instid0(VALU_DEP_2) | instskip(NEXT) | instid1(VALU_DEP_1)
	v_dual_cndmask_b32 v151, v151, v161 :: v_dual_cndmask_b32 v160, v160, v162
	v_lshl_add_u32 v151, v151, 23, 0x37800000
	s_delay_alu instid0(VALU_DEP_2) | instskip(NEXT) | instid1(VALU_DEP_1)
	v_lshlrev_b32_e32 v160, 21, v160
	v_or3_b32 v151, v150, v151, v160
.LBB6_3211:                             ;   in Loop: Header=BB6_3059 Depth=2
	s_or_b32 exec_lo, exec_lo, s22
	s_delay_alu instid0(VALU_DEP_1) | instskip(NEXT) | instid1(VALU_DEP_1)
	v_mul_f32_e32 v150, v149, v151
	v_and_b32_e32 v149, 0x7f800000, v150
	s_delay_alu instid0(VALU_DEP_1)
	v_cmp_ne_u32_e32 vcc_lo, 0x7f800000, v149
	v_mov_b32_e32 v149, 0x80
	s_and_saveexec_b32 s22, vcc_lo
	s_cbranch_execz .LBB6_3219
; %bb.3212:                             ;   in Loop: Header=BB6_3059 Depth=2
	v_mov_b32_e32 v149, 0
	s_mov_b32 s23, exec_lo
	v_cmpx_ne_u32_e32 0, v150
	s_cbranch_execz .LBB6_3218
; %bb.3213:                             ;   in Loop: Header=BB6_3059 Depth=2
	v_bfe_u32 v149, v150, 23, 8
	s_delay_alu instid0(VALU_DEP_1) | instskip(SKIP_1) | instid1(VALU_DEP_2)
	v_sub_nc_u32_e32 v160, 0x70, v149
	v_cmp_gt_u32_e32 vcc_lo, 0x71, v149
	v_dual_cndmask_b32 v160, 0, v160 :: v_dual_and_b32 v151, 0x7fffff, v150
	s_delay_alu instid0(VALU_DEP_1) | instskip(SKIP_2) | instid1(VALU_DEP_4)
	v_or_b32_e32 v161, 0x800000, v151
	v_cmp_eq_u32_e32 vcc_lo, 0, v149
	v_add_nc_u32_e32 v149, 0xffffff91, v149
	v_cndmask_b32_e64 v160, v160, 0x6f, vcc_lo
	s_delay_alu instid0(VALU_DEP_2) | instskip(SKIP_1) | instid1(VALU_DEP_3)
	v_cndmask_b32_e64 v149, v149, 0xffffff92, vcc_lo
	v_cndmask_b32_e32 v151, v161, v151, vcc_lo
	v_lshl_add_u32 v161, 0x200000, v160, -1
	v_lshlrev_b32_e64 v164, v160, 0x100000
	s_delay_alu instid0(VALU_DEP_3) | instskip(SKIP_1) | instid1(VALU_DEP_4)
	v_lshrrev_b32_e32 v162, v160, v151
	v_add_nc_u32_e32 v160, v160, v149
	v_and_b32_e32 v151, v161, v151
	s_delay_alu instid0(VALU_DEP_3) | instskip(NEXT) | instid1(VALU_DEP_2)
	v_bfe_u32 v163, v162, 21, 1
	v_cmp_eq_u32_e64 s7, v151, v164
	s_delay_alu instid0(VALU_DEP_2) | instskip(NEXT) | instid1(VALU_DEP_1)
	v_add_nc_u32_e32 v161, -1, v163
	v_cndmask_b32_e64 v151, 0, v161, s7
	v_lshrrev_b32_e32 v161, 23, v162
	s_mov_b32 s7, exec_lo
	s_delay_alu instid0(VALU_DEP_2) | instskip(NEXT) | instid1(VALU_DEP_2)
	v_add_nc_u32_e32 v151, v151, v162
	v_xor_b32_e32 v161, 1, v161
	s_delay_alu instid0(VALU_DEP_2) | instskip(NEXT) | instid1(VALU_DEP_1)
	v_and_b32_e32 v149, 0x1fffff, v151
	v_add_nc_u32_e32 v151, v149, v162
                                        ; implicit-def: $vgpr149
	s_delay_alu instid0(VALU_DEP_3)
	v_cmpx_ne_u32_e64 v160, v161
	s_xor_b32 s7, exec_lo, s7
; %bb.3214:                             ;   in Loop: Header=BB6_3059 Depth=2
	s_delay_alu instid0(VALU_DEP_2) | instskip(SKIP_2) | instid1(VALU_DEP_2)
	v_cmp_lt_u32_e32 vcc_lo, 0xffffff, v151
	v_sub_nc_u32_e32 v149, v160, v161
	v_cndmask_b32_e64 v160, 0, 1, vcc_lo
	v_add_co_ci_u32_e32 v149, vcc_lo, 0, v149, vcc_lo
	s_delay_alu instid0(VALU_DEP_2)
	v_lshrrev_b32_e32 v151, v160, v151
; %bb.3215:                             ;   in Loop: Header=BB6_3059 Depth=2
	s_and_not1_saveexec_b32 s7, s7
; %bb.3216:                             ;   in Loop: Header=BB6_3059 Depth=2
	s_delay_alu instid0(VALU_DEP_1)
	v_bfe_u32 v149, v151, 23, 1
; %bb.3217:                             ;   in Loop: Header=BB6_3059 Depth=2
	s_or_b32 exec_lo, exec_lo, s7
	v_lshrrev_b32_e32 v151, 21, v151
	s_delay_alu instid0(VALU_DEP_2) | instskip(SKIP_2) | instid1(VALU_DEP_2)
	v_cmp_gt_i32_e32 vcc_lo, 32, v149
	v_lshrrev_b32_e32 v150, 24, v150
	v_min_i32_e32 v160, 31, v149
	v_dual_cndmask_b32 v151, 3, v151 :: v_dual_and_b32 v150, 0x80, v150
	s_delay_alu instid0(VALU_DEP_1) | instskip(SKIP_1) | instid1(VALU_DEP_2)
	v_or_b32_e32 v149, v149, v151
	v_and_b32_e32 v161, 3, v151
	v_cmp_ne_u32_e32 vcc_lo, 0, v149
	v_lshlrev_b32_e32 v160, 2, v160
	s_delay_alu instid0(VALU_DEP_1) | instskip(NEXT) | instid1(VALU_DEP_1)
	v_or3_b32 v150, v160, v150, v161
	v_cndmask_b32_e32 v149, 0, v150, vcc_lo
.LBB6_3218:                             ;   in Loop: Header=BB6_3059 Depth=2
	s_or_b32 exec_lo, exec_lo, s23
.LBB6_3219:                             ;   in Loop: Header=BB6_3059 Depth=2
	s_delay_alu instid0(SALU_CYCLE_1) | instskip(SKIP_3) | instid1(VALU_DEP_1)
	s_or_b32 exec_lo, exec_lo, s22
	v_lshrrev_b32_e32 v151, 16, v50
	s_mov_b32 s7, 0
	s_mov_b32 s23, exec_lo
                                        ; implicit-def: $sgpr22
	v_and_b32_e32 v160, 0xff, v151
	s_delay_alu instid0(VALU_DEP_1)
	v_cmpx_lt_i16_e64 0x7f, v160
	s_xor_b32 s23, exec_lo, s23
	s_cbranch_execnz .LBB6_4161
; %bb.3220:                             ;   in Loop: Header=BB6_3059 Depth=2
	s_or_saveexec_b32 s23, s23
	v_mov_b32_e32 v150, s22
	s_xor_b32 exec_lo, exec_lo, s23
	s_cbranch_execnz .LBB6_4164
.LBB6_3221:                             ;   in Loop: Header=BB6_3059 Depth=2
	s_or_b32 exec_lo, exec_lo, s23
	s_and_saveexec_b32 s22, s7
	s_cbranch_execz .LBB6_3223
.LBB6_3222:                             ;   in Loop: Header=BB6_3059 Depth=2
	v_bfe_u32 v150, v50, 16, 2
	v_lshlrev_b32_e32 v162, 8, v50
	s_delay_alu instid0(VALU_DEP_2) | instskip(NEXT) | instid1(VALU_DEP_1)
	v_clz_i32_u32_e32 v160, v150
	v_min_u32_e32 v160, 32, v160
	s_delay_alu instid0(VALU_DEP_1) | instskip(SKIP_1) | instid1(VALU_DEP_2)
	v_subrev_nc_u32_e32 v161, 29, v160
	v_sub_nc_u32_e32 v160, 30, v160
	v_lshlrev_b32_e32 v151, v161, v151
	v_bfe_u32 v161, v50, 18, 5
	s_delay_alu instid0(VALU_DEP_1) | instskip(NEXT) | instid1(VALU_DEP_3)
	v_cmp_eq_u32_e32 vcc_lo, 0, v161
	v_dual_cndmask_b32 v160, v161, v160 :: v_dual_and_b32 v151, 3, v151
	s_delay_alu instid0(VALU_DEP_1) | instskip(NEXT) | instid1(VALU_DEP_2)
	v_dual_cndmask_b32 v150, v150, v151 :: v_dual_and_b32 v151, 0x80000000, v162
	v_lshl_add_u32 v160, v160, 23, 0x37800000
	s_delay_alu instid0(VALU_DEP_2) | instskip(NEXT) | instid1(VALU_DEP_1)
	v_lshlrev_b32_e32 v150, 21, v150
	v_or3_b32 v150, v151, v160, v150
.LBB6_3223:                             ;   in Loop: Header=BB6_3059 Depth=2
	s_or_b32 exec_lo, exec_lo, s22
	v_lshrrev_b32_e32 v151, 16, v38
	s_mov_b32 s7, 0
	s_mov_b32 s23, exec_lo
                                        ; implicit-def: $sgpr22
	s_delay_alu instid0(VALU_DEP_1) | instskip(NEXT) | instid1(VALU_DEP_1)
	v_and_b32_e32 v161, 0xff, v151
	v_cmpx_lt_i16_e64 0x7f, v161
	s_xor_b32 s23, exec_lo, s23
	s_cbranch_execnz .LBB6_4165
; %bb.3224:                             ;   in Loop: Header=BB6_3059 Depth=2
	s_or_saveexec_b32 s23, s23
	v_mov_b32_e32 v160, s22
	s_xor_b32 exec_lo, exec_lo, s23
	s_cbranch_execnz .LBB6_4168
.LBB6_3225:                             ;   in Loop: Header=BB6_3059 Depth=2
	s_or_b32 exec_lo, exec_lo, s23
	s_and_saveexec_b32 s22, s7
	s_cbranch_execz .LBB6_3227
.LBB6_3226:                             ;   in Loop: Header=BB6_3059 Depth=2
	v_bfe_u32 v160, v38, 16, 2
	v_lshlrev_b32_e32 v163, 8, v38
	s_delay_alu instid0(VALU_DEP_2) | instskip(NEXT) | instid1(VALU_DEP_1)
	v_clz_i32_u32_e32 v161, v160
	v_min_u32_e32 v161, 32, v161
	s_delay_alu instid0(VALU_DEP_1) | instskip(SKIP_1) | instid1(VALU_DEP_2)
	v_subrev_nc_u32_e32 v162, 29, v161
	v_sub_nc_u32_e32 v161, 30, v161
	v_lshlrev_b32_e32 v151, v162, v151
	v_bfe_u32 v162, v38, 18, 5
	s_delay_alu instid0(VALU_DEP_2) | instskip(NEXT) | instid1(VALU_DEP_2)
	v_and_b32_e32 v151, 3, v151
	v_cmp_eq_u32_e32 vcc_lo, 0, v162
	v_cndmask_b32_e32 v161, v162, v161, vcc_lo
	s_delay_alu instid0(VALU_DEP_3) | instskip(SKIP_1) | instid1(VALU_DEP_3)
	v_cndmask_b32_e32 v151, v160, v151, vcc_lo
	v_and_b32_e32 v160, 0x80000000, v163
	v_lshl_add_u32 v161, v161, 23, 0x37800000
	s_delay_alu instid0(VALU_DEP_3) | instskip(NEXT) | instid1(VALU_DEP_1)
	v_lshlrev_b32_e32 v151, 21, v151
	v_or3_b32 v160, v160, v161, v151
.LBB6_3227:                             ;   in Loop: Header=BB6_3059 Depth=2
	s_or_b32 exec_lo, exec_lo, s22
	s_delay_alu instid0(VALU_DEP_1) | instskip(NEXT) | instid1(VALU_DEP_1)
	v_mul_f32_e32 v151, v150, v160
	v_and_b32_e32 v150, 0x7f800000, v151
	s_delay_alu instid0(VALU_DEP_1)
	v_cmp_ne_u32_e32 vcc_lo, 0x7f800000, v150
	v_mov_b32_e32 v150, 0x80
	s_and_saveexec_b32 s22, vcc_lo
	s_cbranch_execz .LBB6_3235
; %bb.3228:                             ;   in Loop: Header=BB6_3059 Depth=2
	v_mov_b32_e32 v150, 0
	s_mov_b32 s23, exec_lo
	v_cmpx_ne_u32_e32 0, v151
	s_cbranch_execz .LBB6_3234
; %bb.3229:                             ;   in Loop: Header=BB6_3059 Depth=2
	v_bfe_u32 v150, v151, 23, 8
	s_delay_alu instid0(VALU_DEP_1) | instskip(SKIP_1) | instid1(VALU_DEP_2)
	v_sub_nc_u32_e32 v161, 0x70, v150
	v_cmp_gt_u32_e32 vcc_lo, 0x71, v150
	v_dual_cndmask_b32 v161, 0, v161 :: v_dual_and_b32 v160, 0x7fffff, v151
	s_delay_alu instid0(VALU_DEP_1) | instskip(SKIP_2) | instid1(VALU_DEP_4)
	v_or_b32_e32 v162, 0x800000, v160
	v_cmp_eq_u32_e32 vcc_lo, 0, v150
	v_add_nc_u32_e32 v150, 0xffffff91, v150
	v_cndmask_b32_e64 v161, v161, 0x6f, vcc_lo
	s_delay_alu instid0(VALU_DEP_2) | instskip(SKIP_1) | instid1(VALU_DEP_3)
	v_cndmask_b32_e64 v150, v150, 0xffffff92, vcc_lo
	v_cndmask_b32_e32 v160, v162, v160, vcc_lo
	v_lshl_add_u32 v162, 0x200000, v161, -1
	v_lshlrev_b32_e64 v165, v161, 0x100000
	s_delay_alu instid0(VALU_DEP_3) | instskip(SKIP_1) | instid1(VALU_DEP_4)
	v_lshrrev_b32_e32 v163, v161, v160
	v_add_nc_u32_e32 v161, v161, v150
	v_and_b32_e32 v160, v162, v160
	s_delay_alu instid0(VALU_DEP_3) | instskip(NEXT) | instid1(VALU_DEP_2)
	v_bfe_u32 v164, v163, 21, 1
	v_cmp_eq_u32_e64 s7, v160, v165
	s_delay_alu instid0(VALU_DEP_2) | instskip(NEXT) | instid1(VALU_DEP_1)
	v_add_nc_u32_e32 v162, -1, v164
	v_cndmask_b32_e64 v160, 0, v162, s7
	v_lshrrev_b32_e32 v162, 23, v163
	s_mov_b32 s7, exec_lo
	s_delay_alu instid0(VALU_DEP_2) | instskip(NEXT) | instid1(VALU_DEP_2)
	v_add_nc_u32_e32 v160, v160, v163
	v_xor_b32_e32 v162, 1, v162
	s_delay_alu instid0(VALU_DEP_2) | instskip(NEXT) | instid1(VALU_DEP_1)
	v_and_b32_e32 v150, 0x1fffff, v160
	v_add_nc_u32_e32 v160, v150, v163
                                        ; implicit-def: $vgpr150
	s_delay_alu instid0(VALU_DEP_3)
	v_cmpx_ne_u32_e64 v161, v162
	s_xor_b32 s7, exec_lo, s7
; %bb.3230:                             ;   in Loop: Header=BB6_3059 Depth=2
	s_delay_alu instid0(VALU_DEP_2) | instskip(SKIP_2) | instid1(VALU_DEP_2)
	v_cmp_lt_u32_e32 vcc_lo, 0xffffff, v160
	v_sub_nc_u32_e32 v150, v161, v162
	v_cndmask_b32_e64 v161, 0, 1, vcc_lo
	v_add_co_ci_u32_e32 v150, vcc_lo, 0, v150, vcc_lo
	s_delay_alu instid0(VALU_DEP_2)
	v_lshrrev_b32_e32 v160, v161, v160
; %bb.3231:                             ;   in Loop: Header=BB6_3059 Depth=2
	s_and_not1_saveexec_b32 s7, s7
; %bb.3232:                             ;   in Loop: Header=BB6_3059 Depth=2
	s_delay_alu instid0(VALU_DEP_1)
	v_bfe_u32 v150, v160, 23, 1
; %bb.3233:                             ;   in Loop: Header=BB6_3059 Depth=2
	s_or_b32 exec_lo, exec_lo, s7
	v_lshrrev_b32_e32 v160, 21, v160
	s_delay_alu instid0(VALU_DEP_2) | instskip(SKIP_2) | instid1(VALU_DEP_2)
	v_cmp_gt_i32_e32 vcc_lo, 32, v150
	v_lshrrev_b32_e32 v151, 24, v151
	v_min_i32_e32 v161, 31, v150
	v_dual_cndmask_b32 v160, 3, v160 :: v_dual_and_b32 v151, 0x80, v151
	s_delay_alu instid0(VALU_DEP_1) | instskip(SKIP_1) | instid1(VALU_DEP_2)
	v_or_b32_e32 v150, v150, v160
	v_and_b32_e32 v162, 3, v160
	v_cmp_ne_u32_e32 vcc_lo, 0, v150
	v_lshlrev_b32_e32 v161, 2, v161
	s_delay_alu instid0(VALU_DEP_1) | instskip(NEXT) | instid1(VALU_DEP_1)
	v_or3_b32 v151, v161, v151, v162
	v_cndmask_b32_e32 v150, 0, v151, vcc_lo
.LBB6_3234:                             ;   in Loop: Header=BB6_3059 Depth=2
	s_or_b32 exec_lo, exec_lo, s23
.LBB6_3235:                             ;   in Loop: Header=BB6_3059 Depth=2
	s_delay_alu instid0(SALU_CYCLE_1) | instskip(SKIP_3) | instid1(VALU_DEP_1)
	s_or_b32 exec_lo, exec_lo, s22
	v_lshrrev_b32_e32 v160, 24, v50
	s_mov_b32 s7, 0
	s_mov_b32 s23, exec_lo
                                        ; implicit-def: $sgpr22
	v_cmpx_lt_i16_e64 0x7f, v160
	s_xor_b32 s23, exec_lo, s23
	s_cbranch_execnz .LBB6_4169
; %bb.3236:                             ;   in Loop: Header=BB6_3059 Depth=2
	s_or_saveexec_b32 s23, s23
	v_mov_b32_e32 v151, s22
	s_xor_b32 exec_lo, exec_lo, s23
	s_cbranch_execnz .LBB6_4172
.LBB6_3237:                             ;   in Loop: Header=BB6_3059 Depth=2
	s_or_b32 exec_lo, exec_lo, s23
	s_and_saveexec_b32 s22, s7
	s_cbranch_execz .LBB6_3239
.LBB6_3238:                             ;   in Loop: Header=BB6_3059 Depth=2
	v_bfe_u32 v151, v50, 24, 2
	s_delay_alu instid0(VALU_DEP_1) | instskip(NEXT) | instid1(VALU_DEP_1)
	v_clz_i32_u32_e32 v161, v151
	v_min_u32_e32 v161, 32, v161
	s_delay_alu instid0(VALU_DEP_1) | instskip(SKIP_1) | instid1(VALU_DEP_2)
	v_subrev_nc_u32_e32 v162, 29, v161
	v_sub_nc_u32_e32 v161, 30, v161
	v_lshlrev_b32_e32 v160, v162, v160
	v_bfe_u32 v162, v50, 26, 5
	v_and_b32_e32 v50, 0x80000000, v50
	s_delay_alu instid0(VALU_DEP_2) | instskip(NEXT) | instid1(VALU_DEP_4)
	v_cmp_eq_u32_e32 vcc_lo, 0, v162
	v_dual_cndmask_b32 v161, v162, v161 :: v_dual_and_b32 v160, 3, v160
	s_delay_alu instid0(VALU_DEP_1) | instskip(NEXT) | instid1(VALU_DEP_2)
	v_cndmask_b32_e32 v151, v151, v160, vcc_lo
	v_lshl_add_u32 v160, v161, 23, 0x37800000
	s_delay_alu instid0(VALU_DEP_2) | instskip(NEXT) | instid1(VALU_DEP_1)
	v_lshlrev_b32_e32 v151, 21, v151
	v_or3_b32 v151, v50, v160, v151
.LBB6_3239:                             ;   in Loop: Header=BB6_3059 Depth=2
	s_or_b32 exec_lo, exec_lo, s22
	v_lshrrev_b32_e32 v50, 24, v38
	s_mov_b32 s7, 0
	s_mov_b32 s23, exec_lo
                                        ; implicit-def: $sgpr22
	s_delay_alu instid0(VALU_DEP_1)
	v_cmpx_lt_i16_e32 0x7f, v50
	s_xor_b32 s23, exec_lo, s23
	s_cbranch_execnz .LBB6_4173
; %bb.3240:                             ;   in Loop: Header=BB6_3059 Depth=2
	s_or_saveexec_b32 s23, s23
	v_mov_b32_e32 v160, s22
	s_xor_b32 exec_lo, exec_lo, s23
	s_cbranch_execnz .LBB6_4176
.LBB6_3241:                             ;   in Loop: Header=BB6_3059 Depth=2
	s_or_b32 exec_lo, exec_lo, s23
	s_and_saveexec_b32 s22, s7
	s_cbranch_execz .LBB6_3243
.LBB6_3242:                             ;   in Loop: Header=BB6_3059 Depth=2
	v_bfe_u32 v160, v38, 24, 2
	s_delay_alu instid0(VALU_DEP_1) | instskip(NEXT) | instid1(VALU_DEP_1)
	v_clz_i32_u32_e32 v161, v160
	v_min_u32_e32 v161, 32, v161
	s_delay_alu instid0(VALU_DEP_1) | instskip(SKIP_1) | instid1(VALU_DEP_2)
	v_subrev_nc_u32_e32 v162, 29, v161
	v_sub_nc_u32_e32 v161, 30, v161
	v_lshlrev_b32_e32 v50, v162, v50
	v_bfe_u32 v162, v38, 26, 5
	v_and_b32_e32 v38, 0x80000000, v38
	s_delay_alu instid0(VALU_DEP_2) | instskip(NEXT) | instid1(VALU_DEP_4)
	v_cmp_eq_u32_e32 vcc_lo, 0, v162
	v_dual_cndmask_b32 v161, v162, v161 :: v_dual_and_b32 v50, 3, v50
	s_delay_alu instid0(VALU_DEP_1) | instskip(NEXT) | instid1(VALU_DEP_2)
	v_cndmask_b32_e32 v50, v160, v50, vcc_lo
	v_lshl_add_u32 v160, v161, 23, 0x37800000
	s_delay_alu instid0(VALU_DEP_2) | instskip(NEXT) | instid1(VALU_DEP_1)
	v_lshlrev_b32_e32 v50, 21, v50
	v_or3_b32 v160, v38, v160, v50
.LBB6_3243:                             ;   in Loop: Header=BB6_3059 Depth=2
	s_or_b32 exec_lo, exec_lo, s22
	s_delay_alu instid0(VALU_DEP_1) | instskip(NEXT) | instid1(VALU_DEP_1)
	v_mul_f32_e32 v50, v151, v160
	v_and_b32_e32 v38, 0x7f800000, v50
	s_delay_alu instid0(VALU_DEP_1)
	v_cmp_ne_u32_e32 vcc_lo, 0x7f800000, v38
	v_mov_b32_e32 v38, 0x80
	s_and_saveexec_b32 s22, vcc_lo
	s_cbranch_execz .LBB6_3251
; %bb.3244:                             ;   in Loop: Header=BB6_3059 Depth=2
	v_mov_b32_e32 v38, 0
	s_mov_b32 s23, exec_lo
	v_cmpx_ne_u32_e32 0, v50
	s_cbranch_execz .LBB6_3250
; %bb.3245:                             ;   in Loop: Header=BB6_3059 Depth=2
	v_bfe_u32 v38, v50, 23, 8
	s_delay_alu instid0(VALU_DEP_1) | instskip(SKIP_1) | instid1(VALU_DEP_2)
	v_sub_nc_u32_e32 v160, 0x70, v38
	v_cmp_gt_u32_e32 vcc_lo, 0x71, v38
	v_dual_cndmask_b32 v160, 0, v160 :: v_dual_and_b32 v151, 0x7fffff, v50
	s_delay_alu instid0(VALU_DEP_1) | instskip(SKIP_2) | instid1(VALU_DEP_4)
	v_or_b32_e32 v161, 0x800000, v151
	v_cmp_eq_u32_e32 vcc_lo, 0, v38
	v_add_nc_u32_e32 v38, 0xffffff91, v38
	v_cndmask_b32_e64 v160, v160, 0x6f, vcc_lo
	s_delay_alu instid0(VALU_DEP_4) | instskip(NEXT) | instid1(VALU_DEP_3)
	v_cndmask_b32_e32 v151, v161, v151, vcc_lo
	v_cndmask_b32_e64 v38, v38, 0xffffff92, vcc_lo
	s_delay_alu instid0(VALU_DEP_3) | instskip(NEXT) | instid1(VALU_DEP_3)
	v_lshl_add_u32 v161, 0x200000, v160, -1
	v_lshrrev_b32_e32 v162, v160, v151
	v_lshlrev_b32_e64 v164, v160, 0x100000
	s_delay_alu instid0(VALU_DEP_4) | instskip(NEXT) | instid1(VALU_DEP_4)
	v_add_nc_u32_e32 v160, v160, v38
	v_and_b32_e32 v151, v161, v151
	s_delay_alu instid0(VALU_DEP_4) | instskip(NEXT) | instid1(VALU_DEP_2)
	v_bfe_u32 v163, v162, 21, 1
	v_cmp_eq_u32_e64 s7, v151, v164
	s_delay_alu instid0(VALU_DEP_2) | instskip(NEXT) | instid1(VALU_DEP_1)
	v_add_nc_u32_e32 v161, -1, v163
	v_cndmask_b32_e64 v151, 0, v161, s7
	v_lshrrev_b32_e32 v161, 23, v162
	s_mov_b32 s7, exec_lo
	s_delay_alu instid0(VALU_DEP_2) | instskip(NEXT) | instid1(VALU_DEP_2)
	v_add_nc_u32_e32 v151, v151, v162
	v_xor_b32_e32 v161, 1, v161
	s_delay_alu instid0(VALU_DEP_2) | instskip(NEXT) | instid1(VALU_DEP_1)
	v_and_b32_e32 v38, 0x1fffff, v151
	v_add_nc_u32_e32 v151, v38, v162
                                        ; implicit-def: $vgpr38
	s_delay_alu instid0(VALU_DEP_3)
	v_cmpx_ne_u32_e64 v160, v161
	s_xor_b32 s7, exec_lo, s7
; %bb.3246:                             ;   in Loop: Header=BB6_3059 Depth=2
	s_delay_alu instid0(VALU_DEP_2) | instskip(SKIP_2) | instid1(VALU_DEP_2)
	v_cmp_lt_u32_e32 vcc_lo, 0xffffff, v151
	v_sub_nc_u32_e32 v38, v160, v161
	v_cndmask_b32_e64 v160, 0, 1, vcc_lo
	v_add_co_ci_u32_e32 v38, vcc_lo, 0, v38, vcc_lo
	s_delay_alu instid0(VALU_DEP_2)
	v_lshrrev_b32_e32 v151, v160, v151
; %bb.3247:                             ;   in Loop: Header=BB6_3059 Depth=2
	s_and_not1_saveexec_b32 s7, s7
; %bb.3248:                             ;   in Loop: Header=BB6_3059 Depth=2
	s_delay_alu instid0(VALU_DEP_1)
	v_bfe_u32 v38, v151, 23, 1
; %bb.3249:                             ;   in Loop: Header=BB6_3059 Depth=2
	s_or_b32 exec_lo, exec_lo, s7
	v_lshrrev_b32_e32 v151, 21, v151
	s_delay_alu instid0(VALU_DEP_2) | instskip(SKIP_2) | instid1(VALU_DEP_2)
	v_cmp_gt_i32_e32 vcc_lo, 32, v38
	v_lshrrev_b32_e32 v50, 24, v50
	v_min_i32_e32 v160, 31, v38
	v_dual_cndmask_b32 v151, 3, v151 :: v_dual_and_b32 v50, 0x80, v50
	s_delay_alu instid0(VALU_DEP_2) | instskip(NEXT) | instid1(VALU_DEP_2)
	v_lshlrev_b32_e32 v160, 2, v160
	v_or_b32_e32 v38, v38, v151
	s_delay_alu instid0(VALU_DEP_1) | instskip(SKIP_1) | instid1(VALU_DEP_1)
	v_cmp_ne_u32_e32 vcc_lo, 0, v38
	v_and_b32_e32 v161, 3, v151
	v_or3_b32 v50, v160, v50, v161
	s_delay_alu instid0(VALU_DEP_1)
	v_cndmask_b32_e32 v38, 0, v50, vcc_lo
.LBB6_3250:                             ;   in Loop: Header=BB6_3059 Depth=2
	s_or_b32 exec_lo, exec_lo, s23
.LBB6_3251:                             ;   in Loop: Header=BB6_3059 Depth=2
	s_delay_alu instid0(SALU_CYCLE_1) | instskip(SKIP_3) | instid1(VALU_DEP_1)
	s_or_b32 exec_lo, exec_lo, s22
	v_and_b32_e32 v151, 0xff, v51
	s_mov_b32 s7, 0
	s_mov_b32 s23, exec_lo
                                        ; implicit-def: $sgpr22
	v_cmpx_lt_i16_e64 0x7f, v151
	s_xor_b32 s23, exec_lo, s23
	s_cbranch_execnz .LBB6_4177
; %bb.3252:                             ;   in Loop: Header=BB6_3059 Depth=2
	s_or_saveexec_b32 s23, s23
	v_mov_b32_e32 v50, s22
	s_xor_b32 exec_lo, exec_lo, s23
	s_cbranch_execnz .LBB6_4180
.LBB6_3253:                             ;   in Loop: Header=BB6_3059 Depth=2
	s_or_b32 exec_lo, exec_lo, s23
	s_and_saveexec_b32 s22, s7
	s_cbranch_execz .LBB6_3255
.LBB6_3254:                             ;   in Loop: Header=BB6_3059 Depth=2
	v_and_b32_e32 v50, 3, v51
	v_bfe_u32 v161, v51, 2, 5
	v_lshlrev_b32_e32 v162, 24, v51
	s_delay_alu instid0(VALU_DEP_3) | instskip(NEXT) | instid1(VALU_DEP_3)
	v_clz_i32_u32_e32 v151, v50
	v_cmp_eq_u32_e32 vcc_lo, 0, v161
	s_delay_alu instid0(VALU_DEP_2) | instskip(NEXT) | instid1(VALU_DEP_1)
	v_min_u32_e32 v151, 32, v151
	v_subrev_nc_u32_e32 v160, 29, v151
	v_sub_nc_u32_e32 v151, 30, v151
	s_delay_alu instid0(VALU_DEP_2) | instskip(NEXT) | instid1(VALU_DEP_1)
	v_lshlrev_b32_e32 v160, v160, v51
	v_dual_cndmask_b32 v151, v161, v151 :: v_dual_and_b32 v160, 3, v160
	s_delay_alu instid0(VALU_DEP_1) | instskip(NEXT) | instid1(VALU_DEP_2)
	v_lshl_add_u32 v151, v151, 23, 0x37800000
	v_cndmask_b32_e32 v50, v50, v160, vcc_lo
	v_and_b32_e32 v160, 0x80000000, v162
	s_delay_alu instid0(VALU_DEP_2) | instskip(NEXT) | instid1(VALU_DEP_1)
	v_lshlrev_b32_e32 v50, 21, v50
	v_or3_b32 v50, v160, v151, v50
.LBB6_3255:                             ;   in Loop: Header=BB6_3059 Depth=2
	s_or_b32 exec_lo, exec_lo, s22
	v_and_b32_e32 v160, 0xff, v39
	s_mov_b32 s7, 0
	s_mov_b32 s23, exec_lo
                                        ; implicit-def: $sgpr22
	s_delay_alu instid0(VALU_DEP_1)
	v_cmpx_lt_i16_e64 0x7f, v160
	s_xor_b32 s23, exec_lo, s23
	s_cbranch_execnz .LBB6_4181
; %bb.3256:                             ;   in Loop: Header=BB6_3059 Depth=2
	s_or_saveexec_b32 s23, s23
	v_mov_b32_e32 v151, s22
	s_xor_b32 exec_lo, exec_lo, s23
	s_cbranch_execnz .LBB6_4184
.LBB6_3257:                             ;   in Loop: Header=BB6_3059 Depth=2
	s_or_b32 exec_lo, exec_lo, s23
	s_and_saveexec_b32 s22, s7
	s_cbranch_execz .LBB6_3259
.LBB6_3258:                             ;   in Loop: Header=BB6_3059 Depth=2
	v_bfe_u32 v162, v39, 2, 5
	v_lshlrev_b32_e32 v163, 24, v39
	s_delay_alu instid0(VALU_DEP_2) | instskip(SKIP_1) | instid1(VALU_DEP_1)
	v_cmp_eq_u32_e32 vcc_lo, 0, v162
	v_and_b32_e32 v151, 3, v39
	v_clz_i32_u32_e32 v160, v151
	s_delay_alu instid0(VALU_DEP_1) | instskip(NEXT) | instid1(VALU_DEP_1)
	v_min_u32_e32 v160, 32, v160
	v_subrev_nc_u32_e32 v161, 29, v160
	v_sub_nc_u32_e32 v160, 30, v160
	s_delay_alu instid0(VALU_DEP_1) | instskip(NEXT) | instid1(VALU_DEP_1)
	v_dual_cndmask_b32 v160, v162, v160 :: v_dual_lshlrev_b32 v161, v161, v39
	v_and_b32_e32 v161, 3, v161
	s_delay_alu instid0(VALU_DEP_2) | instskip(NEXT) | instid1(VALU_DEP_2)
	v_lshl_add_u32 v160, v160, 23, 0x37800000
	v_cndmask_b32_e32 v151, v151, v161, vcc_lo
	v_and_b32_e32 v161, 0x80000000, v163
	s_delay_alu instid0(VALU_DEP_2) | instskip(NEXT) | instid1(VALU_DEP_1)
	v_lshlrev_b32_e32 v151, 21, v151
	v_or3_b32 v151, v161, v160, v151
.LBB6_3259:                             ;   in Loop: Header=BB6_3059 Depth=2
	s_or_b32 exec_lo, exec_lo, s22
	s_delay_alu instid0(VALU_DEP_1) | instskip(NEXT) | instid1(VALU_DEP_1)
	v_mul_f32_e32 v151, v50, v151
	v_and_b32_e32 v50, 0x7f800000, v151
	s_delay_alu instid0(VALU_DEP_1)
	v_cmp_ne_u32_e32 vcc_lo, 0x7f800000, v50
	v_mov_b32_e32 v50, 0x80
	s_and_saveexec_b32 s22, vcc_lo
	s_cbranch_execz .LBB6_3267
; %bb.3260:                             ;   in Loop: Header=BB6_3059 Depth=2
	v_mov_b32_e32 v50, 0
	s_mov_b32 s23, exec_lo
	v_cmpx_ne_u32_e32 0, v151
	s_cbranch_execz .LBB6_3266
; %bb.3261:                             ;   in Loop: Header=BB6_3059 Depth=2
	v_bfe_u32 v50, v151, 23, 8
	s_delay_alu instid0(VALU_DEP_1) | instskip(SKIP_1) | instid1(VALU_DEP_2)
	v_sub_nc_u32_e32 v161, 0x70, v50
	v_cmp_gt_u32_e32 vcc_lo, 0x71, v50
	v_dual_cndmask_b32 v161, 0, v161 :: v_dual_and_b32 v160, 0x7fffff, v151
	s_delay_alu instid0(VALU_DEP_1) | instskip(SKIP_2) | instid1(VALU_DEP_4)
	v_or_b32_e32 v162, 0x800000, v160
	v_cmp_eq_u32_e32 vcc_lo, 0, v50
	v_add_nc_u32_e32 v50, 0xffffff91, v50
	v_cndmask_b32_e64 v161, v161, 0x6f, vcc_lo
	s_delay_alu instid0(VALU_DEP_2) | instskip(SKIP_1) | instid1(VALU_DEP_3)
	v_cndmask_b32_e64 v50, v50, 0xffffff92, vcc_lo
	v_cndmask_b32_e32 v160, v162, v160, vcc_lo
	v_lshl_add_u32 v162, 0x200000, v161, -1
	v_lshlrev_b32_e64 v165, v161, 0x100000
	s_delay_alu instid0(VALU_DEP_3) | instskip(SKIP_1) | instid1(VALU_DEP_4)
	v_lshrrev_b32_e32 v163, v161, v160
	v_add_nc_u32_e32 v161, v161, v50
	v_and_b32_e32 v160, v162, v160
	s_delay_alu instid0(VALU_DEP_3) | instskip(NEXT) | instid1(VALU_DEP_2)
	v_bfe_u32 v164, v163, 21, 1
	v_cmp_eq_u32_e64 s7, v160, v165
	s_delay_alu instid0(VALU_DEP_2) | instskip(NEXT) | instid1(VALU_DEP_1)
	v_add_nc_u32_e32 v162, -1, v164
	v_cndmask_b32_e64 v160, 0, v162, s7
	v_lshrrev_b32_e32 v162, 23, v163
	s_mov_b32 s7, exec_lo
	s_delay_alu instid0(VALU_DEP_2) | instskip(NEXT) | instid1(VALU_DEP_2)
	v_add_nc_u32_e32 v160, v160, v163
	v_xor_b32_e32 v162, 1, v162
	s_delay_alu instid0(VALU_DEP_2) | instskip(NEXT) | instid1(VALU_DEP_1)
	v_and_b32_e32 v50, 0x1fffff, v160
	v_add_nc_u32_e32 v160, v50, v163
                                        ; implicit-def: $vgpr50
	s_delay_alu instid0(VALU_DEP_3)
	v_cmpx_ne_u32_e64 v161, v162
	s_xor_b32 s7, exec_lo, s7
; %bb.3262:                             ;   in Loop: Header=BB6_3059 Depth=2
	s_delay_alu instid0(VALU_DEP_2) | instskip(SKIP_2) | instid1(VALU_DEP_2)
	v_cmp_lt_u32_e32 vcc_lo, 0xffffff, v160
	v_sub_nc_u32_e32 v50, v161, v162
	v_cndmask_b32_e64 v161, 0, 1, vcc_lo
	v_add_co_ci_u32_e32 v50, vcc_lo, 0, v50, vcc_lo
	s_delay_alu instid0(VALU_DEP_2)
	v_lshrrev_b32_e32 v160, v161, v160
; %bb.3263:                             ;   in Loop: Header=BB6_3059 Depth=2
	s_and_not1_saveexec_b32 s7, s7
; %bb.3264:                             ;   in Loop: Header=BB6_3059 Depth=2
	s_delay_alu instid0(VALU_DEP_1)
	v_bfe_u32 v50, v160, 23, 1
; %bb.3265:                             ;   in Loop: Header=BB6_3059 Depth=2
	s_or_b32 exec_lo, exec_lo, s7
	v_lshrrev_b32_e32 v160, 21, v160
	s_delay_alu instid0(VALU_DEP_2) | instskip(SKIP_2) | instid1(VALU_DEP_2)
	v_cmp_gt_i32_e32 vcc_lo, 32, v50
	v_lshrrev_b32_e32 v151, 24, v151
	v_min_i32_e32 v161, 31, v50
	v_dual_cndmask_b32 v160, 3, v160 :: v_dual_and_b32 v151, 0x80, v151
	s_delay_alu instid0(VALU_DEP_1) | instskip(SKIP_1) | instid1(VALU_DEP_2)
	v_or_b32_e32 v50, v50, v160
	v_and_b32_e32 v162, 3, v160
	v_cmp_ne_u32_e32 vcc_lo, 0, v50
	v_lshlrev_b32_e32 v161, 2, v161
	s_delay_alu instid0(VALU_DEP_1) | instskip(NEXT) | instid1(VALU_DEP_1)
	v_or3_b32 v151, v161, v151, v162
	v_cndmask_b32_e32 v50, 0, v151, vcc_lo
.LBB6_3266:                             ;   in Loop: Header=BB6_3059 Depth=2
	s_or_b32 exec_lo, exec_lo, s23
.LBB6_3267:                             ;   in Loop: Header=BB6_3059 Depth=2
	s_delay_alu instid0(SALU_CYCLE_1) | instskip(SKIP_3) | instid1(VALU_DEP_1)
	s_or_b32 exec_lo, exec_lo, s22
	v_lshrrev_b16 v160, 8, v51
	s_mov_b32 s7, 0
	s_mov_b32 s23, exec_lo
                                        ; implicit-def: $sgpr22
	v_cmpx_lt_i16_e64 0x7f, v160
	s_xor_b32 s23, exec_lo, s23
	s_cbranch_execnz .LBB6_4185
; %bb.3268:                             ;   in Loop: Header=BB6_3059 Depth=2
	s_or_saveexec_b32 s23, s23
	v_mov_b32_e32 v151, s22
	s_xor_b32 exec_lo, exec_lo, s23
	s_cbranch_execnz .LBB6_4188
.LBB6_3269:                             ;   in Loop: Header=BB6_3059 Depth=2
	s_or_b32 exec_lo, exec_lo, s23
	s_and_saveexec_b32 s22, s7
	s_cbranch_execz .LBB6_3271
.LBB6_3270:                             ;   in Loop: Header=BB6_3059 Depth=2
	v_and_b32_e32 v151, 0xffff, v160
	s_delay_alu instid0(VALU_DEP_1) | instskip(NEXT) | instid1(VALU_DEP_1)
	v_and_b32_e32 v161, 3, v151
	v_clz_i32_u32_e32 v162, v161
	s_delay_alu instid0(VALU_DEP_1) | instskip(NEXT) | instid1(VALU_DEP_1)
	v_min_u32_e32 v162, 32, v162
	v_subrev_nc_u32_e32 v163, 29, v162
	v_sub_nc_u32_e32 v162, 30, v162
	s_delay_alu instid0(VALU_DEP_2) | instskip(SKIP_1) | instid1(VALU_DEP_2)
	v_lshlrev_b32_e32 v163, v163, v151
	v_bfe_u32 v151, v151, 2, 5
	v_and_b32_e32 v163, 3, v163
	s_delay_alu instid0(VALU_DEP_2) | instskip(SKIP_1) | instid1(VALU_DEP_1)
	v_cmp_eq_u32_e32 vcc_lo, 0, v151
	v_dual_cndmask_b32 v151, v151, v162 :: v_dual_lshlrev_b32 v160, 24, v160
	v_dual_cndmask_b32 v161, v161, v163 :: v_dual_and_b32 v160, 0x80000000, v160
	s_delay_alu instid0(VALU_DEP_2) | instskip(NEXT) | instid1(VALU_DEP_2)
	v_lshl_add_u32 v151, v151, 23, 0x37800000
	v_lshlrev_b32_e32 v161, 21, v161
	s_delay_alu instid0(VALU_DEP_1)
	v_or3_b32 v151, v160, v151, v161
.LBB6_3271:                             ;   in Loop: Header=BB6_3059 Depth=2
	s_or_b32 exec_lo, exec_lo, s22
	v_lshrrev_b16 v160, 8, v39
	s_mov_b32 s7, 0
	s_mov_b32 s23, exec_lo
                                        ; implicit-def: $sgpr22
	s_delay_alu instid0(VALU_DEP_1)
	v_cmpx_lt_i16_e64 0x7f, v160
	s_xor_b32 s23, exec_lo, s23
	s_cbranch_execnz .LBB6_4189
; %bb.3272:                             ;   in Loop: Header=BB6_3059 Depth=2
	s_or_saveexec_b32 s23, s23
	v_mov_b32_e32 v161, s22
	s_xor_b32 exec_lo, exec_lo, s23
	s_cbranch_execnz .LBB6_4192
.LBB6_3273:                             ;   in Loop: Header=BB6_3059 Depth=2
	s_or_b32 exec_lo, exec_lo, s23
	s_and_saveexec_b32 s22, s7
	s_cbranch_execz .LBB6_3275
.LBB6_3274:                             ;   in Loop: Header=BB6_3059 Depth=2
	v_and_b32_e32 v161, 0xffff, v160
	v_lshlrev_b32_e32 v160, 24, v160
	s_delay_alu instid0(VALU_DEP_2) | instskip(NEXT) | instid1(VALU_DEP_2)
	v_and_b32_e32 v162, 3, v161
	v_and_b32_e32 v160, 0x80000000, v160
	s_delay_alu instid0(VALU_DEP_2) | instskip(NEXT) | instid1(VALU_DEP_1)
	v_clz_i32_u32_e32 v163, v162
	v_min_u32_e32 v163, 32, v163
	s_delay_alu instid0(VALU_DEP_1) | instskip(SKIP_1) | instid1(VALU_DEP_2)
	v_subrev_nc_u32_e32 v164, 29, v163
	v_sub_nc_u32_e32 v163, 30, v163
	v_lshlrev_b32_e32 v164, v164, v161
	v_bfe_u32 v161, v161, 2, 5
	s_delay_alu instid0(VALU_DEP_2) | instskip(NEXT) | instid1(VALU_DEP_2)
	v_and_b32_e32 v164, 3, v164
	v_cmp_eq_u32_e32 vcc_lo, 0, v161
	s_delay_alu instid0(VALU_DEP_2) | instskip(NEXT) | instid1(VALU_DEP_1)
	v_dual_cndmask_b32 v161, v161, v163 :: v_dual_cndmask_b32 v162, v162, v164
	v_lshl_add_u32 v161, v161, 23, 0x37800000
	s_delay_alu instid0(VALU_DEP_2) | instskip(NEXT) | instid1(VALU_DEP_1)
	v_lshlrev_b32_e32 v162, 21, v162
	v_or3_b32 v161, v160, v161, v162
.LBB6_3275:                             ;   in Loop: Header=BB6_3059 Depth=2
	s_or_b32 exec_lo, exec_lo, s22
	s_delay_alu instid0(VALU_DEP_1) | instskip(NEXT) | instid1(VALU_DEP_1)
	v_mul_f32_e32 v160, v151, v161
	v_and_b32_e32 v151, 0x7f800000, v160
	s_delay_alu instid0(VALU_DEP_1)
	v_cmp_ne_u32_e32 vcc_lo, 0x7f800000, v151
	v_mov_b32_e32 v151, 0x8000
	s_and_saveexec_b32 s22, vcc_lo
	s_cbranch_execz .LBB6_3283
; %bb.3276:                             ;   in Loop: Header=BB6_3059 Depth=2
	v_mov_b32_e32 v151, 0
	s_mov_b32 s23, exec_lo
	v_cmpx_ne_u32_e32 0, v160
	s_cbranch_execz .LBB6_3282
; %bb.3277:                             ;   in Loop: Header=BB6_3059 Depth=2
	v_bfe_u32 v151, v160, 23, 8
	s_delay_alu instid0(VALU_DEP_1) | instskip(SKIP_1) | instid1(VALU_DEP_2)
	v_sub_nc_u32_e32 v162, 0x70, v151
	v_cmp_gt_u32_e32 vcc_lo, 0x71, v151
	v_dual_cndmask_b32 v162, 0, v162 :: v_dual_and_b32 v161, 0x7fffff, v160
	s_delay_alu instid0(VALU_DEP_1) | instskip(SKIP_2) | instid1(VALU_DEP_4)
	v_or_b32_e32 v163, 0x800000, v161
	v_cmp_eq_u32_e32 vcc_lo, 0, v151
	v_add_nc_u32_e32 v151, 0xffffff91, v151
	v_cndmask_b32_e64 v162, v162, 0x6f, vcc_lo
	s_delay_alu instid0(VALU_DEP_2) | instskip(SKIP_1) | instid1(VALU_DEP_3)
	v_cndmask_b32_e64 v151, v151, 0xffffff92, vcc_lo
	v_cndmask_b32_e32 v161, v163, v161, vcc_lo
	v_lshl_add_u32 v163, 0x200000, v162, -1
	v_lshlrev_b32_e64 v166, v162, 0x100000
	s_delay_alu instid0(VALU_DEP_3) | instskip(SKIP_1) | instid1(VALU_DEP_4)
	v_lshrrev_b32_e32 v164, v162, v161
	v_add_nc_u32_e32 v162, v162, v151
	v_and_b32_e32 v161, v163, v161
	s_delay_alu instid0(VALU_DEP_3) | instskip(NEXT) | instid1(VALU_DEP_2)
	v_bfe_u32 v165, v164, 21, 1
	v_cmp_eq_u32_e64 s7, v161, v166
	s_delay_alu instid0(VALU_DEP_2) | instskip(NEXT) | instid1(VALU_DEP_1)
	v_add_nc_u32_e32 v163, -1, v165
	v_cndmask_b32_e64 v161, 0, v163, s7
	v_lshrrev_b32_e32 v163, 23, v164
	s_mov_b32 s7, exec_lo
	s_delay_alu instid0(VALU_DEP_2) | instskip(NEXT) | instid1(VALU_DEP_2)
	v_add_nc_u32_e32 v161, v161, v164
	v_xor_b32_e32 v163, 1, v163
	s_delay_alu instid0(VALU_DEP_2) | instskip(NEXT) | instid1(VALU_DEP_1)
	v_and_b32_e32 v151, 0x1fffff, v161
	v_add_nc_u32_e32 v161, v151, v164
                                        ; implicit-def: $vgpr151
	s_delay_alu instid0(VALU_DEP_3)
	v_cmpx_ne_u32_e64 v162, v163
	s_xor_b32 s7, exec_lo, s7
; %bb.3278:                             ;   in Loop: Header=BB6_3059 Depth=2
	s_delay_alu instid0(VALU_DEP_2) | instskip(SKIP_2) | instid1(VALU_DEP_2)
	v_cmp_lt_u32_e32 vcc_lo, 0xffffff, v161
	v_sub_nc_u32_e32 v151, v162, v163
	v_cndmask_b32_e64 v162, 0, 1, vcc_lo
	v_add_co_ci_u32_e32 v151, vcc_lo, 0, v151, vcc_lo
	s_delay_alu instid0(VALU_DEP_2)
	v_lshrrev_b32_e32 v161, v162, v161
; %bb.3279:                             ;   in Loop: Header=BB6_3059 Depth=2
	s_and_not1_saveexec_b32 s7, s7
; %bb.3280:                             ;   in Loop: Header=BB6_3059 Depth=2
	s_delay_alu instid0(VALU_DEP_1)
	v_bfe_u32 v151, v161, 23, 1
; %bb.3281:                             ;   in Loop: Header=BB6_3059 Depth=2
	s_or_b32 exec_lo, exec_lo, s7
	v_lshrrev_b32_e32 v161, 21, v161
	s_delay_alu instid0(VALU_DEP_2) | instskip(SKIP_2) | instid1(VALU_DEP_2)
	v_cmp_gt_i32_e32 vcc_lo, 32, v151
	v_min_i32_e32 v162, 31, v151
	v_lshrrev_b32_e32 v160, 24, v160
	v_dual_cndmask_b32 v161, 3, v161 :: v_dual_lshlrev_b32 v162, 2, v162
	s_delay_alu instid0(VALU_DEP_2) | instskip(NEXT) | instid1(VALU_DEP_2)
	v_and_b32_e32 v160, 0x80, v160
	v_or_b32_e32 v151, v151, v161
	v_and_b32_e32 v163, 3, v161
	s_delay_alu instid0(VALU_DEP_2) | instskip(SKIP_1) | instid1(VALU_DEP_1)
	v_cmp_ne_u32_e32 vcc_lo, 0, v151
	v_and_b32_e32 v162, 0xfc, v162
	v_or3_b32 v160, v160, v162, v163
	s_delay_alu instid0(VALU_DEP_1) | instskip(NEXT) | instid1(VALU_DEP_1)
	v_lshlrev_b32_e32 v160, 8, v160
	v_cndmask_b32_e32 v151, 0, v160, vcc_lo
.LBB6_3282:                             ;   in Loop: Header=BB6_3059 Depth=2
	s_or_b32 exec_lo, exec_lo, s23
.LBB6_3283:                             ;   in Loop: Header=BB6_3059 Depth=2
	s_delay_alu instid0(SALU_CYCLE_1) | instskip(SKIP_3) | instid1(VALU_DEP_1)
	s_or_b32 exec_lo, exec_lo, s22
	v_lshrrev_b32_e32 v161, 16, v51
	s_mov_b32 s7, 0
	s_mov_b32 s23, exec_lo
                                        ; implicit-def: $sgpr22
	v_and_b32_e32 v162, 0xff, v161
	s_delay_alu instid0(VALU_DEP_1)
	v_cmpx_lt_i16_e64 0x7f, v162
	s_xor_b32 s23, exec_lo, s23
	s_cbranch_execnz .LBB6_4193
; %bb.3284:                             ;   in Loop: Header=BB6_3059 Depth=2
	s_or_saveexec_b32 s23, s23
	v_mov_b32_e32 v160, s22
	s_xor_b32 exec_lo, exec_lo, s23
	s_cbranch_execnz .LBB6_4196
.LBB6_3285:                             ;   in Loop: Header=BB6_3059 Depth=2
	s_or_b32 exec_lo, exec_lo, s23
	s_and_saveexec_b32 s22, s7
	s_cbranch_execz .LBB6_3287
.LBB6_3286:                             ;   in Loop: Header=BB6_3059 Depth=2
	v_bfe_u32 v160, v51, 16, 2
	v_lshlrev_b32_e32 v164, 8, v51
	s_delay_alu instid0(VALU_DEP_2) | instskip(NEXT) | instid1(VALU_DEP_1)
	v_clz_i32_u32_e32 v162, v160
	v_min_u32_e32 v162, 32, v162
	s_delay_alu instid0(VALU_DEP_1) | instskip(SKIP_1) | instid1(VALU_DEP_2)
	v_subrev_nc_u32_e32 v163, 29, v162
	v_sub_nc_u32_e32 v162, 30, v162
	v_lshlrev_b32_e32 v161, v163, v161
	v_bfe_u32 v163, v51, 18, 5
	s_delay_alu instid0(VALU_DEP_1) | instskip(NEXT) | instid1(VALU_DEP_3)
	v_cmp_eq_u32_e32 vcc_lo, 0, v163
	v_dual_cndmask_b32 v162, v163, v162 :: v_dual_and_b32 v161, 3, v161
	s_delay_alu instid0(VALU_DEP_1) | instskip(NEXT) | instid1(VALU_DEP_2)
	v_dual_cndmask_b32 v160, v160, v161 :: v_dual_and_b32 v161, 0x80000000, v164
	v_lshl_add_u32 v162, v162, 23, 0x37800000
	s_delay_alu instid0(VALU_DEP_2) | instskip(NEXT) | instid1(VALU_DEP_1)
	v_lshlrev_b32_e32 v160, 21, v160
	v_or3_b32 v160, v161, v162, v160
.LBB6_3287:                             ;   in Loop: Header=BB6_3059 Depth=2
	s_or_b32 exec_lo, exec_lo, s22
	v_lshrrev_b32_e32 v161, 16, v39
	s_mov_b32 s7, 0
	s_mov_b32 s23, exec_lo
                                        ; implicit-def: $sgpr22
	s_delay_alu instid0(VALU_DEP_1) | instskip(NEXT) | instid1(VALU_DEP_1)
	v_and_b32_e32 v163, 0xff, v161
	v_cmpx_lt_i16_e64 0x7f, v163
	s_xor_b32 s23, exec_lo, s23
	s_cbranch_execnz .LBB6_4197
; %bb.3288:                             ;   in Loop: Header=BB6_3059 Depth=2
	s_or_saveexec_b32 s23, s23
	v_mov_b32_e32 v162, s22
	s_xor_b32 exec_lo, exec_lo, s23
	s_cbranch_execnz .LBB6_4200
.LBB6_3289:                             ;   in Loop: Header=BB6_3059 Depth=2
	s_or_b32 exec_lo, exec_lo, s23
	s_and_saveexec_b32 s22, s7
	s_cbranch_execz .LBB6_3291
.LBB6_3290:                             ;   in Loop: Header=BB6_3059 Depth=2
	v_bfe_u32 v162, v39, 16, 2
	v_lshlrev_b32_e32 v165, 8, v39
	s_delay_alu instid0(VALU_DEP_2) | instskip(NEXT) | instid1(VALU_DEP_1)
	v_clz_i32_u32_e32 v163, v162
	v_min_u32_e32 v163, 32, v163
	s_delay_alu instid0(VALU_DEP_1) | instskip(SKIP_1) | instid1(VALU_DEP_2)
	v_subrev_nc_u32_e32 v164, 29, v163
	v_sub_nc_u32_e32 v163, 30, v163
	v_lshlrev_b32_e32 v161, v164, v161
	v_bfe_u32 v164, v39, 18, 5
	s_delay_alu instid0(VALU_DEP_2) | instskip(NEXT) | instid1(VALU_DEP_2)
	v_and_b32_e32 v161, 3, v161
	v_cmp_eq_u32_e32 vcc_lo, 0, v164
	v_cndmask_b32_e32 v163, v164, v163, vcc_lo
	s_delay_alu instid0(VALU_DEP_3) | instskip(SKIP_1) | instid1(VALU_DEP_3)
	v_cndmask_b32_e32 v161, v162, v161, vcc_lo
	v_and_b32_e32 v162, 0x80000000, v165
	v_lshl_add_u32 v163, v163, 23, 0x37800000
	s_delay_alu instid0(VALU_DEP_3) | instskip(NEXT) | instid1(VALU_DEP_1)
	v_lshlrev_b32_e32 v161, 21, v161
	v_or3_b32 v162, v162, v163, v161
.LBB6_3291:                             ;   in Loop: Header=BB6_3059 Depth=2
	s_or_b32 exec_lo, exec_lo, s22
	s_delay_alu instid0(VALU_DEP_1) | instskip(NEXT) | instid1(VALU_DEP_1)
	v_mul_f32_e32 v161, v160, v162
	v_and_b32_e32 v160, 0x7f800000, v161
	s_delay_alu instid0(VALU_DEP_1)
	v_cmp_ne_u32_e32 vcc_lo, 0x7f800000, v160
	v_mov_b32_e32 v160, 0x80
	s_and_saveexec_b32 s22, vcc_lo
	s_cbranch_execz .LBB6_3299
; %bb.3292:                             ;   in Loop: Header=BB6_3059 Depth=2
	v_mov_b32_e32 v160, 0
	s_mov_b32 s23, exec_lo
	v_cmpx_ne_u32_e32 0, v161
	s_cbranch_execz .LBB6_3298
; %bb.3293:                             ;   in Loop: Header=BB6_3059 Depth=2
	v_bfe_u32 v160, v161, 23, 8
	s_delay_alu instid0(VALU_DEP_1) | instskip(SKIP_1) | instid1(VALU_DEP_2)
	v_sub_nc_u32_e32 v163, 0x70, v160
	v_cmp_gt_u32_e32 vcc_lo, 0x71, v160
	v_dual_cndmask_b32 v163, 0, v163 :: v_dual_and_b32 v162, 0x7fffff, v161
	s_delay_alu instid0(VALU_DEP_1) | instskip(SKIP_2) | instid1(VALU_DEP_4)
	v_or_b32_e32 v164, 0x800000, v162
	v_cmp_eq_u32_e32 vcc_lo, 0, v160
	v_add_nc_u32_e32 v160, 0xffffff91, v160
	v_cndmask_b32_e64 v163, v163, 0x6f, vcc_lo
	s_delay_alu instid0(VALU_DEP_2) | instskip(SKIP_1) | instid1(VALU_DEP_3)
	v_cndmask_b32_e64 v160, v160, 0xffffff92, vcc_lo
	v_cndmask_b32_e32 v162, v164, v162, vcc_lo
	v_lshl_add_u32 v164, 0x200000, v163, -1
	v_lshlrev_b32_e64 v167, v163, 0x100000
	s_delay_alu instid0(VALU_DEP_3) | instskip(SKIP_1) | instid1(VALU_DEP_4)
	v_lshrrev_b32_e32 v165, v163, v162
	v_add_nc_u32_e32 v163, v163, v160
	v_and_b32_e32 v162, v164, v162
	s_delay_alu instid0(VALU_DEP_3) | instskip(NEXT) | instid1(VALU_DEP_2)
	v_bfe_u32 v166, v165, 21, 1
	v_cmp_eq_u32_e64 s7, v162, v167
	s_delay_alu instid0(VALU_DEP_2) | instskip(NEXT) | instid1(VALU_DEP_1)
	v_add_nc_u32_e32 v164, -1, v166
	v_cndmask_b32_e64 v162, 0, v164, s7
	v_lshrrev_b32_e32 v164, 23, v165
	s_mov_b32 s7, exec_lo
	s_delay_alu instid0(VALU_DEP_2) | instskip(NEXT) | instid1(VALU_DEP_2)
	v_add_nc_u32_e32 v162, v162, v165
	v_xor_b32_e32 v164, 1, v164
	s_delay_alu instid0(VALU_DEP_2) | instskip(NEXT) | instid1(VALU_DEP_1)
	v_and_b32_e32 v160, 0x1fffff, v162
	v_add_nc_u32_e32 v162, v160, v165
                                        ; implicit-def: $vgpr160
	s_delay_alu instid0(VALU_DEP_3)
	v_cmpx_ne_u32_e64 v163, v164
	s_xor_b32 s7, exec_lo, s7
; %bb.3294:                             ;   in Loop: Header=BB6_3059 Depth=2
	s_delay_alu instid0(VALU_DEP_2) | instskip(SKIP_2) | instid1(VALU_DEP_2)
	v_cmp_lt_u32_e32 vcc_lo, 0xffffff, v162
	v_sub_nc_u32_e32 v160, v163, v164
	v_cndmask_b32_e64 v163, 0, 1, vcc_lo
	v_add_co_ci_u32_e32 v160, vcc_lo, 0, v160, vcc_lo
	s_delay_alu instid0(VALU_DEP_2)
	v_lshrrev_b32_e32 v162, v163, v162
; %bb.3295:                             ;   in Loop: Header=BB6_3059 Depth=2
	s_and_not1_saveexec_b32 s7, s7
; %bb.3296:                             ;   in Loop: Header=BB6_3059 Depth=2
	s_delay_alu instid0(VALU_DEP_1)
	v_bfe_u32 v160, v162, 23, 1
; %bb.3297:                             ;   in Loop: Header=BB6_3059 Depth=2
	s_or_b32 exec_lo, exec_lo, s7
	v_lshrrev_b32_e32 v162, 21, v162
	s_delay_alu instid0(VALU_DEP_2) | instskip(SKIP_2) | instid1(VALU_DEP_2)
	v_cmp_gt_i32_e32 vcc_lo, 32, v160
	v_min_i32_e32 v163, 31, v160
	v_lshrrev_b32_e32 v161, 24, v161
	v_dual_cndmask_b32 v162, 3, v162 :: v_dual_lshlrev_b32 v163, 2, v163
	s_delay_alu instid0(VALU_DEP_2) | instskip(NEXT) | instid1(VALU_DEP_2)
	v_and_b32_e32 v161, 0x80, v161
	v_or_b32_e32 v160, v160, v162
	v_and_b32_e32 v164, 3, v162
	s_delay_alu instid0(VALU_DEP_2) | instskip(SKIP_1) | instid1(VALU_DEP_1)
	v_cmp_ne_u32_e32 vcc_lo, 0, v160
	v_and_b32_e32 v163, 0xfc, v163
	v_or3_b32 v161, v163, v161, v164
	s_delay_alu instid0(VALU_DEP_1)
	v_cndmask_b32_e32 v160, 0, v161, vcc_lo
.LBB6_3298:                             ;   in Loop: Header=BB6_3059 Depth=2
	s_or_b32 exec_lo, exec_lo, s23
.LBB6_3299:                             ;   in Loop: Header=BB6_3059 Depth=2
	s_delay_alu instid0(SALU_CYCLE_1) | instskip(SKIP_3) | instid1(VALU_DEP_1)
	s_or_b32 exec_lo, exec_lo, s22
	v_lshrrev_b32_e32 v162, 24, v51
	s_mov_b32 s7, 0
	s_mov_b32 s23, exec_lo
                                        ; implicit-def: $sgpr22
	v_cmpx_lt_i16_e64 0x7f, v162
	s_xor_b32 s23, exec_lo, s23
	s_cbranch_execnz .LBB6_4201
; %bb.3300:                             ;   in Loop: Header=BB6_3059 Depth=2
	s_or_saveexec_b32 s23, s23
	v_mov_b32_e32 v161, s22
	s_xor_b32 exec_lo, exec_lo, s23
	s_cbranch_execnz .LBB6_4204
.LBB6_3301:                             ;   in Loop: Header=BB6_3059 Depth=2
	s_or_b32 exec_lo, exec_lo, s23
	s_and_saveexec_b32 s22, s7
	s_cbranch_execz .LBB6_3303
.LBB6_3302:                             ;   in Loop: Header=BB6_3059 Depth=2
	v_bfe_u32 v161, v51, 24, 2
	s_delay_alu instid0(VALU_DEP_1) | instskip(NEXT) | instid1(VALU_DEP_1)
	v_clz_i32_u32_e32 v163, v161
	v_min_u32_e32 v163, 32, v163
	s_delay_alu instid0(VALU_DEP_1) | instskip(SKIP_1) | instid1(VALU_DEP_2)
	v_subrev_nc_u32_e32 v164, 29, v163
	v_sub_nc_u32_e32 v163, 30, v163
	v_lshlrev_b32_e32 v162, v164, v162
	v_bfe_u32 v164, v51, 26, 5
	v_and_b32_e32 v51, 0x80000000, v51
	s_delay_alu instid0(VALU_DEP_2) | instskip(NEXT) | instid1(VALU_DEP_4)
	v_cmp_eq_u32_e32 vcc_lo, 0, v164
	v_dual_cndmask_b32 v163, v164, v163 :: v_dual_and_b32 v162, 3, v162
	s_delay_alu instid0(VALU_DEP_1) | instskip(NEXT) | instid1(VALU_DEP_2)
	v_cndmask_b32_e32 v161, v161, v162, vcc_lo
	v_lshl_add_u32 v162, v163, 23, 0x37800000
	s_delay_alu instid0(VALU_DEP_2) | instskip(NEXT) | instid1(VALU_DEP_1)
	v_lshlrev_b32_e32 v161, 21, v161
	v_or3_b32 v161, v51, v162, v161
.LBB6_3303:                             ;   in Loop: Header=BB6_3059 Depth=2
	s_or_b32 exec_lo, exec_lo, s22
	v_lshrrev_b32_e32 v51, 24, v39
	s_mov_b32 s7, 0
	s_mov_b32 s23, exec_lo
                                        ; implicit-def: $sgpr22
	s_delay_alu instid0(VALU_DEP_1)
	v_cmpx_lt_i16_e32 0x7f, v51
	s_xor_b32 s23, exec_lo, s23
	s_cbranch_execnz .LBB6_4205
; %bb.3304:                             ;   in Loop: Header=BB6_3059 Depth=2
	s_or_saveexec_b32 s23, s23
	v_mov_b32_e32 v162, s22
	s_xor_b32 exec_lo, exec_lo, s23
	s_cbranch_execnz .LBB6_4208
.LBB6_3305:                             ;   in Loop: Header=BB6_3059 Depth=2
	s_or_b32 exec_lo, exec_lo, s23
	s_and_saveexec_b32 s22, s7
	s_cbranch_execz .LBB6_3307
.LBB6_3306:                             ;   in Loop: Header=BB6_3059 Depth=2
	v_bfe_u32 v162, v39, 24, 2
	s_delay_alu instid0(VALU_DEP_1) | instskip(NEXT) | instid1(VALU_DEP_1)
	v_clz_i32_u32_e32 v163, v162
	v_min_u32_e32 v163, 32, v163
	s_delay_alu instid0(VALU_DEP_1) | instskip(SKIP_1) | instid1(VALU_DEP_2)
	v_subrev_nc_u32_e32 v164, 29, v163
	v_sub_nc_u32_e32 v163, 30, v163
	v_lshlrev_b32_e32 v51, v164, v51
	v_bfe_u32 v164, v39, 26, 5
	v_and_b32_e32 v39, 0x80000000, v39
	s_delay_alu instid0(VALU_DEP_3) | instskip(NEXT) | instid1(VALU_DEP_3)
	v_and_b32_e32 v51, 3, v51
	v_cmp_eq_u32_e32 vcc_lo, 0, v164
	v_cndmask_b32_e32 v163, v164, v163, vcc_lo
	s_delay_alu instid0(VALU_DEP_3) | instskip(NEXT) | instid1(VALU_DEP_2)
	v_cndmask_b32_e32 v51, v162, v51, vcc_lo
	v_lshl_add_u32 v162, v163, 23, 0x37800000
	s_delay_alu instid0(VALU_DEP_2) | instskip(NEXT) | instid1(VALU_DEP_1)
	v_lshlrev_b32_e32 v51, 21, v51
	v_or3_b32 v162, v39, v162, v51
.LBB6_3307:                             ;   in Loop: Header=BB6_3059 Depth=2
	s_or_b32 exec_lo, exec_lo, s22
	s_delay_alu instid0(VALU_DEP_1) | instskip(NEXT) | instid1(VALU_DEP_1)
	v_mul_f32_e32 v51, v161, v162
	v_and_b32_e32 v39, 0x7f800000, v51
	s_delay_alu instid0(VALU_DEP_1)
	v_cmp_ne_u32_e32 vcc_lo, 0x7f800000, v39
	v_mov_b32_e32 v39, 0x8000
	s_and_saveexec_b32 s22, vcc_lo
	s_cbranch_execz .LBB6_3315
; %bb.3308:                             ;   in Loop: Header=BB6_3059 Depth=2
	v_mov_b32_e32 v39, 0
	s_mov_b32 s23, exec_lo
	v_cmpx_ne_u32_e32 0, v51
	s_cbranch_execz .LBB6_3314
; %bb.3309:                             ;   in Loop: Header=BB6_3059 Depth=2
	v_bfe_u32 v39, v51, 23, 8
	s_delay_alu instid0(VALU_DEP_1) | instskip(SKIP_1) | instid1(VALU_DEP_2)
	v_sub_nc_u32_e32 v162, 0x70, v39
	v_cmp_gt_u32_e32 vcc_lo, 0x71, v39
	v_dual_cndmask_b32 v162, 0, v162 :: v_dual_and_b32 v161, 0x7fffff, v51
	s_delay_alu instid0(VALU_DEP_1) | instskip(SKIP_2) | instid1(VALU_DEP_4)
	v_or_b32_e32 v163, 0x800000, v161
	v_cmp_eq_u32_e32 vcc_lo, 0, v39
	v_add_nc_u32_e32 v39, 0xffffff91, v39
	v_cndmask_b32_e64 v162, v162, 0x6f, vcc_lo
	s_delay_alu instid0(VALU_DEP_2) | instskip(SKIP_1) | instid1(VALU_DEP_3)
	v_cndmask_b32_e64 v39, v39, 0xffffff92, vcc_lo
	v_cndmask_b32_e32 v161, v163, v161, vcc_lo
	v_lshl_add_u32 v163, 0x200000, v162, -1
	v_lshlrev_b32_e64 v166, v162, 0x100000
	s_delay_alu instid0(VALU_DEP_3) | instskip(SKIP_1) | instid1(VALU_DEP_4)
	v_lshrrev_b32_e32 v164, v162, v161
	v_add_nc_u32_e32 v162, v162, v39
	v_and_b32_e32 v161, v163, v161
	s_delay_alu instid0(VALU_DEP_3) | instskip(NEXT) | instid1(VALU_DEP_2)
	v_bfe_u32 v165, v164, 21, 1
	v_cmp_eq_u32_e64 s7, v161, v166
	s_delay_alu instid0(VALU_DEP_2) | instskip(NEXT) | instid1(VALU_DEP_1)
	v_add_nc_u32_e32 v163, -1, v165
	v_cndmask_b32_e64 v161, 0, v163, s7
	v_lshrrev_b32_e32 v163, 23, v164
	s_mov_b32 s7, exec_lo
	s_delay_alu instid0(VALU_DEP_2) | instskip(NEXT) | instid1(VALU_DEP_2)
	v_add_nc_u32_e32 v161, v161, v164
	v_xor_b32_e32 v163, 1, v163
	s_delay_alu instid0(VALU_DEP_2) | instskip(NEXT) | instid1(VALU_DEP_1)
	v_and_b32_e32 v39, 0x1fffff, v161
	v_add_nc_u32_e32 v161, v39, v164
                                        ; implicit-def: $vgpr39
	s_delay_alu instid0(VALU_DEP_3)
	v_cmpx_ne_u32_e64 v162, v163
	s_xor_b32 s7, exec_lo, s7
; %bb.3310:                             ;   in Loop: Header=BB6_3059 Depth=2
	s_delay_alu instid0(VALU_DEP_2) | instskip(SKIP_2) | instid1(VALU_DEP_2)
	v_cmp_lt_u32_e32 vcc_lo, 0xffffff, v161
	v_sub_nc_u32_e32 v39, v162, v163
	v_cndmask_b32_e64 v162, 0, 1, vcc_lo
	v_add_co_ci_u32_e32 v39, vcc_lo, 0, v39, vcc_lo
	s_delay_alu instid0(VALU_DEP_2)
	v_lshrrev_b32_e32 v161, v162, v161
; %bb.3311:                             ;   in Loop: Header=BB6_3059 Depth=2
	s_and_not1_saveexec_b32 s7, s7
; %bb.3312:                             ;   in Loop: Header=BB6_3059 Depth=2
	s_delay_alu instid0(VALU_DEP_1)
	v_bfe_u32 v39, v161, 23, 1
; %bb.3313:                             ;   in Loop: Header=BB6_3059 Depth=2
	s_or_b32 exec_lo, exec_lo, s7
	v_lshrrev_b32_e32 v161, 21, v161
	s_delay_alu instid0(VALU_DEP_2) | instskip(SKIP_2) | instid1(VALU_DEP_2)
	v_cmp_gt_i32_e32 vcc_lo, 32, v39
	v_min_i32_e32 v162, 31, v39
	v_lshrrev_b32_e32 v51, 24, v51
	v_dual_cndmask_b32 v161, 3, v161 :: v_dual_lshlrev_b32 v162, 2, v162
	s_delay_alu instid0(VALU_DEP_2) | instskip(NEXT) | instid1(VALU_DEP_2)
	v_and_b32_e32 v51, 0x80, v51
	v_or_b32_e32 v39, v39, v161
	v_and_b32_e32 v163, 3, v161
	s_delay_alu instid0(VALU_DEP_2) | instskip(SKIP_1) | instid1(VALU_DEP_1)
	v_cmp_ne_u32_e32 vcc_lo, 0, v39
	v_and_b32_e32 v162, 0xfc, v162
	v_or3_b32 v51, v51, v162, v163
	s_delay_alu instid0(VALU_DEP_1) | instskip(NEXT) | instid1(VALU_DEP_1)
	v_lshlrev_b32_e32 v51, 8, v51
	v_cndmask_b32_e32 v39, 0, v51, vcc_lo
.LBB6_3314:                             ;   in Loop: Header=BB6_3059 Depth=2
	s_or_b32 exec_lo, exec_lo, s23
.LBB6_3315:                             ;   in Loop: Header=BB6_3059 Depth=2
	s_delay_alu instid0(SALU_CYCLE_1) | instskip(SKIP_3) | instid1(VALU_DEP_1)
	s_or_b32 exec_lo, exec_lo, s22
	v_and_b32_e32 v161, 0xff, v32
	s_mov_b32 s7, 0
	s_mov_b32 s23, exec_lo
                                        ; implicit-def: $sgpr22
	v_cmpx_lt_i16_e64 0x7f, v161
	s_xor_b32 s23, exec_lo, s23
	s_cbranch_execnz .LBB6_4209
; %bb.3316:                             ;   in Loop: Header=BB6_3059 Depth=2
	s_or_saveexec_b32 s23, s23
	v_mov_b32_e32 v51, s22
	s_xor_b32 exec_lo, exec_lo, s23
	s_cbranch_execnz .LBB6_4212
.LBB6_3317:                             ;   in Loop: Header=BB6_3059 Depth=2
	s_or_b32 exec_lo, exec_lo, s23
	s_and_saveexec_b32 s22, s7
	s_cbranch_execz .LBB6_3319
.LBB6_3318:                             ;   in Loop: Header=BB6_3059 Depth=2
	v_and_b32_e32 v51, 3, v32
	v_bfe_u32 v163, v32, 2, 5
	s_delay_alu instid0(VALU_DEP_2) | instskip(NEXT) | instid1(VALU_DEP_2)
	v_clz_i32_u32_e32 v161, v51
	v_cmp_eq_u32_e32 vcc_lo, 0, v163
	s_delay_alu instid0(VALU_DEP_2) | instskip(NEXT) | instid1(VALU_DEP_1)
	v_min_u32_e32 v161, 32, v161
	v_subrev_nc_u32_e32 v162, 29, v161
	v_sub_nc_u32_e32 v161, 30, v161
	s_delay_alu instid0(VALU_DEP_1) | instskip(NEXT) | instid1(VALU_DEP_1)
	v_dual_cndmask_b32 v161, v163, v161 :: v_dual_lshlrev_b32 v162, v162, v32
	v_and_b32_e32 v162, 3, v162
	v_lshlrev_b32_e32 v164, 24, v32
	s_delay_alu instid0(VALU_DEP_3) | instskip(NEXT) | instid1(VALU_DEP_2)
	v_lshl_add_u32 v161, v161, 23, 0x37800000
	v_dual_cndmask_b32 v51, v51, v162 :: v_dual_and_b32 v162, 0x80000000, v164
	s_delay_alu instid0(VALU_DEP_1) | instskip(NEXT) | instid1(VALU_DEP_1)
	v_lshlrev_b32_e32 v51, 21, v51
	v_or3_b32 v51, v162, v161, v51
.LBB6_3319:                             ;   in Loop: Header=BB6_3059 Depth=2
	s_or_b32 exec_lo, exec_lo, s22
	s_waitcnt vmcnt(2)
	v_and_b32_e32 v162, 0xff, v26
	s_mov_b32 s7, 0
	s_mov_b32 s23, exec_lo
                                        ; implicit-def: $sgpr22
	s_delay_alu instid0(VALU_DEP_1)
	v_cmpx_lt_i16_e64 0x7f, v162
	s_xor_b32 s23, exec_lo, s23
	s_cbranch_execnz .LBB6_4213
; %bb.3320:                             ;   in Loop: Header=BB6_3059 Depth=2
	s_or_saveexec_b32 s23, s23
	v_mov_b32_e32 v161, s22
	s_xor_b32 exec_lo, exec_lo, s23
	s_cbranch_execnz .LBB6_4216
.LBB6_3321:                             ;   in Loop: Header=BB6_3059 Depth=2
	s_or_b32 exec_lo, exec_lo, s23
	s_and_saveexec_b32 s22, s7
	s_cbranch_execz .LBB6_3323
.LBB6_3322:                             ;   in Loop: Header=BB6_3059 Depth=2
	v_and_b32_e32 v161, 3, v26
	v_bfe_u32 v164, v26, 2, 5
	v_lshlrev_b32_e32 v165, 24, v26
	s_delay_alu instid0(VALU_DEP_3) | instskip(NEXT) | instid1(VALU_DEP_3)
	v_clz_i32_u32_e32 v162, v161
	v_cmp_eq_u32_e32 vcc_lo, 0, v164
	s_delay_alu instid0(VALU_DEP_2) | instskip(NEXT) | instid1(VALU_DEP_1)
	v_min_u32_e32 v162, 32, v162
	v_subrev_nc_u32_e32 v163, 29, v162
	v_sub_nc_u32_e32 v162, 30, v162
	s_delay_alu instid0(VALU_DEP_2) | instskip(NEXT) | instid1(VALU_DEP_1)
	v_lshlrev_b32_e32 v163, v163, v26
	v_dual_cndmask_b32 v162, v164, v162 :: v_dual_and_b32 v163, 3, v163
	s_delay_alu instid0(VALU_DEP_1) | instskip(NEXT) | instid1(VALU_DEP_2)
	v_lshl_add_u32 v162, v162, 23, 0x37800000
	v_cndmask_b32_e32 v161, v161, v163, vcc_lo
	v_and_b32_e32 v163, 0x80000000, v165
	s_delay_alu instid0(VALU_DEP_2) | instskip(NEXT) | instid1(VALU_DEP_1)
	v_lshlrev_b32_e32 v161, 21, v161
	v_or3_b32 v161, v163, v162, v161
.LBB6_3323:                             ;   in Loop: Header=BB6_3059 Depth=2
	s_or_b32 exec_lo, exec_lo, s22
	s_delay_alu instid0(VALU_DEP_1) | instskip(NEXT) | instid1(VALU_DEP_1)
	v_mul_f32_e32 v161, v51, v161
	v_and_b32_e32 v51, 0x7f800000, v161
	s_delay_alu instid0(VALU_DEP_1)
	v_cmp_ne_u32_e32 vcc_lo, 0x7f800000, v51
	v_mov_b32_e32 v51, 0x80
	s_and_saveexec_b32 s22, vcc_lo
	s_cbranch_execz .LBB6_3331
; %bb.3324:                             ;   in Loop: Header=BB6_3059 Depth=2
	v_mov_b32_e32 v51, 0
	s_mov_b32 s23, exec_lo
	v_cmpx_ne_u32_e32 0, v161
	s_cbranch_execz .LBB6_3330
; %bb.3325:                             ;   in Loop: Header=BB6_3059 Depth=2
	v_bfe_u32 v51, v161, 23, 8
	s_delay_alu instid0(VALU_DEP_1) | instskip(SKIP_1) | instid1(VALU_DEP_2)
	v_sub_nc_u32_e32 v163, 0x70, v51
	v_cmp_gt_u32_e32 vcc_lo, 0x71, v51
	v_dual_cndmask_b32 v163, 0, v163 :: v_dual_and_b32 v162, 0x7fffff, v161
	s_delay_alu instid0(VALU_DEP_1) | instskip(SKIP_2) | instid1(VALU_DEP_4)
	v_or_b32_e32 v164, 0x800000, v162
	v_cmp_eq_u32_e32 vcc_lo, 0, v51
	v_add_nc_u32_e32 v51, 0xffffff91, v51
	v_cndmask_b32_e64 v163, v163, 0x6f, vcc_lo
	s_delay_alu instid0(VALU_DEP_4) | instskip(NEXT) | instid1(VALU_DEP_3)
	v_cndmask_b32_e32 v162, v164, v162, vcc_lo
	v_cndmask_b32_e64 v51, v51, 0xffffff92, vcc_lo
	s_delay_alu instid0(VALU_DEP_3) | instskip(NEXT) | instid1(VALU_DEP_3)
	v_lshl_add_u32 v164, 0x200000, v163, -1
	v_lshrrev_b32_e32 v165, v163, v162
	v_lshlrev_b32_e64 v167, v163, 0x100000
	s_delay_alu instid0(VALU_DEP_4) | instskip(NEXT) | instid1(VALU_DEP_4)
	v_add_nc_u32_e32 v163, v163, v51
	v_and_b32_e32 v162, v164, v162
	s_delay_alu instid0(VALU_DEP_4) | instskip(NEXT) | instid1(VALU_DEP_2)
	v_bfe_u32 v166, v165, 21, 1
	v_cmp_eq_u32_e64 s7, v162, v167
	s_delay_alu instid0(VALU_DEP_2) | instskip(NEXT) | instid1(VALU_DEP_1)
	v_add_nc_u32_e32 v164, -1, v166
	v_cndmask_b32_e64 v162, 0, v164, s7
	v_lshrrev_b32_e32 v164, 23, v165
	s_mov_b32 s7, exec_lo
	s_delay_alu instid0(VALU_DEP_2) | instskip(NEXT) | instid1(VALU_DEP_2)
	v_add_nc_u32_e32 v162, v162, v165
	v_xor_b32_e32 v164, 1, v164
	s_delay_alu instid0(VALU_DEP_2) | instskip(NEXT) | instid1(VALU_DEP_1)
	v_and_b32_e32 v51, 0x1fffff, v162
	v_add_nc_u32_e32 v162, v51, v165
                                        ; implicit-def: $vgpr51
	s_delay_alu instid0(VALU_DEP_3)
	v_cmpx_ne_u32_e64 v163, v164
	s_xor_b32 s7, exec_lo, s7
; %bb.3326:                             ;   in Loop: Header=BB6_3059 Depth=2
	s_delay_alu instid0(VALU_DEP_2) | instskip(SKIP_2) | instid1(VALU_DEP_2)
	v_cmp_lt_u32_e32 vcc_lo, 0xffffff, v162
	v_sub_nc_u32_e32 v51, v163, v164
	v_cndmask_b32_e64 v163, 0, 1, vcc_lo
	v_add_co_ci_u32_e32 v51, vcc_lo, 0, v51, vcc_lo
	s_delay_alu instid0(VALU_DEP_2)
	v_lshrrev_b32_e32 v162, v163, v162
; %bb.3327:                             ;   in Loop: Header=BB6_3059 Depth=2
	s_and_not1_saveexec_b32 s7, s7
; %bb.3328:                             ;   in Loop: Header=BB6_3059 Depth=2
	s_delay_alu instid0(VALU_DEP_1)
	v_bfe_u32 v51, v162, 23, 1
; %bb.3329:                             ;   in Loop: Header=BB6_3059 Depth=2
	s_or_b32 exec_lo, exec_lo, s7
	v_lshrrev_b32_e32 v162, 21, v162
	s_delay_alu instid0(VALU_DEP_2) | instskip(SKIP_2) | instid1(VALU_DEP_2)
	v_cmp_gt_i32_e32 vcc_lo, 32, v51
	v_lshrrev_b32_e32 v161, 24, v161
	v_min_i32_e32 v163, 31, v51
	v_dual_cndmask_b32 v162, 3, v162 :: v_dual_and_b32 v161, 0x80, v161
	s_delay_alu instid0(VALU_DEP_2) | instskip(NEXT) | instid1(VALU_DEP_2)
	v_lshlrev_b32_e32 v163, 2, v163
	v_or_b32_e32 v51, v51, v162
	s_delay_alu instid0(VALU_DEP_1) | instskip(SKIP_1) | instid1(VALU_DEP_1)
	v_cmp_ne_u32_e32 vcc_lo, 0, v51
	v_and_b32_e32 v164, 3, v162
	v_or3_b32 v161, v163, v161, v164
	s_delay_alu instid0(VALU_DEP_1)
	v_cndmask_b32_e32 v51, 0, v161, vcc_lo
.LBB6_3330:                             ;   in Loop: Header=BB6_3059 Depth=2
	s_or_b32 exec_lo, exec_lo, s23
.LBB6_3331:                             ;   in Loop: Header=BB6_3059 Depth=2
	s_delay_alu instid0(SALU_CYCLE_1) | instskip(SKIP_3) | instid1(VALU_DEP_1)
	s_or_b32 exec_lo, exec_lo, s22
	v_lshrrev_b16 v162, 8, v32
	s_mov_b32 s7, 0
	s_mov_b32 s23, exec_lo
                                        ; implicit-def: $sgpr22
	v_cmpx_lt_i16_e64 0x7f, v162
	s_xor_b32 s23, exec_lo, s23
	s_cbranch_execnz .LBB6_4217
; %bb.3332:                             ;   in Loop: Header=BB6_3059 Depth=2
	s_or_saveexec_b32 s23, s23
	v_mov_b32_e32 v161, s22
	s_xor_b32 exec_lo, exec_lo, s23
	s_cbranch_execnz .LBB6_4220
.LBB6_3333:                             ;   in Loop: Header=BB6_3059 Depth=2
	s_or_b32 exec_lo, exec_lo, s23
	s_and_saveexec_b32 s22, s7
	s_cbranch_execz .LBB6_3335
.LBB6_3334:                             ;   in Loop: Header=BB6_3059 Depth=2
	v_and_b32_e32 v161, 0xffff, v162
	s_delay_alu instid0(VALU_DEP_1) | instskip(NEXT) | instid1(VALU_DEP_1)
	v_and_b32_e32 v163, 3, v161
	v_clz_i32_u32_e32 v164, v163
	s_delay_alu instid0(VALU_DEP_1) | instskip(NEXT) | instid1(VALU_DEP_1)
	v_min_u32_e32 v164, 32, v164
	v_subrev_nc_u32_e32 v165, 29, v164
	v_sub_nc_u32_e32 v164, 30, v164
	s_delay_alu instid0(VALU_DEP_2) | instskip(SKIP_1) | instid1(VALU_DEP_2)
	v_lshlrev_b32_e32 v165, v165, v161
	v_bfe_u32 v161, v161, 2, 5
	v_and_b32_e32 v165, 3, v165
	s_delay_alu instid0(VALU_DEP_2) | instskip(SKIP_1) | instid1(VALU_DEP_1)
	v_cmp_eq_u32_e32 vcc_lo, 0, v161
	v_dual_cndmask_b32 v161, v161, v164 :: v_dual_lshlrev_b32 v162, 24, v162
	v_dual_cndmask_b32 v163, v163, v165 :: v_dual_and_b32 v162, 0x80000000, v162
	s_delay_alu instid0(VALU_DEP_2) | instskip(NEXT) | instid1(VALU_DEP_2)
	v_lshl_add_u32 v161, v161, 23, 0x37800000
	v_lshlrev_b32_e32 v163, 21, v163
	s_delay_alu instid0(VALU_DEP_1)
	v_or3_b32 v161, v162, v161, v163
.LBB6_3335:                             ;   in Loop: Header=BB6_3059 Depth=2
	s_or_b32 exec_lo, exec_lo, s22
	v_lshrrev_b16 v162, 8, v26
	s_mov_b32 s7, 0
	s_mov_b32 s23, exec_lo
                                        ; implicit-def: $sgpr22
	s_delay_alu instid0(VALU_DEP_1)
	v_cmpx_lt_i16_e64 0x7f, v162
	s_xor_b32 s23, exec_lo, s23
	s_cbranch_execnz .LBB6_4221
; %bb.3336:                             ;   in Loop: Header=BB6_3059 Depth=2
	s_or_saveexec_b32 s23, s23
	v_mov_b32_e32 v163, s22
	s_xor_b32 exec_lo, exec_lo, s23
	s_cbranch_execnz .LBB6_4224
.LBB6_3337:                             ;   in Loop: Header=BB6_3059 Depth=2
	s_or_b32 exec_lo, exec_lo, s23
	s_and_saveexec_b32 s22, s7
	s_cbranch_execz .LBB6_3339
.LBB6_3338:                             ;   in Loop: Header=BB6_3059 Depth=2
	v_and_b32_e32 v163, 0xffff, v162
	v_lshlrev_b32_e32 v162, 24, v162
	s_delay_alu instid0(VALU_DEP_2) | instskip(NEXT) | instid1(VALU_DEP_2)
	v_and_b32_e32 v164, 3, v163
	v_and_b32_e32 v162, 0x80000000, v162
	s_delay_alu instid0(VALU_DEP_2) | instskip(NEXT) | instid1(VALU_DEP_1)
	v_clz_i32_u32_e32 v165, v164
	v_min_u32_e32 v165, 32, v165
	s_delay_alu instid0(VALU_DEP_1) | instskip(SKIP_1) | instid1(VALU_DEP_2)
	v_subrev_nc_u32_e32 v166, 29, v165
	v_sub_nc_u32_e32 v165, 30, v165
	v_lshlrev_b32_e32 v166, v166, v163
	v_bfe_u32 v163, v163, 2, 5
	s_delay_alu instid0(VALU_DEP_2) | instskip(NEXT) | instid1(VALU_DEP_2)
	v_and_b32_e32 v166, 3, v166
	v_cmp_eq_u32_e32 vcc_lo, 0, v163
	s_delay_alu instid0(VALU_DEP_2) | instskip(NEXT) | instid1(VALU_DEP_1)
	v_dual_cndmask_b32 v163, v163, v165 :: v_dual_cndmask_b32 v164, v164, v166
	v_lshl_add_u32 v163, v163, 23, 0x37800000
	s_delay_alu instid0(VALU_DEP_2) | instskip(NEXT) | instid1(VALU_DEP_1)
	v_lshlrev_b32_e32 v164, 21, v164
	v_or3_b32 v163, v162, v163, v164
.LBB6_3339:                             ;   in Loop: Header=BB6_3059 Depth=2
	s_or_b32 exec_lo, exec_lo, s22
	s_delay_alu instid0(VALU_DEP_1) | instskip(NEXT) | instid1(VALU_DEP_1)
	v_mul_f32_e32 v162, v161, v163
	v_and_b32_e32 v161, 0x7f800000, v162
	s_delay_alu instid0(VALU_DEP_1)
	v_cmp_ne_u32_e32 vcc_lo, 0x7f800000, v161
	v_mov_b32_e32 v161, 0x80
	s_and_saveexec_b32 s22, vcc_lo
	s_cbranch_execz .LBB6_3347
; %bb.3340:                             ;   in Loop: Header=BB6_3059 Depth=2
	v_mov_b32_e32 v161, 0
	s_mov_b32 s23, exec_lo
	v_cmpx_ne_u32_e32 0, v162
	s_cbranch_execz .LBB6_3346
; %bb.3341:                             ;   in Loop: Header=BB6_3059 Depth=2
	v_bfe_u32 v161, v162, 23, 8
	s_delay_alu instid0(VALU_DEP_1) | instskip(SKIP_1) | instid1(VALU_DEP_2)
	v_sub_nc_u32_e32 v164, 0x70, v161
	v_cmp_gt_u32_e32 vcc_lo, 0x71, v161
	v_dual_cndmask_b32 v164, 0, v164 :: v_dual_and_b32 v163, 0x7fffff, v162
	s_delay_alu instid0(VALU_DEP_1) | instskip(SKIP_2) | instid1(VALU_DEP_4)
	v_or_b32_e32 v165, 0x800000, v163
	v_cmp_eq_u32_e32 vcc_lo, 0, v161
	v_add_nc_u32_e32 v161, 0xffffff91, v161
	v_cndmask_b32_e64 v164, v164, 0x6f, vcc_lo
	s_delay_alu instid0(VALU_DEP_2) | instskip(SKIP_1) | instid1(VALU_DEP_3)
	v_cndmask_b32_e64 v161, v161, 0xffffff92, vcc_lo
	v_cndmask_b32_e32 v163, v165, v163, vcc_lo
	v_lshl_add_u32 v165, 0x200000, v164, -1
	v_lshlrev_b32_e64 v176, v164, 0x100000
	s_delay_alu instid0(VALU_DEP_3) | instskip(SKIP_1) | instid1(VALU_DEP_4)
	v_lshrrev_b32_e32 v166, v164, v163
	v_add_nc_u32_e32 v164, v164, v161
	v_and_b32_e32 v163, v165, v163
	s_delay_alu instid0(VALU_DEP_3) | instskip(NEXT) | instid1(VALU_DEP_2)
	v_bfe_u32 v167, v166, 21, 1
	v_cmp_eq_u32_e64 s7, v163, v176
	s_delay_alu instid0(VALU_DEP_2) | instskip(NEXT) | instid1(VALU_DEP_1)
	v_add_nc_u32_e32 v165, -1, v167
	v_cndmask_b32_e64 v163, 0, v165, s7
	v_lshrrev_b32_e32 v165, 23, v166
	s_mov_b32 s7, exec_lo
	s_delay_alu instid0(VALU_DEP_2) | instskip(NEXT) | instid1(VALU_DEP_2)
	v_add_nc_u32_e32 v163, v163, v166
	v_xor_b32_e32 v165, 1, v165
	s_delay_alu instid0(VALU_DEP_2) | instskip(NEXT) | instid1(VALU_DEP_1)
	v_and_b32_e32 v161, 0x1fffff, v163
	v_add_nc_u32_e32 v163, v161, v166
                                        ; implicit-def: $vgpr161
	s_delay_alu instid0(VALU_DEP_3)
	v_cmpx_ne_u32_e64 v164, v165
	s_xor_b32 s7, exec_lo, s7
; %bb.3342:                             ;   in Loop: Header=BB6_3059 Depth=2
	s_delay_alu instid0(VALU_DEP_2) | instskip(SKIP_2) | instid1(VALU_DEP_2)
	v_cmp_lt_u32_e32 vcc_lo, 0xffffff, v163
	v_sub_nc_u32_e32 v161, v164, v165
	v_cndmask_b32_e64 v164, 0, 1, vcc_lo
	v_add_co_ci_u32_e32 v161, vcc_lo, 0, v161, vcc_lo
	s_delay_alu instid0(VALU_DEP_2)
	v_lshrrev_b32_e32 v163, v164, v163
; %bb.3343:                             ;   in Loop: Header=BB6_3059 Depth=2
	s_and_not1_saveexec_b32 s7, s7
; %bb.3344:                             ;   in Loop: Header=BB6_3059 Depth=2
	s_delay_alu instid0(VALU_DEP_1)
	v_bfe_u32 v161, v163, 23, 1
; %bb.3345:                             ;   in Loop: Header=BB6_3059 Depth=2
	s_or_b32 exec_lo, exec_lo, s7
	v_lshrrev_b32_e32 v163, 21, v163
	s_delay_alu instid0(VALU_DEP_2) | instskip(SKIP_2) | instid1(VALU_DEP_2)
	v_cmp_gt_i32_e32 vcc_lo, 32, v161
	v_lshrrev_b32_e32 v162, 24, v162
	v_min_i32_e32 v164, 31, v161
	v_dual_cndmask_b32 v163, 3, v163 :: v_dual_and_b32 v162, 0x80, v162
	s_delay_alu instid0(VALU_DEP_1) | instskip(SKIP_1) | instid1(VALU_DEP_2)
	v_or_b32_e32 v161, v161, v163
	v_and_b32_e32 v165, 3, v163
	v_cmp_ne_u32_e32 vcc_lo, 0, v161
	v_lshlrev_b32_e32 v164, 2, v164
	s_delay_alu instid0(VALU_DEP_1) | instskip(NEXT) | instid1(VALU_DEP_1)
	v_or3_b32 v162, v164, v162, v165
	v_cndmask_b32_e32 v161, 0, v162, vcc_lo
.LBB6_3346:                             ;   in Loop: Header=BB6_3059 Depth=2
	s_or_b32 exec_lo, exec_lo, s23
.LBB6_3347:                             ;   in Loop: Header=BB6_3059 Depth=2
	s_delay_alu instid0(SALU_CYCLE_1) | instskip(SKIP_3) | instid1(VALU_DEP_1)
	s_or_b32 exec_lo, exec_lo, s22
	v_lshrrev_b32_e32 v163, 16, v32
	s_mov_b32 s7, 0
	s_mov_b32 s23, exec_lo
                                        ; implicit-def: $sgpr22
	v_and_b32_e32 v164, 0xff, v163
	s_delay_alu instid0(VALU_DEP_1)
	v_cmpx_lt_i16_e64 0x7f, v164
	s_xor_b32 s23, exec_lo, s23
	s_cbranch_execnz .LBB6_4225
; %bb.3348:                             ;   in Loop: Header=BB6_3059 Depth=2
	s_or_saveexec_b32 s23, s23
	v_mov_b32_e32 v162, s22
	s_xor_b32 exec_lo, exec_lo, s23
	s_cbranch_execnz .LBB6_4228
.LBB6_3349:                             ;   in Loop: Header=BB6_3059 Depth=2
	s_or_b32 exec_lo, exec_lo, s23
	s_and_saveexec_b32 s22, s7
	s_cbranch_execz .LBB6_3351
.LBB6_3350:                             ;   in Loop: Header=BB6_3059 Depth=2
	v_bfe_u32 v162, v32, 16, 2
	v_lshlrev_b32_e32 v166, 8, v32
	s_delay_alu instid0(VALU_DEP_2) | instskip(NEXT) | instid1(VALU_DEP_1)
	v_clz_i32_u32_e32 v164, v162
	v_min_u32_e32 v164, 32, v164
	s_delay_alu instid0(VALU_DEP_1) | instskip(SKIP_1) | instid1(VALU_DEP_2)
	v_subrev_nc_u32_e32 v165, 29, v164
	v_sub_nc_u32_e32 v164, 30, v164
	v_lshlrev_b32_e32 v163, v165, v163
	v_bfe_u32 v165, v32, 18, 5
	s_delay_alu instid0(VALU_DEP_1) | instskip(NEXT) | instid1(VALU_DEP_3)
	v_cmp_eq_u32_e32 vcc_lo, 0, v165
	v_dual_cndmask_b32 v164, v165, v164 :: v_dual_and_b32 v163, 3, v163
	s_delay_alu instid0(VALU_DEP_1) | instskip(NEXT) | instid1(VALU_DEP_2)
	v_dual_cndmask_b32 v162, v162, v163 :: v_dual_and_b32 v163, 0x80000000, v166
	v_lshl_add_u32 v164, v164, 23, 0x37800000
	s_delay_alu instid0(VALU_DEP_2) | instskip(NEXT) | instid1(VALU_DEP_1)
	v_lshlrev_b32_e32 v162, 21, v162
	v_or3_b32 v162, v163, v164, v162
.LBB6_3351:                             ;   in Loop: Header=BB6_3059 Depth=2
	s_or_b32 exec_lo, exec_lo, s22
	v_lshrrev_b32_e32 v163, 16, v26
	s_mov_b32 s7, 0
	s_mov_b32 s23, exec_lo
                                        ; implicit-def: $sgpr22
	s_delay_alu instid0(VALU_DEP_1) | instskip(NEXT) | instid1(VALU_DEP_1)
	v_and_b32_e32 v165, 0xff, v163
	v_cmpx_lt_i16_e64 0x7f, v165
	s_xor_b32 s23, exec_lo, s23
	s_cbranch_execnz .LBB6_4229
; %bb.3352:                             ;   in Loop: Header=BB6_3059 Depth=2
	s_or_saveexec_b32 s23, s23
	v_mov_b32_e32 v164, s22
	s_xor_b32 exec_lo, exec_lo, s23
	s_cbranch_execnz .LBB6_4232
.LBB6_3353:                             ;   in Loop: Header=BB6_3059 Depth=2
	s_or_b32 exec_lo, exec_lo, s23
	s_and_saveexec_b32 s22, s7
	s_cbranch_execz .LBB6_3355
.LBB6_3354:                             ;   in Loop: Header=BB6_3059 Depth=2
	v_bfe_u32 v164, v26, 16, 2
	v_lshlrev_b32_e32 v167, 8, v26
	s_delay_alu instid0(VALU_DEP_2) | instskip(NEXT) | instid1(VALU_DEP_1)
	v_clz_i32_u32_e32 v165, v164
	v_min_u32_e32 v165, 32, v165
	s_delay_alu instid0(VALU_DEP_1) | instskip(SKIP_1) | instid1(VALU_DEP_2)
	v_subrev_nc_u32_e32 v166, 29, v165
	v_sub_nc_u32_e32 v165, 30, v165
	v_lshlrev_b32_e32 v163, v166, v163
	v_bfe_u32 v166, v26, 18, 5
	s_delay_alu instid0(VALU_DEP_2) | instskip(NEXT) | instid1(VALU_DEP_2)
	v_and_b32_e32 v163, 3, v163
	v_cmp_eq_u32_e32 vcc_lo, 0, v166
	v_cndmask_b32_e32 v165, v166, v165, vcc_lo
	s_delay_alu instid0(VALU_DEP_3) | instskip(SKIP_1) | instid1(VALU_DEP_3)
	v_cndmask_b32_e32 v163, v164, v163, vcc_lo
	v_and_b32_e32 v164, 0x80000000, v167
	v_lshl_add_u32 v165, v165, 23, 0x37800000
	s_delay_alu instid0(VALU_DEP_3) | instskip(NEXT) | instid1(VALU_DEP_1)
	v_lshlrev_b32_e32 v163, 21, v163
	v_or3_b32 v164, v164, v165, v163
.LBB6_3355:                             ;   in Loop: Header=BB6_3059 Depth=2
	s_or_b32 exec_lo, exec_lo, s22
	s_delay_alu instid0(VALU_DEP_1) | instskip(NEXT) | instid1(VALU_DEP_1)
	v_mul_f32_e32 v163, v162, v164
	v_and_b32_e32 v162, 0x7f800000, v163
	s_delay_alu instid0(VALU_DEP_1)
	v_cmp_ne_u32_e32 vcc_lo, 0x7f800000, v162
	v_mov_b32_e32 v162, 0x80
	s_and_saveexec_b32 s22, vcc_lo
	s_cbranch_execz .LBB6_3363
; %bb.3356:                             ;   in Loop: Header=BB6_3059 Depth=2
	v_mov_b32_e32 v162, 0
	s_mov_b32 s23, exec_lo
	v_cmpx_ne_u32_e32 0, v163
	s_cbranch_execz .LBB6_3362
; %bb.3357:                             ;   in Loop: Header=BB6_3059 Depth=2
	v_bfe_u32 v162, v163, 23, 8
	s_delay_alu instid0(VALU_DEP_1) | instskip(SKIP_1) | instid1(VALU_DEP_2)
	v_sub_nc_u32_e32 v165, 0x70, v162
	v_cmp_gt_u32_e32 vcc_lo, 0x71, v162
	v_dual_cndmask_b32 v165, 0, v165 :: v_dual_and_b32 v164, 0x7fffff, v163
	s_delay_alu instid0(VALU_DEP_1) | instskip(SKIP_2) | instid1(VALU_DEP_4)
	v_or_b32_e32 v166, 0x800000, v164
	v_cmp_eq_u32_e32 vcc_lo, 0, v162
	v_add_nc_u32_e32 v162, 0xffffff91, v162
	v_cndmask_b32_e64 v165, v165, 0x6f, vcc_lo
	s_delay_alu instid0(VALU_DEP_2) | instskip(SKIP_1) | instid1(VALU_DEP_3)
	v_cndmask_b32_e64 v162, v162, 0xffffff92, vcc_lo
	v_cndmask_b32_e32 v164, v166, v164, vcc_lo
	v_lshl_add_u32 v166, 0x200000, v165, -1
	v_lshlrev_b32_e64 v177, v165, 0x100000
	s_delay_alu instid0(VALU_DEP_3) | instskip(SKIP_1) | instid1(VALU_DEP_4)
	v_lshrrev_b32_e32 v167, v165, v164
	v_add_nc_u32_e32 v165, v165, v162
	v_and_b32_e32 v164, v166, v164
	s_delay_alu instid0(VALU_DEP_3) | instskip(NEXT) | instid1(VALU_DEP_2)
	v_bfe_u32 v176, v167, 21, 1
	v_cmp_eq_u32_e64 s7, v164, v177
	s_delay_alu instid0(VALU_DEP_2) | instskip(NEXT) | instid1(VALU_DEP_1)
	v_add_nc_u32_e32 v166, -1, v176
	v_cndmask_b32_e64 v164, 0, v166, s7
	v_lshrrev_b32_e32 v166, 23, v167
	s_mov_b32 s7, exec_lo
	s_delay_alu instid0(VALU_DEP_2) | instskip(NEXT) | instid1(VALU_DEP_2)
	v_add_nc_u32_e32 v164, v164, v167
	v_xor_b32_e32 v166, 1, v166
	s_delay_alu instid0(VALU_DEP_2) | instskip(NEXT) | instid1(VALU_DEP_1)
	v_and_b32_e32 v162, 0x1fffff, v164
	v_add_nc_u32_e32 v164, v162, v167
                                        ; implicit-def: $vgpr162
	s_delay_alu instid0(VALU_DEP_3)
	v_cmpx_ne_u32_e64 v165, v166
	s_xor_b32 s7, exec_lo, s7
; %bb.3358:                             ;   in Loop: Header=BB6_3059 Depth=2
	s_delay_alu instid0(VALU_DEP_2) | instskip(SKIP_2) | instid1(VALU_DEP_2)
	v_cmp_lt_u32_e32 vcc_lo, 0xffffff, v164
	v_sub_nc_u32_e32 v162, v165, v166
	v_cndmask_b32_e64 v165, 0, 1, vcc_lo
	v_add_co_ci_u32_e32 v162, vcc_lo, 0, v162, vcc_lo
	s_delay_alu instid0(VALU_DEP_2)
	v_lshrrev_b32_e32 v164, v165, v164
; %bb.3359:                             ;   in Loop: Header=BB6_3059 Depth=2
	s_and_not1_saveexec_b32 s7, s7
; %bb.3360:                             ;   in Loop: Header=BB6_3059 Depth=2
	s_delay_alu instid0(VALU_DEP_1)
	v_bfe_u32 v162, v164, 23, 1
; %bb.3361:                             ;   in Loop: Header=BB6_3059 Depth=2
	s_or_b32 exec_lo, exec_lo, s7
	v_lshrrev_b32_e32 v164, 21, v164
	s_delay_alu instid0(VALU_DEP_2) | instskip(SKIP_2) | instid1(VALU_DEP_2)
	v_cmp_gt_i32_e32 vcc_lo, 32, v162
	v_lshrrev_b32_e32 v163, 24, v163
	v_min_i32_e32 v165, 31, v162
	v_dual_cndmask_b32 v164, 3, v164 :: v_dual_and_b32 v163, 0x80, v163
	s_delay_alu instid0(VALU_DEP_1) | instskip(SKIP_1) | instid1(VALU_DEP_2)
	v_or_b32_e32 v162, v162, v164
	v_and_b32_e32 v166, 3, v164
	v_cmp_ne_u32_e32 vcc_lo, 0, v162
	v_lshlrev_b32_e32 v165, 2, v165
	s_delay_alu instid0(VALU_DEP_1) | instskip(NEXT) | instid1(VALU_DEP_1)
	v_or3_b32 v163, v165, v163, v166
	v_cndmask_b32_e32 v162, 0, v163, vcc_lo
.LBB6_3362:                             ;   in Loop: Header=BB6_3059 Depth=2
	s_or_b32 exec_lo, exec_lo, s23
.LBB6_3363:                             ;   in Loop: Header=BB6_3059 Depth=2
	s_delay_alu instid0(SALU_CYCLE_1) | instskip(SKIP_3) | instid1(VALU_DEP_1)
	s_or_b32 exec_lo, exec_lo, s22
	v_lshrrev_b32_e32 v164, 24, v32
	s_mov_b32 s7, 0
	s_mov_b32 s23, exec_lo
                                        ; implicit-def: $sgpr22
	v_cmpx_lt_i16_e64 0x7f, v164
	s_xor_b32 s23, exec_lo, s23
	s_cbranch_execnz .LBB6_4233
; %bb.3364:                             ;   in Loop: Header=BB6_3059 Depth=2
	s_or_saveexec_b32 s23, s23
	v_mov_b32_e32 v163, s22
	s_xor_b32 exec_lo, exec_lo, s23
	s_cbranch_execnz .LBB6_4236
.LBB6_3365:                             ;   in Loop: Header=BB6_3059 Depth=2
	s_or_b32 exec_lo, exec_lo, s23
	s_and_saveexec_b32 s22, s7
	s_cbranch_execz .LBB6_3367
.LBB6_3366:                             ;   in Loop: Header=BB6_3059 Depth=2
	v_bfe_u32 v163, v32, 24, 2
	s_delay_alu instid0(VALU_DEP_1) | instskip(NEXT) | instid1(VALU_DEP_1)
	v_clz_i32_u32_e32 v165, v163
	v_min_u32_e32 v165, 32, v165
	s_delay_alu instid0(VALU_DEP_1) | instskip(SKIP_1) | instid1(VALU_DEP_2)
	v_subrev_nc_u32_e32 v166, 29, v165
	v_sub_nc_u32_e32 v165, 30, v165
	v_lshlrev_b32_e32 v164, v166, v164
	v_bfe_u32 v166, v32, 26, 5
	v_and_b32_e32 v32, 0x80000000, v32
	s_delay_alu instid0(VALU_DEP_2) | instskip(NEXT) | instid1(VALU_DEP_4)
	v_cmp_eq_u32_e32 vcc_lo, 0, v166
	v_dual_cndmask_b32 v165, v166, v165 :: v_dual_and_b32 v164, 3, v164
	s_delay_alu instid0(VALU_DEP_1) | instskip(NEXT) | instid1(VALU_DEP_2)
	v_cndmask_b32_e32 v163, v163, v164, vcc_lo
	v_lshl_add_u32 v164, v165, 23, 0x37800000
	s_delay_alu instid0(VALU_DEP_2) | instskip(NEXT) | instid1(VALU_DEP_1)
	v_lshlrev_b32_e32 v163, 21, v163
	v_or3_b32 v163, v32, v164, v163
.LBB6_3367:                             ;   in Loop: Header=BB6_3059 Depth=2
	s_or_b32 exec_lo, exec_lo, s22
	v_lshrrev_b32_e32 v32, 24, v26
	s_mov_b32 s7, 0
	s_mov_b32 s23, exec_lo
                                        ; implicit-def: $sgpr22
	s_delay_alu instid0(VALU_DEP_1)
	v_cmpx_lt_i16_e32 0x7f, v32
	s_xor_b32 s23, exec_lo, s23
	s_cbranch_execnz .LBB6_4237
; %bb.3368:                             ;   in Loop: Header=BB6_3059 Depth=2
	s_or_saveexec_b32 s23, s23
	v_mov_b32_e32 v164, s22
	s_xor_b32 exec_lo, exec_lo, s23
	s_cbranch_execnz .LBB6_4240
.LBB6_3369:                             ;   in Loop: Header=BB6_3059 Depth=2
	s_or_b32 exec_lo, exec_lo, s23
	s_and_saveexec_b32 s22, s7
	s_cbranch_execz .LBB6_3371
.LBB6_3370:                             ;   in Loop: Header=BB6_3059 Depth=2
	v_bfe_u32 v164, v26, 24, 2
	s_delay_alu instid0(VALU_DEP_1) | instskip(NEXT) | instid1(VALU_DEP_1)
	v_clz_i32_u32_e32 v165, v164
	v_min_u32_e32 v165, 32, v165
	s_delay_alu instid0(VALU_DEP_1) | instskip(SKIP_1) | instid1(VALU_DEP_2)
	v_subrev_nc_u32_e32 v166, 29, v165
	v_sub_nc_u32_e32 v165, 30, v165
	v_lshlrev_b32_e32 v32, v166, v32
	v_bfe_u32 v166, v26, 26, 5
	v_and_b32_e32 v26, 0x80000000, v26
	s_delay_alu instid0(VALU_DEP_2) | instskip(NEXT) | instid1(VALU_DEP_4)
	v_cmp_eq_u32_e32 vcc_lo, 0, v166
	v_dual_cndmask_b32 v165, v166, v165 :: v_dual_and_b32 v32, 3, v32
	s_delay_alu instid0(VALU_DEP_1) | instskip(NEXT) | instid1(VALU_DEP_2)
	v_cndmask_b32_e32 v32, v164, v32, vcc_lo
	v_lshl_add_u32 v164, v165, 23, 0x37800000
	s_delay_alu instid0(VALU_DEP_2) | instskip(NEXT) | instid1(VALU_DEP_1)
	v_lshlrev_b32_e32 v32, 21, v32
	v_or3_b32 v164, v26, v164, v32
.LBB6_3371:                             ;   in Loop: Header=BB6_3059 Depth=2
	s_or_b32 exec_lo, exec_lo, s22
	s_delay_alu instid0(VALU_DEP_1) | instskip(NEXT) | instid1(VALU_DEP_1)
	v_mul_f32_e32 v32, v163, v164
	v_and_b32_e32 v26, 0x7f800000, v32
	s_delay_alu instid0(VALU_DEP_1)
	v_cmp_ne_u32_e32 vcc_lo, 0x7f800000, v26
	v_mov_b32_e32 v26, 0x80
	s_and_saveexec_b32 s22, vcc_lo
	s_cbranch_execz .LBB6_3379
; %bb.3372:                             ;   in Loop: Header=BB6_3059 Depth=2
	v_mov_b32_e32 v26, 0
	s_mov_b32 s23, exec_lo
	v_cmpx_ne_u32_e32 0, v32
	s_cbranch_execz .LBB6_3378
; %bb.3373:                             ;   in Loop: Header=BB6_3059 Depth=2
	v_bfe_u32 v26, v32, 23, 8
	v_and_b32_e32 v163, 0x7fffff, v32
	s_delay_alu instid0(VALU_DEP_2) | instskip(SKIP_1) | instid1(VALU_DEP_3)
	v_sub_nc_u32_e32 v164, 0x70, v26
	v_cmp_gt_u32_e32 vcc_lo, 0x71, v26
	v_or_b32_e32 v165, 0x800000, v163
	s_delay_alu instid0(VALU_DEP_3) | instskip(SKIP_1) | instid1(VALU_DEP_3)
	v_cndmask_b32_e32 v164, 0, v164, vcc_lo
	v_cmp_eq_u32_e32 vcc_lo, 0, v26
	v_dual_cndmask_b32 v163, v165, v163 :: v_dual_add_nc_u32 v26, 0xffffff91, v26
	s_delay_alu instid0(VALU_DEP_3) | instskip(NEXT) | instid1(VALU_DEP_2)
	v_cndmask_b32_e64 v164, v164, 0x6f, vcc_lo
	v_cndmask_b32_e64 v26, v26, 0xffffff92, vcc_lo
	s_delay_alu instid0(VALU_DEP_2) | instskip(SKIP_2) | instid1(VALU_DEP_4)
	v_lshrrev_b32_e32 v166, v164, v163
	v_lshl_add_u32 v165, 0x200000, v164, -1
	v_lshlrev_b32_e64 v176, v164, 0x100000
	v_add_nc_u32_e32 v164, v164, v26
	s_delay_alu instid0(VALU_DEP_4) | instskip(NEXT) | instid1(VALU_DEP_4)
	v_bfe_u32 v167, v166, 21, 1
	v_and_b32_e32 v163, v165, v163
	s_delay_alu instid0(VALU_DEP_2) | instskip(NEXT) | instid1(VALU_DEP_2)
	v_add_nc_u32_e32 v165, -1, v167
	v_cmp_eq_u32_e64 s7, v163, v176
	s_delay_alu instid0(VALU_DEP_1) | instskip(SKIP_2) | instid1(VALU_DEP_2)
	v_cndmask_b32_e64 v163, 0, v165, s7
	v_lshrrev_b32_e32 v165, 23, v166
	s_mov_b32 s7, exec_lo
	v_add_nc_u32_e32 v163, v163, v166
	s_delay_alu instid0(VALU_DEP_2) | instskip(NEXT) | instid1(VALU_DEP_2)
	v_xor_b32_e32 v165, 1, v165
	v_and_b32_e32 v26, 0x1fffff, v163
	s_delay_alu instid0(VALU_DEP_1) | instskip(NEXT) | instid1(VALU_DEP_3)
	v_add_nc_u32_e32 v163, v26, v166
                                        ; implicit-def: $vgpr26
	v_cmpx_ne_u32_e64 v164, v165
	s_xor_b32 s7, exec_lo, s7
; %bb.3374:                             ;   in Loop: Header=BB6_3059 Depth=2
	s_delay_alu instid0(VALU_DEP_2) | instskip(SKIP_2) | instid1(VALU_DEP_2)
	v_cmp_lt_u32_e32 vcc_lo, 0xffffff, v163
	v_sub_nc_u32_e32 v26, v164, v165
	v_cndmask_b32_e64 v164, 0, 1, vcc_lo
	v_add_co_ci_u32_e32 v26, vcc_lo, 0, v26, vcc_lo
	s_delay_alu instid0(VALU_DEP_2)
	v_lshrrev_b32_e32 v163, v164, v163
; %bb.3375:                             ;   in Loop: Header=BB6_3059 Depth=2
	s_and_not1_saveexec_b32 s7, s7
; %bb.3376:                             ;   in Loop: Header=BB6_3059 Depth=2
	s_delay_alu instid0(VALU_DEP_1)
	v_bfe_u32 v26, v163, 23, 1
; %bb.3377:                             ;   in Loop: Header=BB6_3059 Depth=2
	s_or_b32 exec_lo, exec_lo, s7
	v_lshrrev_b32_e32 v163, 21, v163
	s_delay_alu instid0(VALU_DEP_2) | instskip(SKIP_2) | instid1(VALU_DEP_2)
	v_cmp_gt_i32_e32 vcc_lo, 32, v26
	v_lshrrev_b32_e32 v32, 24, v32
	v_min_i32_e32 v164, 31, v26
	v_dual_cndmask_b32 v163, 3, v163 :: v_dual_and_b32 v32, 0x80, v32
	s_delay_alu instid0(VALU_DEP_2) | instskip(NEXT) | instid1(VALU_DEP_2)
	v_lshlrev_b32_e32 v164, 2, v164
	v_or_b32_e32 v26, v26, v163
	s_delay_alu instid0(VALU_DEP_1) | instskip(SKIP_1) | instid1(VALU_DEP_1)
	v_cmp_ne_u32_e32 vcc_lo, 0, v26
	v_and_b32_e32 v165, 3, v163
	v_or3_b32 v32, v164, v32, v165
	s_delay_alu instid0(VALU_DEP_1)
	v_cndmask_b32_e32 v26, 0, v32, vcc_lo
.LBB6_3378:                             ;   in Loop: Header=BB6_3059 Depth=2
	s_or_b32 exec_lo, exec_lo, s23
.LBB6_3379:                             ;   in Loop: Header=BB6_3059 Depth=2
	s_delay_alu instid0(SALU_CYCLE_1) | instskip(SKIP_3) | instid1(VALU_DEP_1)
	s_or_b32 exec_lo, exec_lo, s22
	v_and_b32_e32 v163, 0xff, v33
	s_mov_b32 s7, 0
	s_mov_b32 s23, exec_lo
                                        ; implicit-def: $sgpr22
	v_cmpx_lt_i16_e64 0x7f, v163
	s_xor_b32 s23, exec_lo, s23
	s_cbranch_execnz .LBB6_4241
; %bb.3380:                             ;   in Loop: Header=BB6_3059 Depth=2
	s_or_saveexec_b32 s23, s23
	v_mov_b32_e32 v32, s22
	s_xor_b32 exec_lo, exec_lo, s23
	s_cbranch_execnz .LBB6_4244
.LBB6_3381:                             ;   in Loop: Header=BB6_3059 Depth=2
	s_or_b32 exec_lo, exec_lo, s23
	s_and_saveexec_b32 s22, s7
	s_cbranch_execz .LBB6_3383
.LBB6_3382:                             ;   in Loop: Header=BB6_3059 Depth=2
	v_bfe_u32 v165, v33, 2, 5
	v_lshlrev_b32_e32 v166, 24, v33
	s_delay_alu instid0(VALU_DEP_2) | instskip(SKIP_1) | instid1(VALU_DEP_1)
	v_cmp_eq_u32_e32 vcc_lo, 0, v165
	v_and_b32_e32 v32, 3, v33
	v_clz_i32_u32_e32 v163, v32
	s_delay_alu instid0(VALU_DEP_1) | instskip(NEXT) | instid1(VALU_DEP_1)
	v_min_u32_e32 v163, 32, v163
	v_subrev_nc_u32_e32 v164, 29, v163
	v_sub_nc_u32_e32 v163, 30, v163
	s_delay_alu instid0(VALU_DEP_1) | instskip(NEXT) | instid1(VALU_DEP_1)
	v_dual_cndmask_b32 v163, v165, v163 :: v_dual_lshlrev_b32 v164, v164, v33
	v_and_b32_e32 v164, 3, v164
	s_delay_alu instid0(VALU_DEP_2) | instskip(NEXT) | instid1(VALU_DEP_2)
	v_lshl_add_u32 v163, v163, 23, 0x37800000
	v_cndmask_b32_e32 v32, v32, v164, vcc_lo
	v_and_b32_e32 v164, 0x80000000, v166
	s_delay_alu instid0(VALU_DEP_2) | instskip(NEXT) | instid1(VALU_DEP_1)
	v_lshlrev_b32_e32 v32, 21, v32
	v_or3_b32 v32, v164, v163, v32
.LBB6_3383:                             ;   in Loop: Header=BB6_3059 Depth=2
	s_or_b32 exec_lo, exec_lo, s22
	v_and_b32_e32 v164, 0xff, v27
	s_mov_b32 s7, 0
	s_mov_b32 s23, exec_lo
                                        ; implicit-def: $sgpr22
	s_delay_alu instid0(VALU_DEP_1)
	v_cmpx_lt_i16_e64 0x7f, v164
	s_xor_b32 s23, exec_lo, s23
	s_cbranch_execnz .LBB6_4245
; %bb.3384:                             ;   in Loop: Header=BB6_3059 Depth=2
	s_or_saveexec_b32 s23, s23
	v_mov_b32_e32 v163, s22
	s_xor_b32 exec_lo, exec_lo, s23
	s_cbranch_execnz .LBB6_4248
.LBB6_3385:                             ;   in Loop: Header=BB6_3059 Depth=2
	s_or_b32 exec_lo, exec_lo, s23
	s_and_saveexec_b32 s22, s7
	s_cbranch_execz .LBB6_3387
.LBB6_3386:                             ;   in Loop: Header=BB6_3059 Depth=2
	v_bfe_u32 v166, v27, 2, 5
	v_lshlrev_b32_e32 v167, 24, v27
	s_delay_alu instid0(VALU_DEP_2) | instskip(SKIP_1) | instid1(VALU_DEP_1)
	v_cmp_eq_u32_e32 vcc_lo, 0, v166
	v_and_b32_e32 v163, 3, v27
	v_clz_i32_u32_e32 v164, v163
	s_delay_alu instid0(VALU_DEP_1) | instskip(NEXT) | instid1(VALU_DEP_1)
	v_min_u32_e32 v164, 32, v164
	v_subrev_nc_u32_e32 v165, 29, v164
	v_sub_nc_u32_e32 v164, 30, v164
	s_delay_alu instid0(VALU_DEP_1) | instskip(NEXT) | instid1(VALU_DEP_1)
	v_dual_cndmask_b32 v164, v166, v164 :: v_dual_lshlrev_b32 v165, v165, v27
	v_and_b32_e32 v165, 3, v165
	s_delay_alu instid0(VALU_DEP_2) | instskip(NEXT) | instid1(VALU_DEP_2)
	v_lshl_add_u32 v164, v164, 23, 0x37800000
	v_cndmask_b32_e32 v163, v163, v165, vcc_lo
	v_and_b32_e32 v165, 0x80000000, v167
	s_delay_alu instid0(VALU_DEP_2) | instskip(NEXT) | instid1(VALU_DEP_1)
	v_lshlrev_b32_e32 v163, 21, v163
	v_or3_b32 v163, v165, v164, v163
.LBB6_3387:                             ;   in Loop: Header=BB6_3059 Depth=2
	s_or_b32 exec_lo, exec_lo, s22
	s_delay_alu instid0(VALU_DEP_1) | instskip(NEXT) | instid1(VALU_DEP_1)
	v_mul_f32_e32 v163, v32, v163
	v_and_b32_e32 v32, 0x7f800000, v163
	s_delay_alu instid0(VALU_DEP_1)
	v_cmp_ne_u32_e32 vcc_lo, 0x7f800000, v32
	v_mov_b32_e32 v32, 0x80
	s_and_saveexec_b32 s22, vcc_lo
	s_cbranch_execz .LBB6_3395
; %bb.3388:                             ;   in Loop: Header=BB6_3059 Depth=2
	v_mov_b32_e32 v32, 0
	s_mov_b32 s23, exec_lo
	v_cmpx_ne_u32_e32 0, v163
	s_cbranch_execz .LBB6_3394
; %bb.3389:                             ;   in Loop: Header=BB6_3059 Depth=2
	v_bfe_u32 v32, v163, 23, 8
	s_delay_alu instid0(VALU_DEP_1) | instskip(SKIP_1) | instid1(VALU_DEP_2)
	v_sub_nc_u32_e32 v165, 0x70, v32
	v_cmp_gt_u32_e32 vcc_lo, 0x71, v32
	v_dual_cndmask_b32 v165, 0, v165 :: v_dual_and_b32 v164, 0x7fffff, v163
	s_delay_alu instid0(VALU_DEP_1) | instskip(SKIP_2) | instid1(VALU_DEP_4)
	v_or_b32_e32 v166, 0x800000, v164
	v_cmp_eq_u32_e32 vcc_lo, 0, v32
	v_add_nc_u32_e32 v32, 0xffffff91, v32
	v_cndmask_b32_e64 v165, v165, 0x6f, vcc_lo
	s_delay_alu instid0(VALU_DEP_4) | instskip(NEXT) | instid1(VALU_DEP_3)
	v_cndmask_b32_e32 v164, v166, v164, vcc_lo
	v_cndmask_b32_e64 v32, v32, 0xffffff92, vcc_lo
	s_delay_alu instid0(VALU_DEP_3) | instskip(NEXT) | instid1(VALU_DEP_3)
	v_lshl_add_u32 v166, 0x200000, v165, -1
	v_lshrrev_b32_e32 v167, v165, v164
	v_lshlrev_b32_e64 v177, v165, 0x100000
	s_delay_alu instid0(VALU_DEP_4) | instskip(NEXT) | instid1(VALU_DEP_4)
	v_add_nc_u32_e32 v165, v165, v32
	v_and_b32_e32 v164, v166, v164
	s_delay_alu instid0(VALU_DEP_4) | instskip(NEXT) | instid1(VALU_DEP_2)
	v_bfe_u32 v176, v167, 21, 1
	v_cmp_eq_u32_e64 s7, v164, v177
	s_delay_alu instid0(VALU_DEP_2) | instskip(NEXT) | instid1(VALU_DEP_1)
	v_add_nc_u32_e32 v166, -1, v176
	v_cndmask_b32_e64 v164, 0, v166, s7
	v_lshrrev_b32_e32 v166, 23, v167
	s_mov_b32 s7, exec_lo
	s_delay_alu instid0(VALU_DEP_2) | instskip(NEXT) | instid1(VALU_DEP_2)
	v_add_nc_u32_e32 v164, v164, v167
	v_xor_b32_e32 v166, 1, v166
	s_delay_alu instid0(VALU_DEP_2) | instskip(NEXT) | instid1(VALU_DEP_1)
	v_and_b32_e32 v32, 0x1fffff, v164
	v_add_nc_u32_e32 v164, v32, v167
                                        ; implicit-def: $vgpr32
	s_delay_alu instid0(VALU_DEP_3)
	v_cmpx_ne_u32_e64 v165, v166
	s_xor_b32 s7, exec_lo, s7
; %bb.3390:                             ;   in Loop: Header=BB6_3059 Depth=2
	s_delay_alu instid0(VALU_DEP_2) | instskip(SKIP_2) | instid1(VALU_DEP_2)
	v_cmp_lt_u32_e32 vcc_lo, 0xffffff, v164
	v_sub_nc_u32_e32 v32, v165, v166
	v_cndmask_b32_e64 v165, 0, 1, vcc_lo
	v_add_co_ci_u32_e32 v32, vcc_lo, 0, v32, vcc_lo
	s_delay_alu instid0(VALU_DEP_2)
	v_lshrrev_b32_e32 v164, v165, v164
; %bb.3391:                             ;   in Loop: Header=BB6_3059 Depth=2
	s_and_not1_saveexec_b32 s7, s7
; %bb.3392:                             ;   in Loop: Header=BB6_3059 Depth=2
	s_delay_alu instid0(VALU_DEP_1)
	v_bfe_u32 v32, v164, 23, 1
; %bb.3393:                             ;   in Loop: Header=BB6_3059 Depth=2
	s_or_b32 exec_lo, exec_lo, s7
	v_lshrrev_b32_e32 v164, 21, v164
	s_delay_alu instid0(VALU_DEP_2) | instskip(SKIP_2) | instid1(VALU_DEP_2)
	v_cmp_gt_i32_e32 vcc_lo, 32, v32
	v_lshrrev_b32_e32 v163, 24, v163
	v_min_i32_e32 v165, 31, v32
	v_dual_cndmask_b32 v164, 3, v164 :: v_dual_and_b32 v163, 0x80, v163
	s_delay_alu instid0(VALU_DEP_1) | instskip(SKIP_1) | instid1(VALU_DEP_2)
	v_or_b32_e32 v32, v32, v164
	v_and_b32_e32 v166, 3, v164
	v_cmp_ne_u32_e32 vcc_lo, 0, v32
	v_lshlrev_b32_e32 v165, 2, v165
	s_delay_alu instid0(VALU_DEP_1) | instskip(NEXT) | instid1(VALU_DEP_1)
	v_or3_b32 v163, v165, v163, v166
	v_cndmask_b32_e32 v32, 0, v163, vcc_lo
.LBB6_3394:                             ;   in Loop: Header=BB6_3059 Depth=2
	s_or_b32 exec_lo, exec_lo, s23
.LBB6_3395:                             ;   in Loop: Header=BB6_3059 Depth=2
	s_delay_alu instid0(SALU_CYCLE_1) | instskip(SKIP_3) | instid1(VALU_DEP_1)
	s_or_b32 exec_lo, exec_lo, s22
	v_lshrrev_b16 v164, 8, v33
	s_mov_b32 s7, 0
	s_mov_b32 s23, exec_lo
                                        ; implicit-def: $sgpr22
	v_cmpx_lt_i16_e64 0x7f, v164
	s_xor_b32 s23, exec_lo, s23
	s_cbranch_execnz .LBB6_4249
; %bb.3396:                             ;   in Loop: Header=BB6_3059 Depth=2
	s_or_saveexec_b32 s23, s23
	v_mov_b32_e32 v163, s22
	s_xor_b32 exec_lo, exec_lo, s23
	s_cbranch_execnz .LBB6_4252
.LBB6_3397:                             ;   in Loop: Header=BB6_3059 Depth=2
	s_or_b32 exec_lo, exec_lo, s23
	s_and_saveexec_b32 s22, s7
	s_cbranch_execz .LBB6_3399
.LBB6_3398:                             ;   in Loop: Header=BB6_3059 Depth=2
	v_and_b32_e32 v163, 0xffff, v164
	s_delay_alu instid0(VALU_DEP_1) | instskip(NEXT) | instid1(VALU_DEP_1)
	v_and_b32_e32 v165, 3, v163
	v_clz_i32_u32_e32 v166, v165
	s_delay_alu instid0(VALU_DEP_1) | instskip(NEXT) | instid1(VALU_DEP_1)
	v_min_u32_e32 v166, 32, v166
	v_subrev_nc_u32_e32 v167, 29, v166
	v_sub_nc_u32_e32 v166, 30, v166
	s_delay_alu instid0(VALU_DEP_2) | instskip(SKIP_1) | instid1(VALU_DEP_2)
	v_lshlrev_b32_e32 v167, v167, v163
	v_bfe_u32 v163, v163, 2, 5
	v_and_b32_e32 v167, 3, v167
	s_delay_alu instid0(VALU_DEP_2) | instskip(SKIP_1) | instid1(VALU_DEP_1)
	v_cmp_eq_u32_e32 vcc_lo, 0, v163
	v_dual_cndmask_b32 v163, v163, v166 :: v_dual_lshlrev_b32 v164, 24, v164
	v_dual_cndmask_b32 v165, v165, v167 :: v_dual_and_b32 v164, 0x80000000, v164
	s_delay_alu instid0(VALU_DEP_2) | instskip(NEXT) | instid1(VALU_DEP_2)
	v_lshl_add_u32 v163, v163, 23, 0x37800000
	v_lshlrev_b32_e32 v165, 21, v165
	s_delay_alu instid0(VALU_DEP_1)
	v_or3_b32 v163, v164, v163, v165
.LBB6_3399:                             ;   in Loop: Header=BB6_3059 Depth=2
	s_or_b32 exec_lo, exec_lo, s22
	v_lshrrev_b16 v164, 8, v27
	s_mov_b32 s7, 0
	s_mov_b32 s23, exec_lo
                                        ; implicit-def: $sgpr22
	s_delay_alu instid0(VALU_DEP_1)
	v_cmpx_lt_i16_e64 0x7f, v164
	s_xor_b32 s23, exec_lo, s23
	s_cbranch_execnz .LBB6_4253
; %bb.3400:                             ;   in Loop: Header=BB6_3059 Depth=2
	s_or_saveexec_b32 s23, s23
	v_mov_b32_e32 v165, s22
	s_xor_b32 exec_lo, exec_lo, s23
	s_cbranch_execnz .LBB6_4256
.LBB6_3401:                             ;   in Loop: Header=BB6_3059 Depth=2
	s_or_b32 exec_lo, exec_lo, s23
	s_and_saveexec_b32 s22, s7
	s_cbranch_execz .LBB6_3403
.LBB6_3402:                             ;   in Loop: Header=BB6_3059 Depth=2
	v_and_b32_e32 v165, 0xffff, v164
	v_lshlrev_b32_e32 v164, 24, v164
	s_delay_alu instid0(VALU_DEP_2) | instskip(NEXT) | instid1(VALU_DEP_2)
	v_and_b32_e32 v166, 3, v165
	v_and_b32_e32 v164, 0x80000000, v164
	s_delay_alu instid0(VALU_DEP_2) | instskip(NEXT) | instid1(VALU_DEP_1)
	v_clz_i32_u32_e32 v167, v166
	v_min_u32_e32 v167, 32, v167
	s_delay_alu instid0(VALU_DEP_1) | instskip(SKIP_1) | instid1(VALU_DEP_2)
	v_subrev_nc_u32_e32 v176, 29, v167
	v_sub_nc_u32_e32 v167, 30, v167
	v_lshlrev_b32_e32 v176, v176, v165
	v_bfe_u32 v165, v165, 2, 5
	s_delay_alu instid0(VALU_DEP_2) | instskip(NEXT) | instid1(VALU_DEP_2)
	v_and_b32_e32 v176, 3, v176
	v_cmp_eq_u32_e32 vcc_lo, 0, v165
	s_delay_alu instid0(VALU_DEP_2) | instskip(NEXT) | instid1(VALU_DEP_1)
	v_dual_cndmask_b32 v165, v165, v167 :: v_dual_cndmask_b32 v166, v166, v176
	v_lshl_add_u32 v165, v165, 23, 0x37800000
	s_delay_alu instid0(VALU_DEP_2) | instskip(NEXT) | instid1(VALU_DEP_1)
	v_lshlrev_b32_e32 v166, 21, v166
	v_or3_b32 v165, v164, v165, v166
.LBB6_3403:                             ;   in Loop: Header=BB6_3059 Depth=2
	s_or_b32 exec_lo, exec_lo, s22
	s_delay_alu instid0(VALU_DEP_1) | instskip(NEXT) | instid1(VALU_DEP_1)
	v_mul_f32_e32 v164, v163, v165
	v_and_b32_e32 v163, 0x7f800000, v164
	s_delay_alu instid0(VALU_DEP_1)
	v_cmp_ne_u32_e32 vcc_lo, 0x7f800000, v163
	v_mov_b32_e32 v163, 0x8000
	s_and_saveexec_b32 s22, vcc_lo
	s_cbranch_execz .LBB6_3411
; %bb.3404:                             ;   in Loop: Header=BB6_3059 Depth=2
	v_mov_b32_e32 v163, 0
	s_mov_b32 s23, exec_lo
	v_cmpx_ne_u32_e32 0, v164
	s_cbranch_execz .LBB6_3410
; %bb.3405:                             ;   in Loop: Header=BB6_3059 Depth=2
	v_bfe_u32 v163, v164, 23, 8
	s_delay_alu instid0(VALU_DEP_1) | instskip(SKIP_1) | instid1(VALU_DEP_2)
	v_sub_nc_u32_e32 v166, 0x70, v163
	v_cmp_gt_u32_e32 vcc_lo, 0x71, v163
	v_dual_cndmask_b32 v166, 0, v166 :: v_dual_and_b32 v165, 0x7fffff, v164
	s_delay_alu instid0(VALU_DEP_1) | instskip(SKIP_2) | instid1(VALU_DEP_4)
	v_or_b32_e32 v167, 0x800000, v165
	v_cmp_eq_u32_e32 vcc_lo, 0, v163
	v_add_nc_u32_e32 v163, 0xffffff91, v163
	v_cndmask_b32_e64 v166, v166, 0x6f, vcc_lo
	s_delay_alu instid0(VALU_DEP_2) | instskip(SKIP_1) | instid1(VALU_DEP_3)
	v_cndmask_b32_e64 v163, v163, 0xffffff92, vcc_lo
	v_cndmask_b32_e32 v165, v167, v165, vcc_lo
	v_lshl_add_u32 v167, 0x200000, v166, -1
	v_lshlrev_b32_e64 v178, v166, 0x100000
	s_delay_alu instid0(VALU_DEP_3) | instskip(SKIP_1) | instid1(VALU_DEP_4)
	v_lshrrev_b32_e32 v176, v166, v165
	v_add_nc_u32_e32 v166, v166, v163
	v_and_b32_e32 v165, v167, v165
	s_delay_alu instid0(VALU_DEP_3) | instskip(NEXT) | instid1(VALU_DEP_2)
	v_bfe_u32 v177, v176, 21, 1
	v_cmp_eq_u32_e64 s7, v165, v178
	s_delay_alu instid0(VALU_DEP_2) | instskip(NEXT) | instid1(VALU_DEP_1)
	v_add_nc_u32_e32 v167, -1, v177
	v_cndmask_b32_e64 v165, 0, v167, s7
	v_lshrrev_b32_e32 v167, 23, v176
	s_mov_b32 s7, exec_lo
	s_delay_alu instid0(VALU_DEP_2) | instskip(NEXT) | instid1(VALU_DEP_2)
	v_add_nc_u32_e32 v165, v165, v176
	v_xor_b32_e32 v167, 1, v167
	s_delay_alu instid0(VALU_DEP_2) | instskip(NEXT) | instid1(VALU_DEP_1)
	v_and_b32_e32 v163, 0x1fffff, v165
	v_add_nc_u32_e32 v165, v163, v176
                                        ; implicit-def: $vgpr163
	s_delay_alu instid0(VALU_DEP_3)
	v_cmpx_ne_u32_e64 v166, v167
	s_xor_b32 s7, exec_lo, s7
; %bb.3406:                             ;   in Loop: Header=BB6_3059 Depth=2
	s_delay_alu instid0(VALU_DEP_2) | instskip(SKIP_2) | instid1(VALU_DEP_2)
	v_cmp_lt_u32_e32 vcc_lo, 0xffffff, v165
	v_sub_nc_u32_e32 v163, v166, v167
	v_cndmask_b32_e64 v166, 0, 1, vcc_lo
	v_add_co_ci_u32_e32 v163, vcc_lo, 0, v163, vcc_lo
	s_delay_alu instid0(VALU_DEP_2)
	v_lshrrev_b32_e32 v165, v166, v165
; %bb.3407:                             ;   in Loop: Header=BB6_3059 Depth=2
	s_and_not1_saveexec_b32 s7, s7
; %bb.3408:                             ;   in Loop: Header=BB6_3059 Depth=2
	s_delay_alu instid0(VALU_DEP_1)
	v_bfe_u32 v163, v165, 23, 1
; %bb.3409:                             ;   in Loop: Header=BB6_3059 Depth=2
	s_or_b32 exec_lo, exec_lo, s7
	v_lshrrev_b32_e32 v165, 21, v165
	s_delay_alu instid0(VALU_DEP_2) | instskip(SKIP_2) | instid1(VALU_DEP_2)
	v_cmp_gt_i32_e32 vcc_lo, 32, v163
	v_min_i32_e32 v166, 31, v163
	v_lshrrev_b32_e32 v164, 24, v164
	v_dual_cndmask_b32 v165, 3, v165 :: v_dual_lshlrev_b32 v166, 2, v166
	s_delay_alu instid0(VALU_DEP_2) | instskip(NEXT) | instid1(VALU_DEP_2)
	v_and_b32_e32 v164, 0x80, v164
	v_or_b32_e32 v163, v163, v165
	v_and_b32_e32 v167, 3, v165
	s_delay_alu instid0(VALU_DEP_2) | instskip(SKIP_1) | instid1(VALU_DEP_1)
	v_cmp_ne_u32_e32 vcc_lo, 0, v163
	v_and_b32_e32 v166, 0xfc, v166
	v_or3_b32 v164, v164, v166, v167
	s_delay_alu instid0(VALU_DEP_1) | instskip(NEXT) | instid1(VALU_DEP_1)
	v_lshlrev_b32_e32 v164, 8, v164
	v_cndmask_b32_e32 v163, 0, v164, vcc_lo
.LBB6_3410:                             ;   in Loop: Header=BB6_3059 Depth=2
	s_or_b32 exec_lo, exec_lo, s23
.LBB6_3411:                             ;   in Loop: Header=BB6_3059 Depth=2
	s_delay_alu instid0(SALU_CYCLE_1) | instskip(SKIP_3) | instid1(VALU_DEP_1)
	s_or_b32 exec_lo, exec_lo, s22
	v_lshrrev_b32_e32 v165, 16, v33
	s_mov_b32 s7, 0
	s_mov_b32 s23, exec_lo
                                        ; implicit-def: $sgpr22
	v_and_b32_e32 v166, 0xff, v165
	s_delay_alu instid0(VALU_DEP_1)
	v_cmpx_lt_i16_e64 0x7f, v166
	s_xor_b32 s23, exec_lo, s23
	s_cbranch_execnz .LBB6_4257
; %bb.3412:                             ;   in Loop: Header=BB6_3059 Depth=2
	s_or_saveexec_b32 s23, s23
	v_mov_b32_e32 v164, s22
	s_xor_b32 exec_lo, exec_lo, s23
	s_cbranch_execnz .LBB6_4260
.LBB6_3413:                             ;   in Loop: Header=BB6_3059 Depth=2
	s_or_b32 exec_lo, exec_lo, s23
	s_and_saveexec_b32 s22, s7
	s_cbranch_execz .LBB6_3415
.LBB6_3414:                             ;   in Loop: Header=BB6_3059 Depth=2
	v_bfe_u32 v164, v33, 16, 2
	v_lshlrev_b32_e32 v176, 8, v33
	s_delay_alu instid0(VALU_DEP_2) | instskip(NEXT) | instid1(VALU_DEP_1)
	v_clz_i32_u32_e32 v166, v164
	v_min_u32_e32 v166, 32, v166
	s_delay_alu instid0(VALU_DEP_1) | instskip(SKIP_1) | instid1(VALU_DEP_2)
	v_subrev_nc_u32_e32 v167, 29, v166
	v_sub_nc_u32_e32 v166, 30, v166
	v_lshlrev_b32_e32 v165, v167, v165
	v_bfe_u32 v167, v33, 18, 5
	s_delay_alu instid0(VALU_DEP_1) | instskip(NEXT) | instid1(VALU_DEP_3)
	v_cmp_eq_u32_e32 vcc_lo, 0, v167
	v_dual_cndmask_b32 v166, v167, v166 :: v_dual_and_b32 v165, 3, v165
	s_delay_alu instid0(VALU_DEP_1) | instskip(NEXT) | instid1(VALU_DEP_2)
	v_dual_cndmask_b32 v164, v164, v165 :: v_dual_and_b32 v165, 0x80000000, v176
	v_lshl_add_u32 v166, v166, 23, 0x37800000
	s_delay_alu instid0(VALU_DEP_2) | instskip(NEXT) | instid1(VALU_DEP_1)
	v_lshlrev_b32_e32 v164, 21, v164
	v_or3_b32 v164, v165, v166, v164
.LBB6_3415:                             ;   in Loop: Header=BB6_3059 Depth=2
	s_or_b32 exec_lo, exec_lo, s22
	v_lshrrev_b32_e32 v165, 16, v27
	s_mov_b32 s7, 0
	s_mov_b32 s23, exec_lo
                                        ; implicit-def: $sgpr22
	s_delay_alu instid0(VALU_DEP_1) | instskip(NEXT) | instid1(VALU_DEP_1)
	v_and_b32_e32 v167, 0xff, v165
	v_cmpx_lt_i16_e64 0x7f, v167
	s_xor_b32 s23, exec_lo, s23
	s_cbranch_execnz .LBB6_4261
; %bb.3416:                             ;   in Loop: Header=BB6_3059 Depth=2
	s_or_saveexec_b32 s23, s23
	v_mov_b32_e32 v166, s22
	s_xor_b32 exec_lo, exec_lo, s23
	s_cbranch_execnz .LBB6_4264
.LBB6_3417:                             ;   in Loop: Header=BB6_3059 Depth=2
	s_or_b32 exec_lo, exec_lo, s23
	s_and_saveexec_b32 s22, s7
	s_cbranch_execz .LBB6_3419
.LBB6_3418:                             ;   in Loop: Header=BB6_3059 Depth=2
	v_bfe_u32 v166, v27, 16, 2
	v_lshlrev_b32_e32 v177, 8, v27
	s_delay_alu instid0(VALU_DEP_2) | instskip(NEXT) | instid1(VALU_DEP_1)
	v_clz_i32_u32_e32 v167, v166
	v_min_u32_e32 v167, 32, v167
	s_delay_alu instid0(VALU_DEP_1) | instskip(SKIP_1) | instid1(VALU_DEP_2)
	v_subrev_nc_u32_e32 v176, 29, v167
	v_sub_nc_u32_e32 v167, 30, v167
	v_lshlrev_b32_e32 v165, v176, v165
	v_bfe_u32 v176, v27, 18, 5
	s_delay_alu instid0(VALU_DEP_2) | instskip(NEXT) | instid1(VALU_DEP_2)
	v_and_b32_e32 v165, 3, v165
	v_cmp_eq_u32_e32 vcc_lo, 0, v176
	v_cndmask_b32_e32 v167, v176, v167, vcc_lo
	s_delay_alu instid0(VALU_DEP_3) | instskip(SKIP_1) | instid1(VALU_DEP_3)
	v_cndmask_b32_e32 v165, v166, v165, vcc_lo
	v_and_b32_e32 v166, 0x80000000, v177
	v_lshl_add_u32 v167, v167, 23, 0x37800000
	s_delay_alu instid0(VALU_DEP_3) | instskip(NEXT) | instid1(VALU_DEP_1)
	v_lshlrev_b32_e32 v165, 21, v165
	v_or3_b32 v166, v166, v167, v165
.LBB6_3419:                             ;   in Loop: Header=BB6_3059 Depth=2
	s_or_b32 exec_lo, exec_lo, s22
	s_delay_alu instid0(VALU_DEP_1) | instskip(NEXT) | instid1(VALU_DEP_1)
	v_mul_f32_e32 v165, v164, v166
	v_and_b32_e32 v164, 0x7f800000, v165
	s_delay_alu instid0(VALU_DEP_1)
	v_cmp_ne_u32_e32 vcc_lo, 0x7f800000, v164
	v_mov_b32_e32 v164, 0x80
	s_and_saveexec_b32 s22, vcc_lo
	s_cbranch_execz .LBB6_3427
; %bb.3420:                             ;   in Loop: Header=BB6_3059 Depth=2
	v_mov_b32_e32 v164, 0
	s_mov_b32 s23, exec_lo
	v_cmpx_ne_u32_e32 0, v165
	s_cbranch_execz .LBB6_3426
; %bb.3421:                             ;   in Loop: Header=BB6_3059 Depth=2
	v_bfe_u32 v164, v165, 23, 8
	s_delay_alu instid0(VALU_DEP_1) | instskip(SKIP_1) | instid1(VALU_DEP_2)
	v_sub_nc_u32_e32 v167, 0x70, v164
	v_cmp_gt_u32_e32 vcc_lo, 0x71, v164
	v_dual_cndmask_b32 v167, 0, v167 :: v_dual_and_b32 v166, 0x7fffff, v165
	s_delay_alu instid0(VALU_DEP_1) | instskip(SKIP_2) | instid1(VALU_DEP_4)
	v_or_b32_e32 v176, 0x800000, v166
	v_cmp_eq_u32_e32 vcc_lo, 0, v164
	v_add_nc_u32_e32 v164, 0xffffff91, v164
	v_cndmask_b32_e64 v167, v167, 0x6f, vcc_lo
	s_delay_alu instid0(VALU_DEP_2) | instskip(SKIP_1) | instid1(VALU_DEP_3)
	v_cndmask_b32_e64 v164, v164, 0xffffff92, vcc_lo
	v_cndmask_b32_e32 v166, v176, v166, vcc_lo
	v_lshl_add_u32 v176, 0x200000, v167, -1
	v_lshlrev_b32_e64 v179, v167, 0x100000
	s_delay_alu instid0(VALU_DEP_3) | instskip(SKIP_1) | instid1(VALU_DEP_4)
	v_lshrrev_b32_e32 v177, v167, v166
	v_add_nc_u32_e32 v167, v167, v164
	v_and_b32_e32 v166, v176, v166
	s_delay_alu instid0(VALU_DEP_3) | instskip(NEXT) | instid1(VALU_DEP_2)
	v_bfe_u32 v178, v177, 21, 1
	v_cmp_eq_u32_e64 s7, v166, v179
	s_delay_alu instid0(VALU_DEP_2) | instskip(NEXT) | instid1(VALU_DEP_1)
	v_add_nc_u32_e32 v176, -1, v178
	v_cndmask_b32_e64 v166, 0, v176, s7
	v_lshrrev_b32_e32 v176, 23, v177
	s_mov_b32 s7, exec_lo
	s_delay_alu instid0(VALU_DEP_2) | instskip(NEXT) | instid1(VALU_DEP_2)
	v_add_nc_u32_e32 v166, v166, v177
	v_xor_b32_e32 v176, 1, v176
	s_delay_alu instid0(VALU_DEP_2) | instskip(NEXT) | instid1(VALU_DEP_1)
	v_and_b32_e32 v164, 0x1fffff, v166
	v_add_nc_u32_e32 v166, v164, v177
                                        ; implicit-def: $vgpr164
	s_delay_alu instid0(VALU_DEP_3)
	v_cmpx_ne_u32_e64 v167, v176
	s_xor_b32 s7, exec_lo, s7
; %bb.3422:                             ;   in Loop: Header=BB6_3059 Depth=2
	s_delay_alu instid0(VALU_DEP_2) | instskip(SKIP_2) | instid1(VALU_DEP_2)
	v_cmp_lt_u32_e32 vcc_lo, 0xffffff, v166
	v_sub_nc_u32_e32 v164, v167, v176
	v_cndmask_b32_e64 v167, 0, 1, vcc_lo
	v_add_co_ci_u32_e32 v164, vcc_lo, 0, v164, vcc_lo
	s_delay_alu instid0(VALU_DEP_2)
	v_lshrrev_b32_e32 v166, v167, v166
; %bb.3423:                             ;   in Loop: Header=BB6_3059 Depth=2
	s_and_not1_saveexec_b32 s7, s7
; %bb.3424:                             ;   in Loop: Header=BB6_3059 Depth=2
	s_delay_alu instid0(VALU_DEP_1)
	v_bfe_u32 v164, v166, 23, 1
; %bb.3425:                             ;   in Loop: Header=BB6_3059 Depth=2
	s_or_b32 exec_lo, exec_lo, s7
	v_lshrrev_b32_e32 v166, 21, v166
	s_delay_alu instid0(VALU_DEP_2) | instskip(SKIP_2) | instid1(VALU_DEP_2)
	v_cmp_gt_i32_e32 vcc_lo, 32, v164
	v_min_i32_e32 v167, 31, v164
	v_lshrrev_b32_e32 v165, 24, v165
	v_dual_cndmask_b32 v166, 3, v166 :: v_dual_lshlrev_b32 v167, 2, v167
	s_delay_alu instid0(VALU_DEP_2) | instskip(NEXT) | instid1(VALU_DEP_2)
	v_and_b32_e32 v165, 0x80, v165
	v_or_b32_e32 v164, v164, v166
	v_and_b32_e32 v176, 3, v166
	s_delay_alu instid0(VALU_DEP_2) | instskip(SKIP_1) | instid1(VALU_DEP_1)
	v_cmp_ne_u32_e32 vcc_lo, 0, v164
	v_and_b32_e32 v167, 0xfc, v167
	v_or3_b32 v165, v167, v165, v176
	s_delay_alu instid0(VALU_DEP_1)
	v_cndmask_b32_e32 v164, 0, v165, vcc_lo
.LBB6_3426:                             ;   in Loop: Header=BB6_3059 Depth=2
	s_or_b32 exec_lo, exec_lo, s23
.LBB6_3427:                             ;   in Loop: Header=BB6_3059 Depth=2
	s_delay_alu instid0(SALU_CYCLE_1) | instskip(SKIP_3) | instid1(VALU_DEP_1)
	s_or_b32 exec_lo, exec_lo, s22
	v_lshrrev_b32_e32 v166, 24, v33
	s_mov_b32 s7, 0
	s_mov_b32 s23, exec_lo
                                        ; implicit-def: $sgpr22
	v_cmpx_lt_i16_e64 0x7f, v166
	s_xor_b32 s23, exec_lo, s23
	s_cbranch_execnz .LBB6_4265
; %bb.3428:                             ;   in Loop: Header=BB6_3059 Depth=2
	s_or_saveexec_b32 s23, s23
	v_mov_b32_e32 v165, s22
	s_xor_b32 exec_lo, exec_lo, s23
	s_cbranch_execnz .LBB6_4268
.LBB6_3429:                             ;   in Loop: Header=BB6_3059 Depth=2
	s_or_b32 exec_lo, exec_lo, s23
	s_and_saveexec_b32 s22, s7
	s_cbranch_execz .LBB6_3431
.LBB6_3430:                             ;   in Loop: Header=BB6_3059 Depth=2
	v_bfe_u32 v165, v33, 24, 2
	s_delay_alu instid0(VALU_DEP_1) | instskip(NEXT) | instid1(VALU_DEP_1)
	v_clz_i32_u32_e32 v167, v165
	v_min_u32_e32 v167, 32, v167
	s_delay_alu instid0(VALU_DEP_1) | instskip(SKIP_1) | instid1(VALU_DEP_2)
	v_subrev_nc_u32_e32 v176, 29, v167
	v_sub_nc_u32_e32 v167, 30, v167
	v_lshlrev_b32_e32 v166, v176, v166
	v_bfe_u32 v176, v33, 26, 5
	v_and_b32_e32 v33, 0x80000000, v33
	s_delay_alu instid0(VALU_DEP_2) | instskip(NEXT) | instid1(VALU_DEP_4)
	v_cmp_eq_u32_e32 vcc_lo, 0, v176
	v_dual_cndmask_b32 v167, v176, v167 :: v_dual_and_b32 v166, 3, v166
	s_delay_alu instid0(VALU_DEP_1) | instskip(NEXT) | instid1(VALU_DEP_2)
	v_cndmask_b32_e32 v165, v165, v166, vcc_lo
	v_lshl_add_u32 v166, v167, 23, 0x37800000
	s_delay_alu instid0(VALU_DEP_2) | instskip(NEXT) | instid1(VALU_DEP_1)
	v_lshlrev_b32_e32 v165, 21, v165
	v_or3_b32 v165, v33, v166, v165
.LBB6_3431:                             ;   in Loop: Header=BB6_3059 Depth=2
	s_or_b32 exec_lo, exec_lo, s22
	v_lshrrev_b32_e32 v33, 24, v27
	s_mov_b32 s7, 0
	s_mov_b32 s23, exec_lo
                                        ; implicit-def: $sgpr22
	s_delay_alu instid0(VALU_DEP_1)
	v_cmpx_lt_i16_e32 0x7f, v33
	s_xor_b32 s23, exec_lo, s23
	s_cbranch_execnz .LBB6_4269
; %bb.3432:                             ;   in Loop: Header=BB6_3059 Depth=2
	s_or_saveexec_b32 s23, s23
	v_mov_b32_e32 v166, s22
	s_xor_b32 exec_lo, exec_lo, s23
	s_cbranch_execnz .LBB6_4272
.LBB6_3433:                             ;   in Loop: Header=BB6_3059 Depth=2
	s_or_b32 exec_lo, exec_lo, s23
	s_and_saveexec_b32 s22, s7
	s_cbranch_execz .LBB6_3435
.LBB6_3434:                             ;   in Loop: Header=BB6_3059 Depth=2
	v_bfe_u32 v166, v27, 24, 2
	s_delay_alu instid0(VALU_DEP_1) | instskip(NEXT) | instid1(VALU_DEP_1)
	v_clz_i32_u32_e32 v167, v166
	v_min_u32_e32 v167, 32, v167
	s_delay_alu instid0(VALU_DEP_1) | instskip(SKIP_1) | instid1(VALU_DEP_2)
	v_subrev_nc_u32_e32 v176, 29, v167
	v_sub_nc_u32_e32 v167, 30, v167
	v_lshlrev_b32_e32 v33, v176, v33
	v_bfe_u32 v176, v27, 26, 5
	v_and_b32_e32 v27, 0x80000000, v27
	s_delay_alu instid0(VALU_DEP_3) | instskip(NEXT) | instid1(VALU_DEP_3)
	v_and_b32_e32 v33, 3, v33
	v_cmp_eq_u32_e32 vcc_lo, 0, v176
	v_cndmask_b32_e32 v167, v176, v167, vcc_lo
	s_delay_alu instid0(VALU_DEP_3) | instskip(NEXT) | instid1(VALU_DEP_2)
	v_cndmask_b32_e32 v33, v166, v33, vcc_lo
	v_lshl_add_u32 v166, v167, 23, 0x37800000
	s_delay_alu instid0(VALU_DEP_2) | instskip(NEXT) | instid1(VALU_DEP_1)
	v_lshlrev_b32_e32 v33, 21, v33
	v_or3_b32 v166, v27, v166, v33
.LBB6_3435:                             ;   in Loop: Header=BB6_3059 Depth=2
	s_or_b32 exec_lo, exec_lo, s22
	s_delay_alu instid0(VALU_DEP_1) | instskip(NEXT) | instid1(VALU_DEP_1)
	v_mul_f32_e32 v33, v165, v166
	v_and_b32_e32 v27, 0x7f800000, v33
	s_delay_alu instid0(VALU_DEP_1)
	v_cmp_ne_u32_e32 vcc_lo, 0x7f800000, v27
	v_mov_b32_e32 v27, 0x8000
	s_and_saveexec_b32 s22, vcc_lo
	s_cbranch_execz .LBB6_3443
; %bb.3436:                             ;   in Loop: Header=BB6_3059 Depth=2
	v_mov_b32_e32 v27, 0
	s_mov_b32 s23, exec_lo
	v_cmpx_ne_u32_e32 0, v33
	s_cbranch_execz .LBB6_3442
; %bb.3437:                             ;   in Loop: Header=BB6_3059 Depth=2
	v_bfe_u32 v27, v33, 23, 8
	s_delay_alu instid0(VALU_DEP_1) | instskip(SKIP_1) | instid1(VALU_DEP_2)
	v_sub_nc_u32_e32 v166, 0x70, v27
	v_cmp_gt_u32_e32 vcc_lo, 0x71, v27
	v_dual_cndmask_b32 v166, 0, v166 :: v_dual_and_b32 v165, 0x7fffff, v33
	s_delay_alu instid0(VALU_DEP_1) | instskip(SKIP_2) | instid1(VALU_DEP_4)
	v_or_b32_e32 v167, 0x800000, v165
	v_cmp_eq_u32_e32 vcc_lo, 0, v27
	v_add_nc_u32_e32 v27, 0xffffff91, v27
	v_cndmask_b32_e64 v166, v166, 0x6f, vcc_lo
	s_delay_alu instid0(VALU_DEP_2) | instskip(SKIP_1) | instid1(VALU_DEP_3)
	v_cndmask_b32_e64 v27, v27, 0xffffff92, vcc_lo
	v_cndmask_b32_e32 v165, v167, v165, vcc_lo
	v_lshl_add_u32 v167, 0x200000, v166, -1
	v_lshlrev_b32_e64 v178, v166, 0x100000
	s_delay_alu instid0(VALU_DEP_3) | instskip(SKIP_1) | instid1(VALU_DEP_4)
	v_lshrrev_b32_e32 v176, v166, v165
	v_add_nc_u32_e32 v166, v166, v27
	v_and_b32_e32 v165, v167, v165
	s_delay_alu instid0(VALU_DEP_3) | instskip(NEXT) | instid1(VALU_DEP_2)
	v_bfe_u32 v177, v176, 21, 1
	v_cmp_eq_u32_e64 s7, v165, v178
	s_delay_alu instid0(VALU_DEP_2) | instskip(NEXT) | instid1(VALU_DEP_1)
	v_add_nc_u32_e32 v167, -1, v177
	v_cndmask_b32_e64 v165, 0, v167, s7
	v_lshrrev_b32_e32 v167, 23, v176
	s_mov_b32 s7, exec_lo
	s_delay_alu instid0(VALU_DEP_2) | instskip(NEXT) | instid1(VALU_DEP_2)
	v_add_nc_u32_e32 v165, v165, v176
	v_xor_b32_e32 v167, 1, v167
	s_delay_alu instid0(VALU_DEP_2) | instskip(NEXT) | instid1(VALU_DEP_1)
	v_and_b32_e32 v27, 0x1fffff, v165
	v_add_nc_u32_e32 v165, v27, v176
                                        ; implicit-def: $vgpr27
	s_delay_alu instid0(VALU_DEP_3)
	v_cmpx_ne_u32_e64 v166, v167
	s_xor_b32 s7, exec_lo, s7
; %bb.3438:                             ;   in Loop: Header=BB6_3059 Depth=2
	s_delay_alu instid0(VALU_DEP_2) | instskip(SKIP_2) | instid1(VALU_DEP_2)
	v_cmp_lt_u32_e32 vcc_lo, 0xffffff, v165
	v_sub_nc_u32_e32 v27, v166, v167
	v_cndmask_b32_e64 v166, 0, 1, vcc_lo
	v_add_co_ci_u32_e32 v27, vcc_lo, 0, v27, vcc_lo
	s_delay_alu instid0(VALU_DEP_2)
	v_lshrrev_b32_e32 v165, v166, v165
; %bb.3439:                             ;   in Loop: Header=BB6_3059 Depth=2
	s_and_not1_saveexec_b32 s7, s7
; %bb.3440:                             ;   in Loop: Header=BB6_3059 Depth=2
	s_delay_alu instid0(VALU_DEP_1)
	v_bfe_u32 v27, v165, 23, 1
; %bb.3441:                             ;   in Loop: Header=BB6_3059 Depth=2
	s_or_b32 exec_lo, exec_lo, s7
	v_lshrrev_b32_e32 v165, 21, v165
	s_delay_alu instid0(VALU_DEP_2) | instskip(SKIP_2) | instid1(VALU_DEP_2)
	v_cmp_gt_i32_e32 vcc_lo, 32, v27
	v_min_i32_e32 v166, 31, v27
	v_lshrrev_b32_e32 v33, 24, v33
	v_dual_cndmask_b32 v165, 3, v165 :: v_dual_lshlrev_b32 v166, 2, v166
	s_delay_alu instid0(VALU_DEP_2) | instskip(NEXT) | instid1(VALU_DEP_2)
	v_and_b32_e32 v33, 0x80, v33
	v_or_b32_e32 v27, v27, v165
	v_and_b32_e32 v167, 3, v165
	s_delay_alu instid0(VALU_DEP_2) | instskip(SKIP_1) | instid1(VALU_DEP_1)
	v_cmp_ne_u32_e32 vcc_lo, 0, v27
	v_and_b32_e32 v166, 0xfc, v166
	v_or3_b32 v33, v33, v166, v167
	s_delay_alu instid0(VALU_DEP_1) | instskip(NEXT) | instid1(VALU_DEP_1)
	v_lshlrev_b32_e32 v33, 8, v33
	v_cndmask_b32_e32 v27, 0, v33, vcc_lo
.LBB6_3442:                             ;   in Loop: Header=BB6_3059 Depth=2
	s_or_b32 exec_lo, exec_lo, s23
.LBB6_3443:                             ;   in Loop: Header=BB6_3059 Depth=2
	s_delay_alu instid0(SALU_CYCLE_1) | instskip(SKIP_3) | instid1(VALU_DEP_1)
	s_or_b32 exec_lo, exec_lo, s22
	v_and_b32_e32 v165, 0xff, v34
	s_mov_b32 s7, 0
	s_mov_b32 s23, exec_lo
                                        ; implicit-def: $sgpr22
	v_cmpx_lt_i16_e64 0x7f, v165
	s_xor_b32 s23, exec_lo, s23
	s_cbranch_execnz .LBB6_4273
; %bb.3444:                             ;   in Loop: Header=BB6_3059 Depth=2
	s_or_saveexec_b32 s23, s23
	v_mov_b32_e32 v33, s22
	s_xor_b32 exec_lo, exec_lo, s23
	s_cbranch_execnz .LBB6_4276
.LBB6_3445:                             ;   in Loop: Header=BB6_3059 Depth=2
	s_or_b32 exec_lo, exec_lo, s23
	s_and_saveexec_b32 s22, s7
	s_cbranch_execz .LBB6_3447
.LBB6_3446:                             ;   in Loop: Header=BB6_3059 Depth=2
	v_and_b32_e32 v33, 3, v34
	v_bfe_u32 v167, v34, 2, 5
	v_lshlrev_b32_e32 v176, 24, v34
	s_delay_alu instid0(VALU_DEP_3) | instskip(NEXT) | instid1(VALU_DEP_3)
	v_clz_i32_u32_e32 v165, v33
	v_cmp_eq_u32_e32 vcc_lo, 0, v167
	s_delay_alu instid0(VALU_DEP_2) | instskip(NEXT) | instid1(VALU_DEP_1)
	v_min_u32_e32 v165, 32, v165
	v_subrev_nc_u32_e32 v166, 29, v165
	v_sub_nc_u32_e32 v165, 30, v165
	s_delay_alu instid0(VALU_DEP_1) | instskip(NEXT) | instid1(VALU_DEP_1)
	v_dual_cndmask_b32 v165, v167, v165 :: v_dual_lshlrev_b32 v166, v166, v34
	v_and_b32_e32 v166, 3, v166
	s_delay_alu instid0(VALU_DEP_2) | instskip(NEXT) | instid1(VALU_DEP_2)
	v_lshl_add_u32 v165, v165, 23, 0x37800000
	v_dual_cndmask_b32 v33, v33, v166 :: v_dual_and_b32 v166, 0x80000000, v176
	s_delay_alu instid0(VALU_DEP_1) | instskip(NEXT) | instid1(VALU_DEP_1)
	v_lshlrev_b32_e32 v33, 21, v33
	v_or3_b32 v33, v166, v165, v33
.LBB6_3447:                             ;   in Loop: Header=BB6_3059 Depth=2
	s_or_b32 exec_lo, exec_lo, s22
	v_and_b32_e32 v166, 0xff, v28
	s_mov_b32 s7, 0
	s_mov_b32 s23, exec_lo
                                        ; implicit-def: $sgpr22
	s_delay_alu instid0(VALU_DEP_1)
	v_cmpx_lt_i16_e64 0x7f, v166
	s_xor_b32 s23, exec_lo, s23
	s_cbranch_execnz .LBB6_4277
; %bb.3448:                             ;   in Loop: Header=BB6_3059 Depth=2
	s_or_saveexec_b32 s23, s23
	v_mov_b32_e32 v165, s22
	s_xor_b32 exec_lo, exec_lo, s23
	s_cbranch_execnz .LBB6_4280
.LBB6_3449:                             ;   in Loop: Header=BB6_3059 Depth=2
	s_or_b32 exec_lo, exec_lo, s23
	s_and_saveexec_b32 s22, s7
	s_cbranch_execz .LBB6_3451
.LBB6_3450:                             ;   in Loop: Header=BB6_3059 Depth=2
	v_bfe_u32 v176, v28, 2, 5
	v_lshlrev_b32_e32 v177, 24, v28
	s_delay_alu instid0(VALU_DEP_2) | instskip(SKIP_1) | instid1(VALU_DEP_1)
	v_cmp_eq_u32_e32 vcc_lo, 0, v176
	v_and_b32_e32 v165, 3, v28
	v_clz_i32_u32_e32 v166, v165
	s_delay_alu instid0(VALU_DEP_1) | instskip(NEXT) | instid1(VALU_DEP_1)
	v_min_u32_e32 v166, 32, v166
	v_subrev_nc_u32_e32 v167, 29, v166
	v_sub_nc_u32_e32 v166, 30, v166
	s_delay_alu instid0(VALU_DEP_1) | instskip(NEXT) | instid1(VALU_DEP_1)
	v_dual_cndmask_b32 v166, v176, v166 :: v_dual_lshlrev_b32 v167, v167, v28
	v_and_b32_e32 v167, 3, v167
	s_delay_alu instid0(VALU_DEP_2) | instskip(NEXT) | instid1(VALU_DEP_2)
	v_lshl_add_u32 v166, v166, 23, 0x37800000
	v_cndmask_b32_e32 v165, v165, v167, vcc_lo
	v_and_b32_e32 v167, 0x80000000, v177
	s_delay_alu instid0(VALU_DEP_2) | instskip(NEXT) | instid1(VALU_DEP_1)
	v_lshlrev_b32_e32 v165, 21, v165
	v_or3_b32 v165, v167, v166, v165
.LBB6_3451:                             ;   in Loop: Header=BB6_3059 Depth=2
	s_or_b32 exec_lo, exec_lo, s22
	s_delay_alu instid0(VALU_DEP_1) | instskip(NEXT) | instid1(VALU_DEP_1)
	v_mul_f32_e32 v165, v33, v165
	v_and_b32_e32 v33, 0x7f800000, v165
	s_delay_alu instid0(VALU_DEP_1)
	v_cmp_ne_u32_e32 vcc_lo, 0x7f800000, v33
	v_mov_b32_e32 v33, 0x80
	s_and_saveexec_b32 s22, vcc_lo
	s_cbranch_execz .LBB6_3459
; %bb.3452:                             ;   in Loop: Header=BB6_3059 Depth=2
	v_mov_b32_e32 v33, 0
	s_mov_b32 s23, exec_lo
	v_cmpx_ne_u32_e32 0, v165
	s_cbranch_execz .LBB6_3458
; %bb.3453:                             ;   in Loop: Header=BB6_3059 Depth=2
	v_bfe_u32 v33, v165, 23, 8
	s_delay_alu instid0(VALU_DEP_1) | instskip(SKIP_1) | instid1(VALU_DEP_2)
	v_sub_nc_u32_e32 v167, 0x70, v33
	v_cmp_gt_u32_e32 vcc_lo, 0x71, v33
	v_dual_cndmask_b32 v167, 0, v167 :: v_dual_and_b32 v166, 0x7fffff, v165
	s_delay_alu instid0(VALU_DEP_1) | instskip(SKIP_2) | instid1(VALU_DEP_4)
	v_or_b32_e32 v176, 0x800000, v166
	v_cmp_eq_u32_e32 vcc_lo, 0, v33
	v_add_nc_u32_e32 v33, 0xffffff91, v33
	v_cndmask_b32_e64 v167, v167, 0x6f, vcc_lo
	s_delay_alu instid0(VALU_DEP_4) | instskip(NEXT) | instid1(VALU_DEP_3)
	v_cndmask_b32_e32 v166, v176, v166, vcc_lo
	v_cndmask_b32_e64 v33, v33, 0xffffff92, vcc_lo
	s_delay_alu instid0(VALU_DEP_3) | instskip(NEXT) | instid1(VALU_DEP_3)
	v_lshl_add_u32 v176, 0x200000, v167, -1
	v_lshrrev_b32_e32 v177, v167, v166
	v_lshlrev_b32_e64 v179, v167, 0x100000
	s_delay_alu instid0(VALU_DEP_4) | instskip(NEXT) | instid1(VALU_DEP_4)
	v_add_nc_u32_e32 v167, v167, v33
	v_and_b32_e32 v166, v176, v166
	s_delay_alu instid0(VALU_DEP_4) | instskip(NEXT) | instid1(VALU_DEP_2)
	v_bfe_u32 v178, v177, 21, 1
	v_cmp_eq_u32_e64 s7, v166, v179
	s_delay_alu instid0(VALU_DEP_2) | instskip(NEXT) | instid1(VALU_DEP_1)
	v_add_nc_u32_e32 v176, -1, v178
	v_cndmask_b32_e64 v166, 0, v176, s7
	v_lshrrev_b32_e32 v176, 23, v177
	s_mov_b32 s7, exec_lo
	s_delay_alu instid0(VALU_DEP_2) | instskip(NEXT) | instid1(VALU_DEP_2)
	v_add_nc_u32_e32 v166, v166, v177
	v_xor_b32_e32 v176, 1, v176
	s_delay_alu instid0(VALU_DEP_2) | instskip(NEXT) | instid1(VALU_DEP_1)
	v_and_b32_e32 v33, 0x1fffff, v166
	v_add_nc_u32_e32 v166, v33, v177
                                        ; implicit-def: $vgpr33
	s_delay_alu instid0(VALU_DEP_3)
	v_cmpx_ne_u32_e64 v167, v176
	s_xor_b32 s7, exec_lo, s7
; %bb.3454:                             ;   in Loop: Header=BB6_3059 Depth=2
	s_delay_alu instid0(VALU_DEP_2) | instskip(SKIP_2) | instid1(VALU_DEP_2)
	v_cmp_lt_u32_e32 vcc_lo, 0xffffff, v166
	v_sub_nc_u32_e32 v33, v167, v176
	v_cndmask_b32_e64 v167, 0, 1, vcc_lo
	v_add_co_ci_u32_e32 v33, vcc_lo, 0, v33, vcc_lo
	s_delay_alu instid0(VALU_DEP_2)
	v_lshrrev_b32_e32 v166, v167, v166
; %bb.3455:                             ;   in Loop: Header=BB6_3059 Depth=2
	s_and_not1_saveexec_b32 s7, s7
; %bb.3456:                             ;   in Loop: Header=BB6_3059 Depth=2
	s_delay_alu instid0(VALU_DEP_1)
	v_bfe_u32 v33, v166, 23, 1
; %bb.3457:                             ;   in Loop: Header=BB6_3059 Depth=2
	s_or_b32 exec_lo, exec_lo, s7
	v_lshrrev_b32_e32 v166, 21, v166
	s_delay_alu instid0(VALU_DEP_2) | instskip(SKIP_2) | instid1(VALU_DEP_2)
	v_cmp_gt_i32_e32 vcc_lo, 32, v33
	v_lshrrev_b32_e32 v165, 24, v165
	v_min_i32_e32 v167, 31, v33
	v_dual_cndmask_b32 v166, 3, v166 :: v_dual_and_b32 v165, 0x80, v165
	s_delay_alu instid0(VALU_DEP_2) | instskip(NEXT) | instid1(VALU_DEP_2)
	v_lshlrev_b32_e32 v167, 2, v167
	v_or_b32_e32 v33, v33, v166
	s_delay_alu instid0(VALU_DEP_1) | instskip(SKIP_1) | instid1(VALU_DEP_1)
	v_cmp_ne_u32_e32 vcc_lo, 0, v33
	v_and_b32_e32 v176, 3, v166
	v_or3_b32 v165, v167, v165, v176
	s_delay_alu instid0(VALU_DEP_1)
	v_cndmask_b32_e32 v33, 0, v165, vcc_lo
.LBB6_3458:                             ;   in Loop: Header=BB6_3059 Depth=2
	s_or_b32 exec_lo, exec_lo, s23
.LBB6_3459:                             ;   in Loop: Header=BB6_3059 Depth=2
	s_delay_alu instid0(SALU_CYCLE_1) | instskip(SKIP_3) | instid1(VALU_DEP_1)
	s_or_b32 exec_lo, exec_lo, s22
	v_lshrrev_b16 v166, 8, v34
	s_mov_b32 s7, 0
	s_mov_b32 s23, exec_lo
                                        ; implicit-def: $sgpr22
	v_cmpx_lt_i16_e64 0x7f, v166
	s_xor_b32 s23, exec_lo, s23
	s_cbranch_execnz .LBB6_4281
; %bb.3460:                             ;   in Loop: Header=BB6_3059 Depth=2
	s_or_saveexec_b32 s23, s23
	v_mov_b32_e32 v165, s22
	s_xor_b32 exec_lo, exec_lo, s23
	s_cbranch_execnz .LBB6_4284
.LBB6_3461:                             ;   in Loop: Header=BB6_3059 Depth=2
	s_or_b32 exec_lo, exec_lo, s23
	s_and_saveexec_b32 s22, s7
	s_cbranch_execz .LBB6_3463
.LBB6_3462:                             ;   in Loop: Header=BB6_3059 Depth=2
	v_and_b32_e32 v165, 0xffff, v166
	s_delay_alu instid0(VALU_DEP_1) | instskip(NEXT) | instid1(VALU_DEP_1)
	v_and_b32_e32 v167, 3, v165
	v_clz_i32_u32_e32 v176, v167
	s_delay_alu instid0(VALU_DEP_1) | instskip(NEXT) | instid1(VALU_DEP_1)
	v_min_u32_e32 v176, 32, v176
	v_subrev_nc_u32_e32 v177, 29, v176
	v_sub_nc_u32_e32 v176, 30, v176
	s_delay_alu instid0(VALU_DEP_2) | instskip(SKIP_1) | instid1(VALU_DEP_2)
	v_lshlrev_b32_e32 v177, v177, v165
	v_bfe_u32 v165, v165, 2, 5
	v_and_b32_e32 v177, 3, v177
	s_delay_alu instid0(VALU_DEP_2) | instskip(SKIP_1) | instid1(VALU_DEP_1)
	v_cmp_eq_u32_e32 vcc_lo, 0, v165
	v_dual_cndmask_b32 v165, v165, v176 :: v_dual_lshlrev_b32 v166, 24, v166
	v_dual_cndmask_b32 v167, v167, v177 :: v_dual_and_b32 v166, 0x80000000, v166
	s_delay_alu instid0(VALU_DEP_2) | instskip(NEXT) | instid1(VALU_DEP_2)
	v_lshl_add_u32 v165, v165, 23, 0x37800000
	v_lshlrev_b32_e32 v167, 21, v167
	s_delay_alu instid0(VALU_DEP_1)
	v_or3_b32 v165, v166, v165, v167
.LBB6_3463:                             ;   in Loop: Header=BB6_3059 Depth=2
	s_or_b32 exec_lo, exec_lo, s22
	v_lshrrev_b16 v166, 8, v28
	s_mov_b32 s7, 0
	s_mov_b32 s23, exec_lo
                                        ; implicit-def: $sgpr22
	s_delay_alu instid0(VALU_DEP_1)
	v_cmpx_lt_i16_e64 0x7f, v166
	s_xor_b32 s23, exec_lo, s23
	s_cbranch_execnz .LBB6_4285
; %bb.3464:                             ;   in Loop: Header=BB6_3059 Depth=2
	s_or_saveexec_b32 s23, s23
	v_mov_b32_e32 v167, s22
	s_xor_b32 exec_lo, exec_lo, s23
	s_cbranch_execnz .LBB6_4288
.LBB6_3465:                             ;   in Loop: Header=BB6_3059 Depth=2
	s_or_b32 exec_lo, exec_lo, s23
	s_and_saveexec_b32 s22, s7
	s_cbranch_execz .LBB6_3467
.LBB6_3466:                             ;   in Loop: Header=BB6_3059 Depth=2
	v_and_b32_e32 v167, 0xffff, v166
	v_lshlrev_b32_e32 v166, 24, v166
	s_delay_alu instid0(VALU_DEP_2) | instskip(NEXT) | instid1(VALU_DEP_2)
	v_and_b32_e32 v176, 3, v167
	v_and_b32_e32 v166, 0x80000000, v166
	s_delay_alu instid0(VALU_DEP_2) | instskip(NEXT) | instid1(VALU_DEP_1)
	v_clz_i32_u32_e32 v177, v176
	v_min_u32_e32 v177, 32, v177
	s_delay_alu instid0(VALU_DEP_1) | instskip(SKIP_1) | instid1(VALU_DEP_2)
	v_subrev_nc_u32_e32 v178, 29, v177
	v_sub_nc_u32_e32 v177, 30, v177
	v_lshlrev_b32_e32 v178, v178, v167
	v_bfe_u32 v167, v167, 2, 5
	s_delay_alu instid0(VALU_DEP_2) | instskip(NEXT) | instid1(VALU_DEP_2)
	v_and_b32_e32 v178, 3, v178
	v_cmp_eq_u32_e32 vcc_lo, 0, v167
	s_delay_alu instid0(VALU_DEP_2) | instskip(NEXT) | instid1(VALU_DEP_1)
	v_dual_cndmask_b32 v167, v167, v177 :: v_dual_cndmask_b32 v176, v176, v178
	v_lshl_add_u32 v167, v167, 23, 0x37800000
	s_delay_alu instid0(VALU_DEP_2) | instskip(NEXT) | instid1(VALU_DEP_1)
	v_lshlrev_b32_e32 v176, 21, v176
	v_or3_b32 v167, v166, v167, v176
.LBB6_3467:                             ;   in Loop: Header=BB6_3059 Depth=2
	s_or_b32 exec_lo, exec_lo, s22
	s_delay_alu instid0(VALU_DEP_1) | instskip(NEXT) | instid1(VALU_DEP_1)
	v_mul_f32_e32 v166, v165, v167
	v_and_b32_e32 v165, 0x7f800000, v166
	s_delay_alu instid0(VALU_DEP_1)
	v_cmp_ne_u32_e32 vcc_lo, 0x7f800000, v165
	v_mov_b32_e32 v165, 0x80
	s_and_saveexec_b32 s22, vcc_lo
	s_cbranch_execz .LBB6_3475
; %bb.3468:                             ;   in Loop: Header=BB6_3059 Depth=2
	v_mov_b32_e32 v165, 0
	s_mov_b32 s23, exec_lo
	v_cmpx_ne_u32_e32 0, v166
	s_cbranch_execz .LBB6_3474
; %bb.3469:                             ;   in Loop: Header=BB6_3059 Depth=2
	v_bfe_u32 v165, v166, 23, 8
	s_delay_alu instid0(VALU_DEP_1) | instskip(SKIP_1) | instid1(VALU_DEP_2)
	v_sub_nc_u32_e32 v176, 0x70, v165
	v_cmp_gt_u32_e32 vcc_lo, 0x71, v165
	v_dual_cndmask_b32 v176, 0, v176 :: v_dual_and_b32 v167, 0x7fffff, v166
	s_delay_alu instid0(VALU_DEP_1) | instskip(SKIP_2) | instid1(VALU_DEP_4)
	v_or_b32_e32 v177, 0x800000, v167
	v_cmp_eq_u32_e32 vcc_lo, 0, v165
	v_add_nc_u32_e32 v165, 0xffffff91, v165
	v_cndmask_b32_e64 v176, v176, 0x6f, vcc_lo
	s_delay_alu instid0(VALU_DEP_2) | instskip(SKIP_1) | instid1(VALU_DEP_3)
	v_cndmask_b32_e64 v165, v165, 0xffffff92, vcc_lo
	v_cndmask_b32_e32 v167, v177, v167, vcc_lo
	v_lshl_add_u32 v177, 0x200000, v176, -1
	v_lshlrev_b32_e64 v180, v176, 0x100000
	s_delay_alu instid0(VALU_DEP_3) | instskip(SKIP_1) | instid1(VALU_DEP_4)
	v_lshrrev_b32_e32 v178, v176, v167
	v_add_nc_u32_e32 v176, v176, v165
	v_and_b32_e32 v167, v177, v167
	s_delay_alu instid0(VALU_DEP_3) | instskip(NEXT) | instid1(VALU_DEP_2)
	v_bfe_u32 v179, v178, 21, 1
	v_cmp_eq_u32_e64 s7, v167, v180
	s_delay_alu instid0(VALU_DEP_2) | instskip(NEXT) | instid1(VALU_DEP_1)
	v_add_nc_u32_e32 v177, -1, v179
	v_cndmask_b32_e64 v167, 0, v177, s7
	v_lshrrev_b32_e32 v177, 23, v178
	s_mov_b32 s7, exec_lo
	s_delay_alu instid0(VALU_DEP_2) | instskip(NEXT) | instid1(VALU_DEP_2)
	v_add_nc_u32_e32 v167, v167, v178
	v_xor_b32_e32 v177, 1, v177
	s_delay_alu instid0(VALU_DEP_2) | instskip(NEXT) | instid1(VALU_DEP_1)
	v_and_b32_e32 v165, 0x1fffff, v167
	v_add_nc_u32_e32 v167, v165, v178
                                        ; implicit-def: $vgpr165
	s_delay_alu instid0(VALU_DEP_3)
	v_cmpx_ne_u32_e64 v176, v177
	s_xor_b32 s7, exec_lo, s7
; %bb.3470:                             ;   in Loop: Header=BB6_3059 Depth=2
	s_delay_alu instid0(VALU_DEP_2) | instskip(SKIP_2) | instid1(VALU_DEP_2)
	v_cmp_lt_u32_e32 vcc_lo, 0xffffff, v167
	v_sub_nc_u32_e32 v165, v176, v177
	v_cndmask_b32_e64 v176, 0, 1, vcc_lo
	v_add_co_ci_u32_e32 v165, vcc_lo, 0, v165, vcc_lo
	s_delay_alu instid0(VALU_DEP_2)
	v_lshrrev_b32_e32 v167, v176, v167
; %bb.3471:                             ;   in Loop: Header=BB6_3059 Depth=2
	s_and_not1_saveexec_b32 s7, s7
; %bb.3472:                             ;   in Loop: Header=BB6_3059 Depth=2
	s_delay_alu instid0(VALU_DEP_1)
	v_bfe_u32 v165, v167, 23, 1
; %bb.3473:                             ;   in Loop: Header=BB6_3059 Depth=2
	s_or_b32 exec_lo, exec_lo, s7
	v_lshrrev_b32_e32 v167, 21, v167
	s_delay_alu instid0(VALU_DEP_2) | instskip(SKIP_2) | instid1(VALU_DEP_2)
	v_cmp_gt_i32_e32 vcc_lo, 32, v165
	v_lshrrev_b32_e32 v166, 24, v166
	v_min_i32_e32 v176, 31, v165
	v_dual_cndmask_b32 v167, 3, v167 :: v_dual_and_b32 v166, 0x80, v166
	s_delay_alu instid0(VALU_DEP_1) | instskip(SKIP_1) | instid1(VALU_DEP_2)
	v_or_b32_e32 v165, v165, v167
	v_and_b32_e32 v177, 3, v167
	v_cmp_ne_u32_e32 vcc_lo, 0, v165
	v_lshlrev_b32_e32 v176, 2, v176
	s_delay_alu instid0(VALU_DEP_1) | instskip(NEXT) | instid1(VALU_DEP_1)
	v_or3_b32 v166, v176, v166, v177
	v_cndmask_b32_e32 v165, 0, v166, vcc_lo
.LBB6_3474:                             ;   in Loop: Header=BB6_3059 Depth=2
	s_or_b32 exec_lo, exec_lo, s23
.LBB6_3475:                             ;   in Loop: Header=BB6_3059 Depth=2
	s_delay_alu instid0(SALU_CYCLE_1) | instskip(SKIP_3) | instid1(VALU_DEP_1)
	s_or_b32 exec_lo, exec_lo, s22
	v_lshrrev_b32_e32 v167, 16, v34
	s_mov_b32 s7, 0
	s_mov_b32 s23, exec_lo
                                        ; implicit-def: $sgpr22
	v_and_b32_e32 v176, 0xff, v167
	s_delay_alu instid0(VALU_DEP_1)
	v_cmpx_lt_i16_e64 0x7f, v176
	s_xor_b32 s23, exec_lo, s23
	s_cbranch_execnz .LBB6_4289
; %bb.3476:                             ;   in Loop: Header=BB6_3059 Depth=2
	s_or_saveexec_b32 s23, s23
	v_mov_b32_e32 v166, s22
	s_xor_b32 exec_lo, exec_lo, s23
	s_cbranch_execnz .LBB6_4292
.LBB6_3477:                             ;   in Loop: Header=BB6_3059 Depth=2
	s_or_b32 exec_lo, exec_lo, s23
	s_and_saveexec_b32 s22, s7
	s_cbranch_execz .LBB6_3479
.LBB6_3478:                             ;   in Loop: Header=BB6_3059 Depth=2
	v_bfe_u32 v166, v34, 16, 2
	v_lshlrev_b32_e32 v178, 8, v34
	s_delay_alu instid0(VALU_DEP_2) | instskip(NEXT) | instid1(VALU_DEP_1)
	v_clz_i32_u32_e32 v176, v166
	v_min_u32_e32 v176, 32, v176
	s_delay_alu instid0(VALU_DEP_1) | instskip(SKIP_1) | instid1(VALU_DEP_2)
	v_subrev_nc_u32_e32 v177, 29, v176
	v_sub_nc_u32_e32 v176, 30, v176
	v_lshlrev_b32_e32 v167, v177, v167
	v_bfe_u32 v177, v34, 18, 5
	s_delay_alu instid0(VALU_DEP_1) | instskip(NEXT) | instid1(VALU_DEP_3)
	v_cmp_eq_u32_e32 vcc_lo, 0, v177
	v_dual_cndmask_b32 v176, v177, v176 :: v_dual_and_b32 v167, 3, v167
	s_delay_alu instid0(VALU_DEP_1) | instskip(NEXT) | instid1(VALU_DEP_2)
	v_dual_cndmask_b32 v166, v166, v167 :: v_dual_and_b32 v167, 0x80000000, v178
	v_lshl_add_u32 v176, v176, 23, 0x37800000
	s_delay_alu instid0(VALU_DEP_2) | instskip(NEXT) | instid1(VALU_DEP_1)
	v_lshlrev_b32_e32 v166, 21, v166
	v_or3_b32 v166, v167, v176, v166
.LBB6_3479:                             ;   in Loop: Header=BB6_3059 Depth=2
	s_or_b32 exec_lo, exec_lo, s22
	v_lshrrev_b32_e32 v167, 16, v28
	s_mov_b32 s7, 0
	s_mov_b32 s23, exec_lo
                                        ; implicit-def: $sgpr22
	s_delay_alu instid0(VALU_DEP_1) | instskip(NEXT) | instid1(VALU_DEP_1)
	v_and_b32_e32 v177, 0xff, v167
	v_cmpx_lt_i16_e64 0x7f, v177
	s_xor_b32 s23, exec_lo, s23
	s_cbranch_execnz .LBB6_4293
; %bb.3480:                             ;   in Loop: Header=BB6_3059 Depth=2
	s_or_saveexec_b32 s23, s23
	v_mov_b32_e32 v176, s22
	s_xor_b32 exec_lo, exec_lo, s23
	s_cbranch_execnz .LBB6_4296
.LBB6_3481:                             ;   in Loop: Header=BB6_3059 Depth=2
	s_or_b32 exec_lo, exec_lo, s23
	s_and_saveexec_b32 s22, s7
	s_cbranch_execz .LBB6_3483
.LBB6_3482:                             ;   in Loop: Header=BB6_3059 Depth=2
	v_bfe_u32 v176, v28, 16, 2
	v_lshlrev_b32_e32 v179, 8, v28
	s_delay_alu instid0(VALU_DEP_2) | instskip(NEXT) | instid1(VALU_DEP_1)
	v_clz_i32_u32_e32 v177, v176
	v_min_u32_e32 v177, 32, v177
	s_delay_alu instid0(VALU_DEP_1) | instskip(SKIP_1) | instid1(VALU_DEP_2)
	v_subrev_nc_u32_e32 v178, 29, v177
	v_sub_nc_u32_e32 v177, 30, v177
	v_lshlrev_b32_e32 v167, v178, v167
	v_bfe_u32 v178, v28, 18, 5
	s_delay_alu instid0(VALU_DEP_2) | instskip(NEXT) | instid1(VALU_DEP_2)
	v_and_b32_e32 v167, 3, v167
	v_cmp_eq_u32_e32 vcc_lo, 0, v178
	v_cndmask_b32_e32 v177, v178, v177, vcc_lo
	s_delay_alu instid0(VALU_DEP_3) | instskip(SKIP_1) | instid1(VALU_DEP_3)
	v_cndmask_b32_e32 v167, v176, v167, vcc_lo
	v_and_b32_e32 v176, 0x80000000, v179
	v_lshl_add_u32 v177, v177, 23, 0x37800000
	s_delay_alu instid0(VALU_DEP_3) | instskip(NEXT) | instid1(VALU_DEP_1)
	v_lshlrev_b32_e32 v167, 21, v167
	v_or3_b32 v176, v176, v177, v167
.LBB6_3483:                             ;   in Loop: Header=BB6_3059 Depth=2
	s_or_b32 exec_lo, exec_lo, s22
	s_delay_alu instid0(VALU_DEP_1) | instskip(NEXT) | instid1(VALU_DEP_1)
	v_mul_f32_e32 v167, v166, v176
	v_and_b32_e32 v166, 0x7f800000, v167
	s_delay_alu instid0(VALU_DEP_1)
	v_cmp_ne_u32_e32 vcc_lo, 0x7f800000, v166
	v_mov_b32_e32 v166, 0x80
	s_and_saveexec_b32 s22, vcc_lo
	s_cbranch_execz .LBB6_3491
; %bb.3484:                             ;   in Loop: Header=BB6_3059 Depth=2
	v_mov_b32_e32 v166, 0
	s_mov_b32 s23, exec_lo
	v_cmpx_ne_u32_e32 0, v167
	s_cbranch_execz .LBB6_3490
; %bb.3485:                             ;   in Loop: Header=BB6_3059 Depth=2
	v_bfe_u32 v166, v167, 23, 8
	s_delay_alu instid0(VALU_DEP_1) | instskip(SKIP_1) | instid1(VALU_DEP_2)
	v_sub_nc_u32_e32 v177, 0x70, v166
	v_cmp_gt_u32_e32 vcc_lo, 0x71, v166
	v_dual_cndmask_b32 v177, 0, v177 :: v_dual_and_b32 v176, 0x7fffff, v167
	s_delay_alu instid0(VALU_DEP_1) | instskip(SKIP_2) | instid1(VALU_DEP_4)
	v_or_b32_e32 v178, 0x800000, v176
	v_cmp_eq_u32_e32 vcc_lo, 0, v166
	v_add_nc_u32_e32 v166, 0xffffff91, v166
	v_cndmask_b32_e64 v177, v177, 0x6f, vcc_lo
	s_delay_alu instid0(VALU_DEP_2) | instskip(SKIP_1) | instid1(VALU_DEP_3)
	v_cndmask_b32_e64 v166, v166, 0xffffff92, vcc_lo
	v_cndmask_b32_e32 v176, v178, v176, vcc_lo
	v_lshl_add_u32 v178, 0x200000, v177, -1
	v_lshlrev_b32_e64 v181, v177, 0x100000
	s_delay_alu instid0(VALU_DEP_3) | instskip(SKIP_1) | instid1(VALU_DEP_4)
	v_lshrrev_b32_e32 v179, v177, v176
	v_add_nc_u32_e32 v177, v177, v166
	v_and_b32_e32 v176, v178, v176
	s_delay_alu instid0(VALU_DEP_3) | instskip(NEXT) | instid1(VALU_DEP_2)
	v_bfe_u32 v180, v179, 21, 1
	v_cmp_eq_u32_e64 s7, v176, v181
	s_delay_alu instid0(VALU_DEP_2) | instskip(NEXT) | instid1(VALU_DEP_1)
	v_add_nc_u32_e32 v178, -1, v180
	v_cndmask_b32_e64 v176, 0, v178, s7
	v_lshrrev_b32_e32 v178, 23, v179
	s_mov_b32 s7, exec_lo
	s_delay_alu instid0(VALU_DEP_2) | instskip(NEXT) | instid1(VALU_DEP_2)
	v_add_nc_u32_e32 v176, v176, v179
	v_xor_b32_e32 v178, 1, v178
	s_delay_alu instid0(VALU_DEP_2) | instskip(NEXT) | instid1(VALU_DEP_1)
	v_and_b32_e32 v166, 0x1fffff, v176
	v_add_nc_u32_e32 v176, v166, v179
                                        ; implicit-def: $vgpr166
	s_delay_alu instid0(VALU_DEP_3)
	v_cmpx_ne_u32_e64 v177, v178
	s_xor_b32 s7, exec_lo, s7
; %bb.3486:                             ;   in Loop: Header=BB6_3059 Depth=2
	s_delay_alu instid0(VALU_DEP_2) | instskip(SKIP_2) | instid1(VALU_DEP_2)
	v_cmp_lt_u32_e32 vcc_lo, 0xffffff, v176
	v_sub_nc_u32_e32 v166, v177, v178
	v_cndmask_b32_e64 v177, 0, 1, vcc_lo
	v_add_co_ci_u32_e32 v166, vcc_lo, 0, v166, vcc_lo
	s_delay_alu instid0(VALU_DEP_2)
	v_lshrrev_b32_e32 v176, v177, v176
; %bb.3487:                             ;   in Loop: Header=BB6_3059 Depth=2
	s_and_not1_saveexec_b32 s7, s7
; %bb.3488:                             ;   in Loop: Header=BB6_3059 Depth=2
	s_delay_alu instid0(VALU_DEP_1)
	v_bfe_u32 v166, v176, 23, 1
; %bb.3489:                             ;   in Loop: Header=BB6_3059 Depth=2
	s_or_b32 exec_lo, exec_lo, s7
	v_lshrrev_b32_e32 v176, 21, v176
	s_delay_alu instid0(VALU_DEP_2) | instskip(SKIP_2) | instid1(VALU_DEP_2)
	v_cmp_gt_i32_e32 vcc_lo, 32, v166
	v_lshrrev_b32_e32 v167, 24, v167
	v_min_i32_e32 v177, 31, v166
	v_dual_cndmask_b32 v176, 3, v176 :: v_dual_and_b32 v167, 0x80, v167
	s_delay_alu instid0(VALU_DEP_1) | instskip(SKIP_1) | instid1(VALU_DEP_2)
	v_or_b32_e32 v166, v166, v176
	v_and_b32_e32 v178, 3, v176
	v_cmp_ne_u32_e32 vcc_lo, 0, v166
	v_lshlrev_b32_e32 v177, 2, v177
	s_delay_alu instid0(VALU_DEP_1) | instskip(NEXT) | instid1(VALU_DEP_1)
	v_or3_b32 v167, v177, v167, v178
	v_cndmask_b32_e32 v166, 0, v167, vcc_lo
.LBB6_3490:                             ;   in Loop: Header=BB6_3059 Depth=2
	s_or_b32 exec_lo, exec_lo, s23
.LBB6_3491:                             ;   in Loop: Header=BB6_3059 Depth=2
	s_delay_alu instid0(SALU_CYCLE_1) | instskip(SKIP_3) | instid1(VALU_DEP_1)
	s_or_b32 exec_lo, exec_lo, s22
	v_lshrrev_b32_e32 v176, 24, v34
	s_mov_b32 s7, 0
	s_mov_b32 s23, exec_lo
                                        ; implicit-def: $sgpr22
	v_cmpx_lt_i16_e64 0x7f, v176
	s_xor_b32 s23, exec_lo, s23
	s_cbranch_execnz .LBB6_4297
; %bb.3492:                             ;   in Loop: Header=BB6_3059 Depth=2
	s_or_saveexec_b32 s23, s23
	v_mov_b32_e32 v167, s22
	s_xor_b32 exec_lo, exec_lo, s23
	s_cbranch_execnz .LBB6_4300
.LBB6_3493:                             ;   in Loop: Header=BB6_3059 Depth=2
	s_or_b32 exec_lo, exec_lo, s23
	s_and_saveexec_b32 s22, s7
	s_cbranch_execz .LBB6_3495
.LBB6_3494:                             ;   in Loop: Header=BB6_3059 Depth=2
	v_bfe_u32 v167, v34, 24, 2
	s_delay_alu instid0(VALU_DEP_1) | instskip(NEXT) | instid1(VALU_DEP_1)
	v_clz_i32_u32_e32 v177, v167
	v_min_u32_e32 v177, 32, v177
	s_delay_alu instid0(VALU_DEP_1) | instskip(SKIP_1) | instid1(VALU_DEP_2)
	v_subrev_nc_u32_e32 v178, 29, v177
	v_sub_nc_u32_e32 v177, 30, v177
	v_lshlrev_b32_e32 v176, v178, v176
	v_bfe_u32 v178, v34, 26, 5
	v_and_b32_e32 v34, 0x80000000, v34
	s_delay_alu instid0(VALU_DEP_2) | instskip(NEXT) | instid1(VALU_DEP_4)
	v_cmp_eq_u32_e32 vcc_lo, 0, v178
	v_dual_cndmask_b32 v177, v178, v177 :: v_dual_and_b32 v176, 3, v176
	s_delay_alu instid0(VALU_DEP_1) | instskip(NEXT) | instid1(VALU_DEP_2)
	v_cndmask_b32_e32 v167, v167, v176, vcc_lo
	v_lshl_add_u32 v176, v177, 23, 0x37800000
	s_delay_alu instid0(VALU_DEP_2) | instskip(NEXT) | instid1(VALU_DEP_1)
	v_lshlrev_b32_e32 v167, 21, v167
	v_or3_b32 v167, v34, v176, v167
.LBB6_3495:                             ;   in Loop: Header=BB6_3059 Depth=2
	s_or_b32 exec_lo, exec_lo, s22
	v_lshrrev_b32_e32 v34, 24, v28
	s_mov_b32 s7, 0
	s_mov_b32 s23, exec_lo
                                        ; implicit-def: $sgpr22
	s_delay_alu instid0(VALU_DEP_1)
	v_cmpx_lt_i16_e32 0x7f, v34
	s_xor_b32 s23, exec_lo, s23
	s_cbranch_execnz .LBB6_4301
; %bb.3496:                             ;   in Loop: Header=BB6_3059 Depth=2
	s_or_saveexec_b32 s23, s23
	v_mov_b32_e32 v176, s22
	s_xor_b32 exec_lo, exec_lo, s23
	s_cbranch_execnz .LBB6_4304
.LBB6_3497:                             ;   in Loop: Header=BB6_3059 Depth=2
	s_or_b32 exec_lo, exec_lo, s23
	s_and_saveexec_b32 s22, s7
	s_cbranch_execz .LBB6_3499
.LBB6_3498:                             ;   in Loop: Header=BB6_3059 Depth=2
	v_bfe_u32 v176, v28, 24, 2
	s_delay_alu instid0(VALU_DEP_1) | instskip(NEXT) | instid1(VALU_DEP_1)
	v_clz_i32_u32_e32 v177, v176
	v_min_u32_e32 v177, 32, v177
	s_delay_alu instid0(VALU_DEP_1) | instskip(SKIP_1) | instid1(VALU_DEP_2)
	v_subrev_nc_u32_e32 v178, 29, v177
	v_sub_nc_u32_e32 v177, 30, v177
	v_lshlrev_b32_e32 v34, v178, v34
	v_bfe_u32 v178, v28, 26, 5
	v_and_b32_e32 v28, 0x80000000, v28
	s_delay_alu instid0(VALU_DEP_2) | instskip(NEXT) | instid1(VALU_DEP_4)
	v_cmp_eq_u32_e32 vcc_lo, 0, v178
	v_dual_cndmask_b32 v177, v178, v177 :: v_dual_and_b32 v34, 3, v34
	s_delay_alu instid0(VALU_DEP_1) | instskip(NEXT) | instid1(VALU_DEP_2)
	v_cndmask_b32_e32 v34, v176, v34, vcc_lo
	v_lshl_add_u32 v176, v177, 23, 0x37800000
	s_delay_alu instid0(VALU_DEP_2) | instskip(NEXT) | instid1(VALU_DEP_1)
	v_lshlrev_b32_e32 v34, 21, v34
	v_or3_b32 v176, v28, v176, v34
.LBB6_3499:                             ;   in Loop: Header=BB6_3059 Depth=2
	s_or_b32 exec_lo, exec_lo, s22
	s_delay_alu instid0(VALU_DEP_1) | instskip(NEXT) | instid1(VALU_DEP_1)
	v_mul_f32_e32 v34, v167, v176
	v_and_b32_e32 v28, 0x7f800000, v34
	s_delay_alu instid0(VALU_DEP_1)
	v_cmp_ne_u32_e32 vcc_lo, 0x7f800000, v28
	v_mov_b32_e32 v28, 0x80
	s_and_saveexec_b32 s22, vcc_lo
	s_cbranch_execz .LBB6_3507
; %bb.3500:                             ;   in Loop: Header=BB6_3059 Depth=2
	v_mov_b32_e32 v28, 0
	s_mov_b32 s23, exec_lo
	v_cmpx_ne_u32_e32 0, v34
	s_cbranch_execz .LBB6_3506
; %bb.3501:                             ;   in Loop: Header=BB6_3059 Depth=2
	v_bfe_u32 v28, v34, 23, 8
	s_delay_alu instid0(VALU_DEP_1) | instskip(SKIP_1) | instid1(VALU_DEP_2)
	v_sub_nc_u32_e32 v176, 0x70, v28
	v_cmp_gt_u32_e32 vcc_lo, 0x71, v28
	v_dual_cndmask_b32 v176, 0, v176 :: v_dual_and_b32 v167, 0x7fffff, v34
	s_delay_alu instid0(VALU_DEP_1) | instskip(SKIP_2) | instid1(VALU_DEP_4)
	v_or_b32_e32 v177, 0x800000, v167
	v_cmp_eq_u32_e32 vcc_lo, 0, v28
	v_add_nc_u32_e32 v28, 0xffffff91, v28
	v_cndmask_b32_e64 v176, v176, 0x6f, vcc_lo
	s_delay_alu instid0(VALU_DEP_4) | instskip(NEXT) | instid1(VALU_DEP_3)
	v_cndmask_b32_e32 v167, v177, v167, vcc_lo
	v_cndmask_b32_e64 v28, v28, 0xffffff92, vcc_lo
	s_delay_alu instid0(VALU_DEP_3) | instskip(NEXT) | instid1(VALU_DEP_3)
	v_lshl_add_u32 v177, 0x200000, v176, -1
	v_lshrrev_b32_e32 v178, v176, v167
	v_lshlrev_b32_e64 v180, v176, 0x100000
	s_delay_alu instid0(VALU_DEP_4) | instskip(NEXT) | instid1(VALU_DEP_4)
	v_add_nc_u32_e32 v176, v176, v28
	v_and_b32_e32 v167, v177, v167
	s_delay_alu instid0(VALU_DEP_4) | instskip(NEXT) | instid1(VALU_DEP_2)
	v_bfe_u32 v179, v178, 21, 1
	v_cmp_eq_u32_e64 s7, v167, v180
	s_delay_alu instid0(VALU_DEP_2) | instskip(NEXT) | instid1(VALU_DEP_1)
	v_add_nc_u32_e32 v177, -1, v179
	v_cndmask_b32_e64 v167, 0, v177, s7
	v_lshrrev_b32_e32 v177, 23, v178
	s_mov_b32 s7, exec_lo
	s_delay_alu instid0(VALU_DEP_2) | instskip(NEXT) | instid1(VALU_DEP_2)
	v_add_nc_u32_e32 v167, v167, v178
	v_xor_b32_e32 v177, 1, v177
	s_delay_alu instid0(VALU_DEP_2) | instskip(NEXT) | instid1(VALU_DEP_1)
	v_and_b32_e32 v28, 0x1fffff, v167
	v_add_nc_u32_e32 v167, v28, v178
                                        ; implicit-def: $vgpr28
	s_delay_alu instid0(VALU_DEP_3)
	v_cmpx_ne_u32_e64 v176, v177
	s_xor_b32 s7, exec_lo, s7
; %bb.3502:                             ;   in Loop: Header=BB6_3059 Depth=2
	s_delay_alu instid0(VALU_DEP_2) | instskip(SKIP_2) | instid1(VALU_DEP_2)
	v_cmp_lt_u32_e32 vcc_lo, 0xffffff, v167
	v_sub_nc_u32_e32 v28, v176, v177
	v_cndmask_b32_e64 v176, 0, 1, vcc_lo
	v_add_co_ci_u32_e32 v28, vcc_lo, 0, v28, vcc_lo
	s_delay_alu instid0(VALU_DEP_2)
	v_lshrrev_b32_e32 v167, v176, v167
; %bb.3503:                             ;   in Loop: Header=BB6_3059 Depth=2
	s_and_not1_saveexec_b32 s7, s7
; %bb.3504:                             ;   in Loop: Header=BB6_3059 Depth=2
	s_delay_alu instid0(VALU_DEP_1)
	v_bfe_u32 v28, v167, 23, 1
; %bb.3505:                             ;   in Loop: Header=BB6_3059 Depth=2
	s_or_b32 exec_lo, exec_lo, s7
	v_lshrrev_b32_e32 v167, 21, v167
	s_delay_alu instid0(VALU_DEP_2) | instskip(SKIP_2) | instid1(VALU_DEP_2)
	v_cmp_gt_i32_e32 vcc_lo, 32, v28
	v_lshrrev_b32_e32 v34, 24, v34
	v_min_i32_e32 v176, 31, v28
	v_dual_cndmask_b32 v167, 3, v167 :: v_dual_and_b32 v34, 0x80, v34
	s_delay_alu instid0(VALU_DEP_2) | instskip(NEXT) | instid1(VALU_DEP_2)
	v_lshlrev_b32_e32 v176, 2, v176
	v_or_b32_e32 v28, v28, v167
	s_delay_alu instid0(VALU_DEP_1) | instskip(SKIP_1) | instid1(VALU_DEP_1)
	v_cmp_ne_u32_e32 vcc_lo, 0, v28
	v_and_b32_e32 v177, 3, v167
	v_or3_b32 v34, v176, v34, v177
	s_delay_alu instid0(VALU_DEP_1)
	v_cndmask_b32_e32 v28, 0, v34, vcc_lo
.LBB6_3506:                             ;   in Loop: Header=BB6_3059 Depth=2
	s_or_b32 exec_lo, exec_lo, s23
.LBB6_3507:                             ;   in Loop: Header=BB6_3059 Depth=2
	s_delay_alu instid0(SALU_CYCLE_1) | instskip(SKIP_3) | instid1(VALU_DEP_1)
	s_or_b32 exec_lo, exec_lo, s22
	v_and_b32_e32 v167, 0xff, v35
	s_mov_b32 s7, 0
	s_mov_b32 s23, exec_lo
                                        ; implicit-def: $sgpr22
	v_cmpx_lt_i16_e64 0x7f, v167
	s_xor_b32 s23, exec_lo, s23
	s_cbranch_execnz .LBB6_4305
; %bb.3508:                             ;   in Loop: Header=BB6_3059 Depth=2
	s_or_saveexec_b32 s23, s23
	v_mov_b32_e32 v34, s22
	s_xor_b32 exec_lo, exec_lo, s23
	s_cbranch_execnz .LBB6_4308
.LBB6_3509:                             ;   in Loop: Header=BB6_3059 Depth=2
	s_or_b32 exec_lo, exec_lo, s23
	s_and_saveexec_b32 s22, s7
	s_cbranch_execz .LBB6_3511
.LBB6_3510:                             ;   in Loop: Header=BB6_3059 Depth=2
	v_and_b32_e32 v34, 3, v35
	v_bfe_u32 v177, v35, 2, 5
	v_lshlrev_b32_e32 v178, 24, v35
	s_delay_alu instid0(VALU_DEP_3) | instskip(NEXT) | instid1(VALU_DEP_3)
	v_clz_i32_u32_e32 v167, v34
	v_cmp_eq_u32_e32 vcc_lo, 0, v177
	s_delay_alu instid0(VALU_DEP_2) | instskip(NEXT) | instid1(VALU_DEP_1)
	v_min_u32_e32 v167, 32, v167
	v_subrev_nc_u32_e32 v176, 29, v167
	v_sub_nc_u32_e32 v167, 30, v167
	s_delay_alu instid0(VALU_DEP_2) | instskip(NEXT) | instid1(VALU_DEP_1)
	v_lshlrev_b32_e32 v176, v176, v35
	v_dual_cndmask_b32 v167, v177, v167 :: v_dual_and_b32 v176, 3, v176
	s_delay_alu instid0(VALU_DEP_1) | instskip(NEXT) | instid1(VALU_DEP_2)
	v_lshl_add_u32 v167, v167, 23, 0x37800000
	v_cndmask_b32_e32 v34, v34, v176, vcc_lo
	v_and_b32_e32 v176, 0x80000000, v178
	s_delay_alu instid0(VALU_DEP_2) | instskip(NEXT) | instid1(VALU_DEP_1)
	v_lshlrev_b32_e32 v34, 21, v34
	v_or3_b32 v34, v176, v167, v34
.LBB6_3511:                             ;   in Loop: Header=BB6_3059 Depth=2
	s_or_b32 exec_lo, exec_lo, s22
	v_and_b32_e32 v176, 0xff, v29
	s_mov_b32 s7, 0
	s_mov_b32 s23, exec_lo
                                        ; implicit-def: $sgpr22
	s_delay_alu instid0(VALU_DEP_1)
	v_cmpx_lt_i16_e64 0x7f, v176
	s_xor_b32 s23, exec_lo, s23
	s_cbranch_execnz .LBB6_4309
; %bb.3512:                             ;   in Loop: Header=BB6_3059 Depth=2
	s_or_saveexec_b32 s23, s23
	v_mov_b32_e32 v167, s22
	s_xor_b32 exec_lo, exec_lo, s23
	s_cbranch_execnz .LBB6_4312
.LBB6_3513:                             ;   in Loop: Header=BB6_3059 Depth=2
	s_or_b32 exec_lo, exec_lo, s23
	s_and_saveexec_b32 s22, s7
	s_cbranch_execz .LBB6_3515
.LBB6_3514:                             ;   in Loop: Header=BB6_3059 Depth=2
	v_bfe_u32 v178, v29, 2, 5
	v_lshlrev_b32_e32 v179, 24, v29
	s_delay_alu instid0(VALU_DEP_2) | instskip(SKIP_1) | instid1(VALU_DEP_1)
	v_cmp_eq_u32_e32 vcc_lo, 0, v178
	v_and_b32_e32 v167, 3, v29
	v_clz_i32_u32_e32 v176, v167
	s_delay_alu instid0(VALU_DEP_1) | instskip(NEXT) | instid1(VALU_DEP_1)
	v_min_u32_e32 v176, 32, v176
	v_subrev_nc_u32_e32 v177, 29, v176
	v_sub_nc_u32_e32 v176, 30, v176
	s_delay_alu instid0(VALU_DEP_1) | instskip(NEXT) | instid1(VALU_DEP_1)
	v_dual_cndmask_b32 v176, v178, v176 :: v_dual_lshlrev_b32 v177, v177, v29
	v_and_b32_e32 v177, 3, v177
	s_delay_alu instid0(VALU_DEP_2) | instskip(NEXT) | instid1(VALU_DEP_2)
	v_lshl_add_u32 v176, v176, 23, 0x37800000
	v_cndmask_b32_e32 v167, v167, v177, vcc_lo
	v_and_b32_e32 v177, 0x80000000, v179
	s_delay_alu instid0(VALU_DEP_2) | instskip(NEXT) | instid1(VALU_DEP_1)
	v_lshlrev_b32_e32 v167, 21, v167
	v_or3_b32 v167, v177, v176, v167
.LBB6_3515:                             ;   in Loop: Header=BB6_3059 Depth=2
	s_or_b32 exec_lo, exec_lo, s22
	s_delay_alu instid0(VALU_DEP_1) | instskip(NEXT) | instid1(VALU_DEP_1)
	v_mul_f32_e32 v167, v34, v167
	v_and_b32_e32 v34, 0x7f800000, v167
	s_delay_alu instid0(VALU_DEP_1)
	v_cmp_ne_u32_e32 vcc_lo, 0x7f800000, v34
	v_mov_b32_e32 v34, 0x80
	s_and_saveexec_b32 s22, vcc_lo
	s_cbranch_execz .LBB6_3523
; %bb.3516:                             ;   in Loop: Header=BB6_3059 Depth=2
	v_mov_b32_e32 v34, 0
	s_mov_b32 s23, exec_lo
	v_cmpx_ne_u32_e32 0, v167
	s_cbranch_execz .LBB6_3522
; %bb.3517:                             ;   in Loop: Header=BB6_3059 Depth=2
	v_bfe_u32 v34, v167, 23, 8
	s_delay_alu instid0(VALU_DEP_1) | instskip(SKIP_1) | instid1(VALU_DEP_2)
	v_sub_nc_u32_e32 v177, 0x70, v34
	v_cmp_gt_u32_e32 vcc_lo, 0x71, v34
	v_dual_cndmask_b32 v177, 0, v177 :: v_dual_and_b32 v176, 0x7fffff, v167
	s_delay_alu instid0(VALU_DEP_1) | instskip(SKIP_2) | instid1(VALU_DEP_4)
	v_or_b32_e32 v178, 0x800000, v176
	v_cmp_eq_u32_e32 vcc_lo, 0, v34
	v_add_nc_u32_e32 v34, 0xffffff91, v34
	v_cndmask_b32_e64 v177, v177, 0x6f, vcc_lo
	s_delay_alu instid0(VALU_DEP_2) | instskip(SKIP_1) | instid1(VALU_DEP_3)
	v_cndmask_b32_e64 v34, v34, 0xffffff92, vcc_lo
	v_cndmask_b32_e32 v176, v178, v176, vcc_lo
	v_lshl_add_u32 v178, 0x200000, v177, -1
	v_lshlrev_b32_e64 v181, v177, 0x100000
	s_delay_alu instid0(VALU_DEP_3) | instskip(SKIP_1) | instid1(VALU_DEP_4)
	v_lshrrev_b32_e32 v179, v177, v176
	v_add_nc_u32_e32 v177, v177, v34
	v_and_b32_e32 v176, v178, v176
	s_delay_alu instid0(VALU_DEP_3) | instskip(NEXT) | instid1(VALU_DEP_2)
	v_bfe_u32 v180, v179, 21, 1
	v_cmp_eq_u32_e64 s7, v176, v181
	s_delay_alu instid0(VALU_DEP_2) | instskip(NEXT) | instid1(VALU_DEP_1)
	v_add_nc_u32_e32 v178, -1, v180
	v_cndmask_b32_e64 v176, 0, v178, s7
	v_lshrrev_b32_e32 v178, 23, v179
	s_mov_b32 s7, exec_lo
	s_delay_alu instid0(VALU_DEP_2) | instskip(NEXT) | instid1(VALU_DEP_2)
	v_add_nc_u32_e32 v176, v176, v179
	v_xor_b32_e32 v178, 1, v178
	s_delay_alu instid0(VALU_DEP_2) | instskip(NEXT) | instid1(VALU_DEP_1)
	v_and_b32_e32 v34, 0x1fffff, v176
	v_add_nc_u32_e32 v176, v34, v179
                                        ; implicit-def: $vgpr34
	s_delay_alu instid0(VALU_DEP_3)
	v_cmpx_ne_u32_e64 v177, v178
	s_xor_b32 s7, exec_lo, s7
; %bb.3518:                             ;   in Loop: Header=BB6_3059 Depth=2
	s_delay_alu instid0(VALU_DEP_2) | instskip(SKIP_2) | instid1(VALU_DEP_2)
	v_cmp_lt_u32_e32 vcc_lo, 0xffffff, v176
	v_sub_nc_u32_e32 v34, v177, v178
	v_cndmask_b32_e64 v177, 0, 1, vcc_lo
	v_add_co_ci_u32_e32 v34, vcc_lo, 0, v34, vcc_lo
	s_delay_alu instid0(VALU_DEP_2)
	v_lshrrev_b32_e32 v176, v177, v176
; %bb.3519:                             ;   in Loop: Header=BB6_3059 Depth=2
	s_and_not1_saveexec_b32 s7, s7
; %bb.3520:                             ;   in Loop: Header=BB6_3059 Depth=2
	s_delay_alu instid0(VALU_DEP_1)
	v_bfe_u32 v34, v176, 23, 1
; %bb.3521:                             ;   in Loop: Header=BB6_3059 Depth=2
	s_or_b32 exec_lo, exec_lo, s7
	v_lshrrev_b32_e32 v176, 21, v176
	s_delay_alu instid0(VALU_DEP_2) | instskip(SKIP_2) | instid1(VALU_DEP_2)
	v_cmp_gt_i32_e32 vcc_lo, 32, v34
	v_lshrrev_b32_e32 v167, 24, v167
	v_min_i32_e32 v177, 31, v34
	v_dual_cndmask_b32 v176, 3, v176 :: v_dual_and_b32 v167, 0x80, v167
	s_delay_alu instid0(VALU_DEP_1) | instskip(SKIP_1) | instid1(VALU_DEP_2)
	v_or_b32_e32 v34, v34, v176
	v_and_b32_e32 v178, 3, v176
	v_cmp_ne_u32_e32 vcc_lo, 0, v34
	v_lshlrev_b32_e32 v177, 2, v177
	s_delay_alu instid0(VALU_DEP_1) | instskip(NEXT) | instid1(VALU_DEP_1)
	v_or3_b32 v167, v177, v167, v178
	v_cndmask_b32_e32 v34, 0, v167, vcc_lo
.LBB6_3522:                             ;   in Loop: Header=BB6_3059 Depth=2
	s_or_b32 exec_lo, exec_lo, s23
.LBB6_3523:                             ;   in Loop: Header=BB6_3059 Depth=2
	s_delay_alu instid0(SALU_CYCLE_1) | instskip(SKIP_3) | instid1(VALU_DEP_1)
	s_or_b32 exec_lo, exec_lo, s22
	v_lshrrev_b16 v176, 8, v35
	s_mov_b32 s7, 0
	s_mov_b32 s23, exec_lo
                                        ; implicit-def: $sgpr22
	v_cmpx_lt_i16_e64 0x7f, v176
	s_xor_b32 s23, exec_lo, s23
	s_cbranch_execnz .LBB6_4313
; %bb.3524:                             ;   in Loop: Header=BB6_3059 Depth=2
	s_or_saveexec_b32 s23, s23
	v_mov_b32_e32 v167, s22
	s_xor_b32 exec_lo, exec_lo, s23
	s_cbranch_execnz .LBB6_4316
.LBB6_3525:                             ;   in Loop: Header=BB6_3059 Depth=2
	s_or_b32 exec_lo, exec_lo, s23
	s_and_saveexec_b32 s22, s7
	s_cbranch_execz .LBB6_3527
.LBB6_3526:                             ;   in Loop: Header=BB6_3059 Depth=2
	v_and_b32_e32 v167, 0xffff, v176
	s_delay_alu instid0(VALU_DEP_1) | instskip(NEXT) | instid1(VALU_DEP_1)
	v_and_b32_e32 v177, 3, v167
	v_clz_i32_u32_e32 v178, v177
	s_delay_alu instid0(VALU_DEP_1) | instskip(NEXT) | instid1(VALU_DEP_1)
	v_min_u32_e32 v178, 32, v178
	v_subrev_nc_u32_e32 v179, 29, v178
	v_sub_nc_u32_e32 v178, 30, v178
	s_delay_alu instid0(VALU_DEP_2) | instskip(SKIP_1) | instid1(VALU_DEP_2)
	v_lshlrev_b32_e32 v179, v179, v167
	v_bfe_u32 v167, v167, 2, 5
	v_and_b32_e32 v179, 3, v179
	s_delay_alu instid0(VALU_DEP_2) | instskip(SKIP_1) | instid1(VALU_DEP_1)
	v_cmp_eq_u32_e32 vcc_lo, 0, v167
	v_dual_cndmask_b32 v167, v167, v178 :: v_dual_lshlrev_b32 v176, 24, v176
	v_dual_cndmask_b32 v177, v177, v179 :: v_dual_and_b32 v176, 0x80000000, v176
	s_delay_alu instid0(VALU_DEP_2) | instskip(NEXT) | instid1(VALU_DEP_2)
	v_lshl_add_u32 v167, v167, 23, 0x37800000
	v_lshlrev_b32_e32 v177, 21, v177
	s_delay_alu instid0(VALU_DEP_1)
	v_or3_b32 v167, v176, v167, v177
.LBB6_3527:                             ;   in Loop: Header=BB6_3059 Depth=2
	s_or_b32 exec_lo, exec_lo, s22
	v_lshrrev_b16 v176, 8, v29
	s_mov_b32 s7, 0
	s_mov_b32 s23, exec_lo
                                        ; implicit-def: $sgpr22
	s_delay_alu instid0(VALU_DEP_1)
	v_cmpx_lt_i16_e64 0x7f, v176
	s_xor_b32 s23, exec_lo, s23
	s_cbranch_execnz .LBB6_4317
; %bb.3528:                             ;   in Loop: Header=BB6_3059 Depth=2
	s_or_saveexec_b32 s23, s23
	v_mov_b32_e32 v177, s22
	s_xor_b32 exec_lo, exec_lo, s23
	s_cbranch_execnz .LBB6_4320
.LBB6_3529:                             ;   in Loop: Header=BB6_3059 Depth=2
	s_or_b32 exec_lo, exec_lo, s23
	s_and_saveexec_b32 s22, s7
	s_cbranch_execz .LBB6_3531
.LBB6_3530:                             ;   in Loop: Header=BB6_3059 Depth=2
	v_and_b32_e32 v177, 0xffff, v176
	v_lshlrev_b32_e32 v176, 24, v176
	s_delay_alu instid0(VALU_DEP_2) | instskip(NEXT) | instid1(VALU_DEP_2)
	v_and_b32_e32 v178, 3, v177
	v_and_b32_e32 v176, 0x80000000, v176
	s_delay_alu instid0(VALU_DEP_2) | instskip(NEXT) | instid1(VALU_DEP_1)
	v_clz_i32_u32_e32 v179, v178
	v_min_u32_e32 v179, 32, v179
	s_delay_alu instid0(VALU_DEP_1) | instskip(SKIP_1) | instid1(VALU_DEP_2)
	v_subrev_nc_u32_e32 v180, 29, v179
	v_sub_nc_u32_e32 v179, 30, v179
	v_lshlrev_b32_e32 v180, v180, v177
	v_bfe_u32 v177, v177, 2, 5
	s_delay_alu instid0(VALU_DEP_2) | instskip(NEXT) | instid1(VALU_DEP_2)
	v_and_b32_e32 v180, 3, v180
	v_cmp_eq_u32_e32 vcc_lo, 0, v177
	s_delay_alu instid0(VALU_DEP_2) | instskip(NEXT) | instid1(VALU_DEP_1)
	v_dual_cndmask_b32 v177, v177, v179 :: v_dual_cndmask_b32 v178, v178, v180
	v_lshl_add_u32 v177, v177, 23, 0x37800000
	s_delay_alu instid0(VALU_DEP_2) | instskip(NEXT) | instid1(VALU_DEP_1)
	v_lshlrev_b32_e32 v178, 21, v178
	v_or3_b32 v177, v176, v177, v178
.LBB6_3531:                             ;   in Loop: Header=BB6_3059 Depth=2
	s_or_b32 exec_lo, exec_lo, s22
	s_delay_alu instid0(VALU_DEP_1) | instskip(NEXT) | instid1(VALU_DEP_1)
	v_mul_f32_e32 v176, v167, v177
	v_and_b32_e32 v167, 0x7f800000, v176
	s_delay_alu instid0(VALU_DEP_1)
	v_cmp_ne_u32_e32 vcc_lo, 0x7f800000, v167
	v_mov_b32_e32 v167, 0x8000
	s_and_saveexec_b32 s22, vcc_lo
	s_cbranch_execz .LBB6_3539
; %bb.3532:                             ;   in Loop: Header=BB6_3059 Depth=2
	v_mov_b32_e32 v167, 0
	s_mov_b32 s23, exec_lo
	v_cmpx_ne_u32_e32 0, v176
	s_cbranch_execz .LBB6_3538
; %bb.3533:                             ;   in Loop: Header=BB6_3059 Depth=2
	v_bfe_u32 v167, v176, 23, 8
	s_delay_alu instid0(VALU_DEP_1) | instskip(SKIP_1) | instid1(VALU_DEP_2)
	v_sub_nc_u32_e32 v178, 0x70, v167
	v_cmp_gt_u32_e32 vcc_lo, 0x71, v167
	v_dual_cndmask_b32 v178, 0, v178 :: v_dual_and_b32 v177, 0x7fffff, v176
	s_delay_alu instid0(VALU_DEP_1) | instskip(SKIP_2) | instid1(VALU_DEP_4)
	v_or_b32_e32 v179, 0x800000, v177
	v_cmp_eq_u32_e32 vcc_lo, 0, v167
	v_add_nc_u32_e32 v167, 0xffffff91, v167
	v_cndmask_b32_e64 v178, v178, 0x6f, vcc_lo
	s_delay_alu instid0(VALU_DEP_2) | instskip(SKIP_1) | instid1(VALU_DEP_3)
	v_cndmask_b32_e64 v167, v167, 0xffffff92, vcc_lo
	v_cndmask_b32_e32 v177, v179, v177, vcc_lo
	v_lshl_add_u32 v179, 0x200000, v178, -1
	v_lshlrev_b32_e64 v182, v178, 0x100000
	s_delay_alu instid0(VALU_DEP_3) | instskip(SKIP_1) | instid1(VALU_DEP_4)
	v_lshrrev_b32_e32 v180, v178, v177
	v_add_nc_u32_e32 v178, v178, v167
	v_and_b32_e32 v177, v179, v177
	s_delay_alu instid0(VALU_DEP_3) | instskip(NEXT) | instid1(VALU_DEP_2)
	v_bfe_u32 v181, v180, 21, 1
	v_cmp_eq_u32_e64 s7, v177, v182
	s_delay_alu instid0(VALU_DEP_2) | instskip(NEXT) | instid1(VALU_DEP_1)
	v_add_nc_u32_e32 v179, -1, v181
	v_cndmask_b32_e64 v177, 0, v179, s7
	v_lshrrev_b32_e32 v179, 23, v180
	s_mov_b32 s7, exec_lo
	s_delay_alu instid0(VALU_DEP_2) | instskip(NEXT) | instid1(VALU_DEP_2)
	v_add_nc_u32_e32 v177, v177, v180
	v_xor_b32_e32 v179, 1, v179
	s_delay_alu instid0(VALU_DEP_2) | instskip(NEXT) | instid1(VALU_DEP_1)
	v_and_b32_e32 v167, 0x1fffff, v177
	v_add_nc_u32_e32 v177, v167, v180
                                        ; implicit-def: $vgpr167
	s_delay_alu instid0(VALU_DEP_3)
	v_cmpx_ne_u32_e64 v178, v179
	s_xor_b32 s7, exec_lo, s7
; %bb.3534:                             ;   in Loop: Header=BB6_3059 Depth=2
	s_delay_alu instid0(VALU_DEP_2) | instskip(SKIP_2) | instid1(VALU_DEP_2)
	v_cmp_lt_u32_e32 vcc_lo, 0xffffff, v177
	v_sub_nc_u32_e32 v167, v178, v179
	v_cndmask_b32_e64 v178, 0, 1, vcc_lo
	v_add_co_ci_u32_e32 v167, vcc_lo, 0, v167, vcc_lo
	s_delay_alu instid0(VALU_DEP_2)
	v_lshrrev_b32_e32 v177, v178, v177
; %bb.3535:                             ;   in Loop: Header=BB6_3059 Depth=2
	s_and_not1_saveexec_b32 s7, s7
; %bb.3536:                             ;   in Loop: Header=BB6_3059 Depth=2
	s_delay_alu instid0(VALU_DEP_1)
	v_bfe_u32 v167, v177, 23, 1
; %bb.3537:                             ;   in Loop: Header=BB6_3059 Depth=2
	s_or_b32 exec_lo, exec_lo, s7
	v_lshrrev_b32_e32 v177, 21, v177
	s_delay_alu instid0(VALU_DEP_2) | instskip(SKIP_2) | instid1(VALU_DEP_2)
	v_cmp_gt_i32_e32 vcc_lo, 32, v167
	v_min_i32_e32 v178, 31, v167
	v_lshrrev_b32_e32 v176, 24, v176
	v_dual_cndmask_b32 v177, 3, v177 :: v_dual_lshlrev_b32 v178, 2, v178
	s_delay_alu instid0(VALU_DEP_2) | instskip(NEXT) | instid1(VALU_DEP_2)
	v_and_b32_e32 v176, 0x80, v176
	v_or_b32_e32 v167, v167, v177
	v_and_b32_e32 v179, 3, v177
	s_delay_alu instid0(VALU_DEP_2) | instskip(SKIP_1) | instid1(VALU_DEP_1)
	v_cmp_ne_u32_e32 vcc_lo, 0, v167
	v_and_b32_e32 v178, 0xfc, v178
	v_or3_b32 v176, v176, v178, v179
	s_delay_alu instid0(VALU_DEP_1) | instskip(NEXT) | instid1(VALU_DEP_1)
	v_lshlrev_b32_e32 v176, 8, v176
	v_cndmask_b32_e32 v167, 0, v176, vcc_lo
.LBB6_3538:                             ;   in Loop: Header=BB6_3059 Depth=2
	s_or_b32 exec_lo, exec_lo, s23
.LBB6_3539:                             ;   in Loop: Header=BB6_3059 Depth=2
	s_delay_alu instid0(SALU_CYCLE_1) | instskip(SKIP_3) | instid1(VALU_DEP_1)
	s_or_b32 exec_lo, exec_lo, s22
	v_lshrrev_b32_e32 v177, 16, v35
	s_mov_b32 s7, 0
	s_mov_b32 s23, exec_lo
                                        ; implicit-def: $sgpr22
	v_and_b32_e32 v178, 0xff, v177
	s_delay_alu instid0(VALU_DEP_1)
	v_cmpx_lt_i16_e64 0x7f, v178
	s_xor_b32 s23, exec_lo, s23
	s_cbranch_execnz .LBB6_4321
; %bb.3540:                             ;   in Loop: Header=BB6_3059 Depth=2
	s_or_saveexec_b32 s23, s23
	v_mov_b32_e32 v176, s22
	s_xor_b32 exec_lo, exec_lo, s23
	s_cbranch_execnz .LBB6_4324
.LBB6_3541:                             ;   in Loop: Header=BB6_3059 Depth=2
	s_or_b32 exec_lo, exec_lo, s23
	s_and_saveexec_b32 s22, s7
	s_cbranch_execz .LBB6_3543
.LBB6_3542:                             ;   in Loop: Header=BB6_3059 Depth=2
	v_bfe_u32 v176, v35, 16, 2
	v_lshlrev_b32_e32 v180, 8, v35
	s_delay_alu instid0(VALU_DEP_2) | instskip(NEXT) | instid1(VALU_DEP_1)
	v_clz_i32_u32_e32 v178, v176
	v_min_u32_e32 v178, 32, v178
	s_delay_alu instid0(VALU_DEP_1) | instskip(SKIP_1) | instid1(VALU_DEP_2)
	v_subrev_nc_u32_e32 v179, 29, v178
	v_sub_nc_u32_e32 v178, 30, v178
	v_lshlrev_b32_e32 v177, v179, v177
	v_bfe_u32 v179, v35, 18, 5
	s_delay_alu instid0(VALU_DEP_1) | instskip(NEXT) | instid1(VALU_DEP_3)
	v_cmp_eq_u32_e32 vcc_lo, 0, v179
	v_dual_cndmask_b32 v178, v179, v178 :: v_dual_and_b32 v177, 3, v177
	s_delay_alu instid0(VALU_DEP_1) | instskip(NEXT) | instid1(VALU_DEP_2)
	v_dual_cndmask_b32 v176, v176, v177 :: v_dual_and_b32 v177, 0x80000000, v180
	v_lshl_add_u32 v178, v178, 23, 0x37800000
	s_delay_alu instid0(VALU_DEP_2) | instskip(NEXT) | instid1(VALU_DEP_1)
	v_lshlrev_b32_e32 v176, 21, v176
	v_or3_b32 v176, v177, v178, v176
.LBB6_3543:                             ;   in Loop: Header=BB6_3059 Depth=2
	s_or_b32 exec_lo, exec_lo, s22
	v_lshrrev_b32_e32 v177, 16, v29
	s_mov_b32 s7, 0
	s_mov_b32 s23, exec_lo
                                        ; implicit-def: $sgpr22
	s_delay_alu instid0(VALU_DEP_1) | instskip(NEXT) | instid1(VALU_DEP_1)
	v_and_b32_e32 v179, 0xff, v177
	v_cmpx_lt_i16_e64 0x7f, v179
	s_xor_b32 s23, exec_lo, s23
	s_cbranch_execnz .LBB6_4325
; %bb.3544:                             ;   in Loop: Header=BB6_3059 Depth=2
	s_or_saveexec_b32 s23, s23
	v_mov_b32_e32 v178, s22
	s_xor_b32 exec_lo, exec_lo, s23
	s_cbranch_execnz .LBB6_4328
.LBB6_3545:                             ;   in Loop: Header=BB6_3059 Depth=2
	s_or_b32 exec_lo, exec_lo, s23
	s_and_saveexec_b32 s22, s7
	s_cbranch_execz .LBB6_3547
.LBB6_3546:                             ;   in Loop: Header=BB6_3059 Depth=2
	v_bfe_u32 v178, v29, 16, 2
	v_lshlrev_b32_e32 v181, 8, v29
	s_delay_alu instid0(VALU_DEP_2) | instskip(NEXT) | instid1(VALU_DEP_1)
	v_clz_i32_u32_e32 v179, v178
	v_min_u32_e32 v179, 32, v179
	s_delay_alu instid0(VALU_DEP_1) | instskip(SKIP_1) | instid1(VALU_DEP_2)
	v_subrev_nc_u32_e32 v180, 29, v179
	v_sub_nc_u32_e32 v179, 30, v179
	v_lshlrev_b32_e32 v177, v180, v177
	v_bfe_u32 v180, v29, 18, 5
	s_delay_alu instid0(VALU_DEP_2) | instskip(NEXT) | instid1(VALU_DEP_2)
	v_and_b32_e32 v177, 3, v177
	v_cmp_eq_u32_e32 vcc_lo, 0, v180
	v_cndmask_b32_e32 v179, v180, v179, vcc_lo
	s_delay_alu instid0(VALU_DEP_3) | instskip(SKIP_1) | instid1(VALU_DEP_3)
	v_cndmask_b32_e32 v177, v178, v177, vcc_lo
	v_and_b32_e32 v178, 0x80000000, v181
	v_lshl_add_u32 v179, v179, 23, 0x37800000
	s_delay_alu instid0(VALU_DEP_3) | instskip(NEXT) | instid1(VALU_DEP_1)
	v_lshlrev_b32_e32 v177, 21, v177
	v_or3_b32 v178, v178, v179, v177
.LBB6_3547:                             ;   in Loop: Header=BB6_3059 Depth=2
	s_or_b32 exec_lo, exec_lo, s22
	s_delay_alu instid0(VALU_DEP_1) | instskip(NEXT) | instid1(VALU_DEP_1)
	v_mul_f32_e32 v177, v176, v178
	v_and_b32_e32 v176, 0x7f800000, v177
	s_delay_alu instid0(VALU_DEP_1)
	v_cmp_ne_u32_e32 vcc_lo, 0x7f800000, v176
	v_mov_b32_e32 v176, 0x80
	s_and_saveexec_b32 s22, vcc_lo
	s_cbranch_execz .LBB6_3555
; %bb.3548:                             ;   in Loop: Header=BB6_3059 Depth=2
	v_mov_b32_e32 v176, 0
	s_mov_b32 s23, exec_lo
	v_cmpx_ne_u32_e32 0, v177
	s_cbranch_execz .LBB6_3554
; %bb.3549:                             ;   in Loop: Header=BB6_3059 Depth=2
	v_bfe_u32 v176, v177, 23, 8
	s_delay_alu instid0(VALU_DEP_1) | instskip(SKIP_1) | instid1(VALU_DEP_2)
	v_sub_nc_u32_e32 v179, 0x70, v176
	v_cmp_gt_u32_e32 vcc_lo, 0x71, v176
	v_dual_cndmask_b32 v179, 0, v179 :: v_dual_and_b32 v178, 0x7fffff, v177
	s_delay_alu instid0(VALU_DEP_1) | instskip(SKIP_2) | instid1(VALU_DEP_4)
	v_or_b32_e32 v180, 0x800000, v178
	v_cmp_eq_u32_e32 vcc_lo, 0, v176
	v_add_nc_u32_e32 v176, 0xffffff91, v176
	v_cndmask_b32_e64 v179, v179, 0x6f, vcc_lo
	s_delay_alu instid0(VALU_DEP_2) | instskip(SKIP_1) | instid1(VALU_DEP_3)
	v_cndmask_b32_e64 v176, v176, 0xffffff92, vcc_lo
	v_cndmask_b32_e32 v178, v180, v178, vcc_lo
	v_lshl_add_u32 v180, 0x200000, v179, -1
	v_lshlrev_b32_e64 v183, v179, 0x100000
	s_delay_alu instid0(VALU_DEP_3) | instskip(SKIP_1) | instid1(VALU_DEP_4)
	v_lshrrev_b32_e32 v181, v179, v178
	v_add_nc_u32_e32 v179, v179, v176
	v_and_b32_e32 v178, v180, v178
	s_delay_alu instid0(VALU_DEP_3) | instskip(NEXT) | instid1(VALU_DEP_2)
	v_bfe_u32 v182, v181, 21, 1
	v_cmp_eq_u32_e64 s7, v178, v183
	s_delay_alu instid0(VALU_DEP_2) | instskip(NEXT) | instid1(VALU_DEP_1)
	v_add_nc_u32_e32 v180, -1, v182
	v_cndmask_b32_e64 v178, 0, v180, s7
	v_lshrrev_b32_e32 v180, 23, v181
	s_mov_b32 s7, exec_lo
	s_delay_alu instid0(VALU_DEP_2) | instskip(NEXT) | instid1(VALU_DEP_2)
	v_add_nc_u32_e32 v178, v178, v181
	v_xor_b32_e32 v180, 1, v180
	s_delay_alu instid0(VALU_DEP_2) | instskip(NEXT) | instid1(VALU_DEP_1)
	v_and_b32_e32 v176, 0x1fffff, v178
	v_add_nc_u32_e32 v178, v176, v181
                                        ; implicit-def: $vgpr176
	s_delay_alu instid0(VALU_DEP_3)
	v_cmpx_ne_u32_e64 v179, v180
	s_xor_b32 s7, exec_lo, s7
; %bb.3550:                             ;   in Loop: Header=BB6_3059 Depth=2
	s_delay_alu instid0(VALU_DEP_2) | instskip(SKIP_2) | instid1(VALU_DEP_2)
	v_cmp_lt_u32_e32 vcc_lo, 0xffffff, v178
	v_sub_nc_u32_e32 v176, v179, v180
	v_cndmask_b32_e64 v179, 0, 1, vcc_lo
	v_add_co_ci_u32_e32 v176, vcc_lo, 0, v176, vcc_lo
	s_delay_alu instid0(VALU_DEP_2)
	v_lshrrev_b32_e32 v178, v179, v178
; %bb.3551:                             ;   in Loop: Header=BB6_3059 Depth=2
	s_and_not1_saveexec_b32 s7, s7
; %bb.3552:                             ;   in Loop: Header=BB6_3059 Depth=2
	s_delay_alu instid0(VALU_DEP_1)
	v_bfe_u32 v176, v178, 23, 1
; %bb.3553:                             ;   in Loop: Header=BB6_3059 Depth=2
	s_or_b32 exec_lo, exec_lo, s7
	v_lshrrev_b32_e32 v178, 21, v178
	s_delay_alu instid0(VALU_DEP_2) | instskip(SKIP_2) | instid1(VALU_DEP_2)
	v_cmp_gt_i32_e32 vcc_lo, 32, v176
	v_min_i32_e32 v179, 31, v176
	v_lshrrev_b32_e32 v177, 24, v177
	v_dual_cndmask_b32 v178, 3, v178 :: v_dual_lshlrev_b32 v179, 2, v179
	s_delay_alu instid0(VALU_DEP_2) | instskip(NEXT) | instid1(VALU_DEP_2)
	v_and_b32_e32 v177, 0x80, v177
	v_or_b32_e32 v176, v176, v178
	v_and_b32_e32 v180, 3, v178
	s_delay_alu instid0(VALU_DEP_2) | instskip(SKIP_1) | instid1(VALU_DEP_1)
	v_cmp_ne_u32_e32 vcc_lo, 0, v176
	v_and_b32_e32 v179, 0xfc, v179
	v_or3_b32 v177, v179, v177, v180
	s_delay_alu instid0(VALU_DEP_1)
	v_cndmask_b32_e32 v176, 0, v177, vcc_lo
.LBB6_3554:                             ;   in Loop: Header=BB6_3059 Depth=2
	s_or_b32 exec_lo, exec_lo, s23
.LBB6_3555:                             ;   in Loop: Header=BB6_3059 Depth=2
	s_delay_alu instid0(SALU_CYCLE_1) | instskip(SKIP_3) | instid1(VALU_DEP_1)
	s_or_b32 exec_lo, exec_lo, s22
	v_lshrrev_b32_e32 v178, 24, v35
	s_mov_b32 s7, 0
	s_mov_b32 s23, exec_lo
                                        ; implicit-def: $sgpr22
	v_cmpx_lt_i16_e64 0x7f, v178
	s_xor_b32 s23, exec_lo, s23
	s_cbranch_execnz .LBB6_4329
; %bb.3556:                             ;   in Loop: Header=BB6_3059 Depth=2
	s_or_saveexec_b32 s23, s23
	v_mov_b32_e32 v177, s22
	s_xor_b32 exec_lo, exec_lo, s23
	s_cbranch_execnz .LBB6_4332
.LBB6_3557:                             ;   in Loop: Header=BB6_3059 Depth=2
	s_or_b32 exec_lo, exec_lo, s23
	s_and_saveexec_b32 s22, s7
	s_cbranch_execz .LBB6_3559
.LBB6_3558:                             ;   in Loop: Header=BB6_3059 Depth=2
	v_bfe_u32 v177, v35, 24, 2
	s_delay_alu instid0(VALU_DEP_1) | instskip(NEXT) | instid1(VALU_DEP_1)
	v_clz_i32_u32_e32 v179, v177
	v_min_u32_e32 v179, 32, v179
	s_delay_alu instid0(VALU_DEP_1) | instskip(SKIP_1) | instid1(VALU_DEP_2)
	v_subrev_nc_u32_e32 v180, 29, v179
	v_sub_nc_u32_e32 v179, 30, v179
	v_lshlrev_b32_e32 v178, v180, v178
	v_bfe_u32 v180, v35, 26, 5
	v_and_b32_e32 v35, 0x80000000, v35
	s_delay_alu instid0(VALU_DEP_2) | instskip(NEXT) | instid1(VALU_DEP_4)
	v_cmp_eq_u32_e32 vcc_lo, 0, v180
	v_dual_cndmask_b32 v179, v180, v179 :: v_dual_and_b32 v178, 3, v178
	s_delay_alu instid0(VALU_DEP_1) | instskip(NEXT) | instid1(VALU_DEP_2)
	v_cndmask_b32_e32 v177, v177, v178, vcc_lo
	v_lshl_add_u32 v178, v179, 23, 0x37800000
	s_delay_alu instid0(VALU_DEP_2) | instskip(NEXT) | instid1(VALU_DEP_1)
	v_lshlrev_b32_e32 v177, 21, v177
	v_or3_b32 v177, v35, v178, v177
.LBB6_3559:                             ;   in Loop: Header=BB6_3059 Depth=2
	s_or_b32 exec_lo, exec_lo, s22
	v_lshrrev_b32_e32 v35, 24, v29
	s_mov_b32 s7, 0
	s_mov_b32 s23, exec_lo
                                        ; implicit-def: $sgpr22
	s_delay_alu instid0(VALU_DEP_1)
	v_cmpx_lt_i16_e32 0x7f, v35
	s_xor_b32 s23, exec_lo, s23
	s_cbranch_execnz .LBB6_4333
; %bb.3560:                             ;   in Loop: Header=BB6_3059 Depth=2
	s_or_saveexec_b32 s23, s23
	v_mov_b32_e32 v178, s22
	s_xor_b32 exec_lo, exec_lo, s23
	s_cbranch_execnz .LBB6_4336
.LBB6_3561:                             ;   in Loop: Header=BB6_3059 Depth=2
	s_or_b32 exec_lo, exec_lo, s23
	s_and_saveexec_b32 s22, s7
	s_cbranch_execz .LBB6_3563
.LBB6_3562:                             ;   in Loop: Header=BB6_3059 Depth=2
	v_bfe_u32 v178, v29, 24, 2
	s_delay_alu instid0(VALU_DEP_1) | instskip(NEXT) | instid1(VALU_DEP_1)
	v_clz_i32_u32_e32 v179, v178
	v_min_u32_e32 v179, 32, v179
	s_delay_alu instid0(VALU_DEP_1) | instskip(SKIP_1) | instid1(VALU_DEP_2)
	v_subrev_nc_u32_e32 v180, 29, v179
	v_sub_nc_u32_e32 v179, 30, v179
	v_lshlrev_b32_e32 v35, v180, v35
	v_bfe_u32 v180, v29, 26, 5
	v_and_b32_e32 v29, 0x80000000, v29
	s_delay_alu instid0(VALU_DEP_3) | instskip(NEXT) | instid1(VALU_DEP_3)
	v_and_b32_e32 v35, 3, v35
	v_cmp_eq_u32_e32 vcc_lo, 0, v180
	v_cndmask_b32_e32 v179, v180, v179, vcc_lo
	s_delay_alu instid0(VALU_DEP_3) | instskip(NEXT) | instid1(VALU_DEP_2)
	v_cndmask_b32_e32 v35, v178, v35, vcc_lo
	v_lshl_add_u32 v178, v179, 23, 0x37800000
	s_delay_alu instid0(VALU_DEP_2) | instskip(NEXT) | instid1(VALU_DEP_1)
	v_lshlrev_b32_e32 v35, 21, v35
	v_or3_b32 v178, v29, v178, v35
.LBB6_3563:                             ;   in Loop: Header=BB6_3059 Depth=2
	s_or_b32 exec_lo, exec_lo, s22
	s_delay_alu instid0(VALU_DEP_1) | instskip(NEXT) | instid1(VALU_DEP_1)
	v_mul_f32_e32 v35, v177, v178
	v_and_b32_e32 v29, 0x7f800000, v35
	s_delay_alu instid0(VALU_DEP_1)
	v_cmp_ne_u32_e32 vcc_lo, 0x7f800000, v29
	v_mov_b32_e32 v29, 0x8000
	s_and_saveexec_b32 s22, vcc_lo
	s_cbranch_execz .LBB6_3571
; %bb.3564:                             ;   in Loop: Header=BB6_3059 Depth=2
	v_mov_b32_e32 v29, 0
	s_mov_b32 s23, exec_lo
	v_cmpx_ne_u32_e32 0, v35
	s_cbranch_execz .LBB6_3570
; %bb.3565:                             ;   in Loop: Header=BB6_3059 Depth=2
	v_bfe_u32 v29, v35, 23, 8
	s_delay_alu instid0(VALU_DEP_1) | instskip(SKIP_1) | instid1(VALU_DEP_2)
	v_sub_nc_u32_e32 v178, 0x70, v29
	v_cmp_gt_u32_e32 vcc_lo, 0x71, v29
	v_dual_cndmask_b32 v178, 0, v178 :: v_dual_and_b32 v177, 0x7fffff, v35
	s_delay_alu instid0(VALU_DEP_1) | instskip(SKIP_2) | instid1(VALU_DEP_4)
	v_or_b32_e32 v179, 0x800000, v177
	v_cmp_eq_u32_e32 vcc_lo, 0, v29
	v_add_nc_u32_e32 v29, 0xffffff91, v29
	v_cndmask_b32_e64 v178, v178, 0x6f, vcc_lo
	s_delay_alu instid0(VALU_DEP_4) | instskip(NEXT) | instid1(VALU_DEP_3)
	v_cndmask_b32_e32 v177, v179, v177, vcc_lo
	v_cndmask_b32_e64 v29, v29, 0xffffff92, vcc_lo
	s_delay_alu instid0(VALU_DEP_3) | instskip(NEXT) | instid1(VALU_DEP_3)
	v_lshl_add_u32 v179, 0x200000, v178, -1
	v_lshrrev_b32_e32 v180, v178, v177
	v_lshlrev_b32_e64 v182, v178, 0x100000
	s_delay_alu instid0(VALU_DEP_4) | instskip(NEXT) | instid1(VALU_DEP_4)
	v_add_nc_u32_e32 v178, v178, v29
	v_and_b32_e32 v177, v179, v177
	s_delay_alu instid0(VALU_DEP_4) | instskip(NEXT) | instid1(VALU_DEP_2)
	v_bfe_u32 v181, v180, 21, 1
	v_cmp_eq_u32_e64 s7, v177, v182
	s_delay_alu instid0(VALU_DEP_2) | instskip(NEXT) | instid1(VALU_DEP_1)
	v_add_nc_u32_e32 v179, -1, v181
	v_cndmask_b32_e64 v177, 0, v179, s7
	v_lshrrev_b32_e32 v179, 23, v180
	s_mov_b32 s7, exec_lo
	s_delay_alu instid0(VALU_DEP_2) | instskip(NEXT) | instid1(VALU_DEP_2)
	v_add_nc_u32_e32 v177, v177, v180
	v_xor_b32_e32 v179, 1, v179
	s_delay_alu instid0(VALU_DEP_2) | instskip(NEXT) | instid1(VALU_DEP_1)
	v_and_b32_e32 v29, 0x1fffff, v177
	v_add_nc_u32_e32 v177, v29, v180
                                        ; implicit-def: $vgpr29
	s_delay_alu instid0(VALU_DEP_3)
	v_cmpx_ne_u32_e64 v178, v179
	s_xor_b32 s7, exec_lo, s7
; %bb.3566:                             ;   in Loop: Header=BB6_3059 Depth=2
	s_delay_alu instid0(VALU_DEP_2) | instskip(SKIP_2) | instid1(VALU_DEP_2)
	v_cmp_lt_u32_e32 vcc_lo, 0xffffff, v177
	v_sub_nc_u32_e32 v29, v178, v179
	v_cndmask_b32_e64 v178, 0, 1, vcc_lo
	v_add_co_ci_u32_e32 v29, vcc_lo, 0, v29, vcc_lo
	s_delay_alu instid0(VALU_DEP_2)
	v_lshrrev_b32_e32 v177, v178, v177
; %bb.3567:                             ;   in Loop: Header=BB6_3059 Depth=2
	s_and_not1_saveexec_b32 s7, s7
; %bb.3568:                             ;   in Loop: Header=BB6_3059 Depth=2
	s_delay_alu instid0(VALU_DEP_1)
	v_bfe_u32 v29, v177, 23, 1
; %bb.3569:                             ;   in Loop: Header=BB6_3059 Depth=2
	s_or_b32 exec_lo, exec_lo, s7
	v_lshrrev_b32_e32 v177, 21, v177
	s_delay_alu instid0(VALU_DEP_2) | instskip(SKIP_2) | instid1(VALU_DEP_2)
	v_cmp_gt_i32_e32 vcc_lo, 32, v29
	v_min_i32_e32 v178, 31, v29
	v_lshrrev_b32_e32 v35, 24, v35
	v_dual_cndmask_b32 v177, 3, v177 :: v_dual_lshlrev_b32 v178, 2, v178
	s_delay_alu instid0(VALU_DEP_2) | instskip(NEXT) | instid1(VALU_DEP_2)
	v_and_b32_e32 v35, 0x80, v35
	v_or_b32_e32 v29, v29, v177
	v_and_b32_e32 v179, 3, v177
	s_delay_alu instid0(VALU_DEP_2) | instskip(SKIP_1) | instid1(VALU_DEP_1)
	v_cmp_ne_u32_e32 vcc_lo, 0, v29
	v_and_b32_e32 v178, 0xfc, v178
	v_or3_b32 v35, v35, v178, v179
	s_delay_alu instid0(VALU_DEP_1) | instskip(NEXT) | instid1(VALU_DEP_1)
	v_lshlrev_b32_e32 v35, 8, v35
	v_cndmask_b32_e32 v29, 0, v35, vcc_lo
.LBB6_3570:                             ;   in Loop: Header=BB6_3059 Depth=2
	s_or_b32 exec_lo, exec_lo, s23
.LBB6_3571:                             ;   in Loop: Header=BB6_3059 Depth=2
	s_delay_alu instid0(SALU_CYCLE_1) | instskip(SKIP_3) | instid1(VALU_DEP_1)
	s_or_b32 exec_lo, exec_lo, s22
	v_and_b32_e32 v177, 0xff, v22
	s_mov_b32 s7, 0
	s_mov_b32 s23, exec_lo
                                        ; implicit-def: $sgpr22
	v_cmpx_lt_i16_e64 0x7f, v177
	s_xor_b32 s23, exec_lo, s23
	s_cbranch_execnz .LBB6_4337
; %bb.3572:                             ;   in Loop: Header=BB6_3059 Depth=2
	s_or_saveexec_b32 s23, s23
	v_mov_b32_e32 v35, s22
	s_xor_b32 exec_lo, exec_lo, s23
	s_cbranch_execnz .LBB6_4340
.LBB6_3573:                             ;   in Loop: Header=BB6_3059 Depth=2
	s_or_b32 exec_lo, exec_lo, s23
	s_and_saveexec_b32 s22, s7
	s_cbranch_execz .LBB6_3575
.LBB6_3574:                             ;   in Loop: Header=BB6_3059 Depth=2
	v_and_b32_e32 v35, 3, v22
	v_bfe_u32 v179, v22, 2, 5
	v_lshlrev_b32_e32 v180, 24, v22
	s_delay_alu instid0(VALU_DEP_3) | instskip(NEXT) | instid1(VALU_DEP_3)
	v_clz_i32_u32_e32 v177, v35
	v_cmp_eq_u32_e32 vcc_lo, 0, v179
	s_delay_alu instid0(VALU_DEP_2) | instskip(NEXT) | instid1(VALU_DEP_1)
	v_min_u32_e32 v177, 32, v177
	v_subrev_nc_u32_e32 v178, 29, v177
	v_sub_nc_u32_e32 v177, 30, v177
	s_delay_alu instid0(VALU_DEP_1) | instskip(NEXT) | instid1(VALU_DEP_1)
	v_dual_cndmask_b32 v177, v179, v177 :: v_dual_lshlrev_b32 v178, v178, v22
	v_and_b32_e32 v178, 3, v178
	s_delay_alu instid0(VALU_DEP_2) | instskip(NEXT) | instid1(VALU_DEP_2)
	v_lshl_add_u32 v177, v177, 23, 0x37800000
	v_dual_cndmask_b32 v35, v35, v178 :: v_dual_and_b32 v178, 0x80000000, v180
	s_delay_alu instid0(VALU_DEP_1) | instskip(NEXT) | instid1(VALU_DEP_1)
	v_lshlrev_b32_e32 v35, 21, v35
	v_or3_b32 v35, v178, v177, v35
.LBB6_3575:                             ;   in Loop: Header=BB6_3059 Depth=2
	s_or_b32 exec_lo, exec_lo, s22
	s_waitcnt vmcnt(1)
	v_and_b32_e32 v178, 0xff, v18
	s_mov_b32 s7, 0
	s_mov_b32 s23, exec_lo
                                        ; implicit-def: $sgpr22
	s_delay_alu instid0(VALU_DEP_1)
	v_cmpx_lt_i16_e64 0x7f, v178
	s_xor_b32 s23, exec_lo, s23
	s_cbranch_execnz .LBB6_4341
; %bb.3576:                             ;   in Loop: Header=BB6_3059 Depth=2
	s_or_saveexec_b32 s23, s23
	v_mov_b32_e32 v177, s22
	s_xor_b32 exec_lo, exec_lo, s23
	s_cbranch_execnz .LBB6_4344
.LBB6_3577:                             ;   in Loop: Header=BB6_3059 Depth=2
	s_or_b32 exec_lo, exec_lo, s23
	s_and_saveexec_b32 s22, s7
	s_cbranch_execz .LBB6_3579
.LBB6_3578:                             ;   in Loop: Header=BB6_3059 Depth=2
	v_and_b32_e32 v177, 3, v18
	v_bfe_u32 v180, v18, 2, 5
	v_lshlrev_b32_e32 v181, 24, v18
	s_delay_alu instid0(VALU_DEP_3) | instskip(NEXT) | instid1(VALU_DEP_3)
	v_clz_i32_u32_e32 v178, v177
	v_cmp_eq_u32_e32 vcc_lo, 0, v180
	s_delay_alu instid0(VALU_DEP_2) | instskip(NEXT) | instid1(VALU_DEP_1)
	v_min_u32_e32 v178, 32, v178
	v_subrev_nc_u32_e32 v179, 29, v178
	v_sub_nc_u32_e32 v178, 30, v178
	s_delay_alu instid0(VALU_DEP_2) | instskip(NEXT) | instid1(VALU_DEP_1)
	v_lshlrev_b32_e32 v179, v179, v18
	v_dual_cndmask_b32 v178, v180, v178 :: v_dual_and_b32 v179, 3, v179
	s_delay_alu instid0(VALU_DEP_1) | instskip(NEXT) | instid1(VALU_DEP_2)
	v_lshl_add_u32 v178, v178, 23, 0x37800000
	v_cndmask_b32_e32 v177, v177, v179, vcc_lo
	v_and_b32_e32 v179, 0x80000000, v181
	s_delay_alu instid0(VALU_DEP_2) | instskip(NEXT) | instid1(VALU_DEP_1)
	v_lshlrev_b32_e32 v177, 21, v177
	v_or3_b32 v177, v179, v178, v177
.LBB6_3579:                             ;   in Loop: Header=BB6_3059 Depth=2
	s_or_b32 exec_lo, exec_lo, s22
	s_delay_alu instid0(VALU_DEP_1) | instskip(NEXT) | instid1(VALU_DEP_1)
	v_mul_f32_e32 v177, v35, v177
	v_and_b32_e32 v35, 0x7f800000, v177
	s_delay_alu instid0(VALU_DEP_1)
	v_cmp_ne_u32_e32 vcc_lo, 0x7f800000, v35
	v_mov_b32_e32 v35, 0x80
	s_and_saveexec_b32 s22, vcc_lo
	s_cbranch_execz .LBB6_3587
; %bb.3580:                             ;   in Loop: Header=BB6_3059 Depth=2
	v_mov_b32_e32 v35, 0
	s_mov_b32 s23, exec_lo
	v_cmpx_ne_u32_e32 0, v177
	s_cbranch_execz .LBB6_3586
; %bb.3581:                             ;   in Loop: Header=BB6_3059 Depth=2
	v_bfe_u32 v35, v177, 23, 8
	s_delay_alu instid0(VALU_DEP_1) | instskip(SKIP_1) | instid1(VALU_DEP_2)
	v_sub_nc_u32_e32 v179, 0x70, v35
	v_cmp_gt_u32_e32 vcc_lo, 0x71, v35
	v_dual_cndmask_b32 v179, 0, v179 :: v_dual_and_b32 v178, 0x7fffff, v177
	s_delay_alu instid0(VALU_DEP_1) | instskip(SKIP_2) | instid1(VALU_DEP_4)
	v_or_b32_e32 v180, 0x800000, v178
	v_cmp_eq_u32_e32 vcc_lo, 0, v35
	v_add_nc_u32_e32 v35, 0xffffff91, v35
	v_cndmask_b32_e64 v179, v179, 0x6f, vcc_lo
	s_delay_alu instid0(VALU_DEP_4) | instskip(NEXT) | instid1(VALU_DEP_3)
	v_cndmask_b32_e32 v178, v180, v178, vcc_lo
	v_cndmask_b32_e64 v35, v35, 0xffffff92, vcc_lo
	s_delay_alu instid0(VALU_DEP_3) | instskip(NEXT) | instid1(VALU_DEP_3)
	v_lshl_add_u32 v180, 0x200000, v179, -1
	v_lshrrev_b32_e32 v181, v179, v178
	v_lshlrev_b32_e64 v183, v179, 0x100000
	s_delay_alu instid0(VALU_DEP_4) | instskip(NEXT) | instid1(VALU_DEP_4)
	v_add_nc_u32_e32 v179, v179, v35
	v_and_b32_e32 v178, v180, v178
	s_delay_alu instid0(VALU_DEP_4) | instskip(NEXT) | instid1(VALU_DEP_2)
	v_bfe_u32 v182, v181, 21, 1
	v_cmp_eq_u32_e64 s7, v178, v183
	s_delay_alu instid0(VALU_DEP_2) | instskip(NEXT) | instid1(VALU_DEP_1)
	v_add_nc_u32_e32 v180, -1, v182
	v_cndmask_b32_e64 v178, 0, v180, s7
	v_lshrrev_b32_e32 v180, 23, v181
	s_mov_b32 s7, exec_lo
	s_delay_alu instid0(VALU_DEP_2) | instskip(NEXT) | instid1(VALU_DEP_2)
	v_add_nc_u32_e32 v178, v178, v181
	v_xor_b32_e32 v180, 1, v180
	s_delay_alu instid0(VALU_DEP_2) | instskip(NEXT) | instid1(VALU_DEP_1)
	v_and_b32_e32 v35, 0x1fffff, v178
	v_add_nc_u32_e32 v178, v35, v181
                                        ; implicit-def: $vgpr35
	s_delay_alu instid0(VALU_DEP_3)
	v_cmpx_ne_u32_e64 v179, v180
	s_xor_b32 s7, exec_lo, s7
; %bb.3582:                             ;   in Loop: Header=BB6_3059 Depth=2
	s_delay_alu instid0(VALU_DEP_2) | instskip(SKIP_2) | instid1(VALU_DEP_2)
	v_cmp_lt_u32_e32 vcc_lo, 0xffffff, v178
	v_sub_nc_u32_e32 v35, v179, v180
	v_cndmask_b32_e64 v179, 0, 1, vcc_lo
	v_add_co_ci_u32_e32 v35, vcc_lo, 0, v35, vcc_lo
	s_delay_alu instid0(VALU_DEP_2)
	v_lshrrev_b32_e32 v178, v179, v178
; %bb.3583:                             ;   in Loop: Header=BB6_3059 Depth=2
	s_and_not1_saveexec_b32 s7, s7
; %bb.3584:                             ;   in Loop: Header=BB6_3059 Depth=2
	s_delay_alu instid0(VALU_DEP_1)
	v_bfe_u32 v35, v178, 23, 1
; %bb.3585:                             ;   in Loop: Header=BB6_3059 Depth=2
	s_or_b32 exec_lo, exec_lo, s7
	v_lshrrev_b32_e32 v178, 21, v178
	s_delay_alu instid0(VALU_DEP_2) | instskip(SKIP_2) | instid1(VALU_DEP_2)
	v_cmp_gt_i32_e32 vcc_lo, 32, v35
	v_lshrrev_b32_e32 v177, 24, v177
	v_min_i32_e32 v179, 31, v35
	v_dual_cndmask_b32 v178, 3, v178 :: v_dual_and_b32 v177, 0x80, v177
	s_delay_alu instid0(VALU_DEP_2) | instskip(NEXT) | instid1(VALU_DEP_2)
	v_lshlrev_b32_e32 v179, 2, v179
	v_or_b32_e32 v35, v35, v178
	s_delay_alu instid0(VALU_DEP_1) | instskip(SKIP_1) | instid1(VALU_DEP_1)
	v_cmp_ne_u32_e32 vcc_lo, 0, v35
	v_and_b32_e32 v180, 3, v178
	v_or3_b32 v177, v179, v177, v180
	s_delay_alu instid0(VALU_DEP_1)
	v_cndmask_b32_e32 v35, 0, v177, vcc_lo
.LBB6_3586:                             ;   in Loop: Header=BB6_3059 Depth=2
	s_or_b32 exec_lo, exec_lo, s23
.LBB6_3587:                             ;   in Loop: Header=BB6_3059 Depth=2
	s_delay_alu instid0(SALU_CYCLE_1) | instskip(SKIP_3) | instid1(VALU_DEP_1)
	s_or_b32 exec_lo, exec_lo, s22
	v_lshrrev_b16 v178, 8, v22
	s_mov_b32 s7, 0
	s_mov_b32 s23, exec_lo
                                        ; implicit-def: $sgpr22
	v_cmpx_lt_i16_e64 0x7f, v178
	s_xor_b32 s23, exec_lo, s23
	s_cbranch_execnz .LBB6_4345
; %bb.3588:                             ;   in Loop: Header=BB6_3059 Depth=2
	s_or_saveexec_b32 s23, s23
	v_mov_b32_e32 v177, s22
	s_xor_b32 exec_lo, exec_lo, s23
	s_cbranch_execnz .LBB6_4348
.LBB6_3589:                             ;   in Loop: Header=BB6_3059 Depth=2
	s_or_b32 exec_lo, exec_lo, s23
	s_and_saveexec_b32 s22, s7
	s_cbranch_execz .LBB6_3591
.LBB6_3590:                             ;   in Loop: Header=BB6_3059 Depth=2
	v_and_b32_e32 v177, 0xffff, v178
	s_delay_alu instid0(VALU_DEP_1) | instskip(NEXT) | instid1(VALU_DEP_1)
	v_and_b32_e32 v179, 3, v177
	v_clz_i32_u32_e32 v180, v179
	s_delay_alu instid0(VALU_DEP_1) | instskip(NEXT) | instid1(VALU_DEP_1)
	v_min_u32_e32 v180, 32, v180
	v_subrev_nc_u32_e32 v181, 29, v180
	v_sub_nc_u32_e32 v180, 30, v180
	s_delay_alu instid0(VALU_DEP_2) | instskip(SKIP_1) | instid1(VALU_DEP_2)
	v_lshlrev_b32_e32 v181, v181, v177
	v_bfe_u32 v177, v177, 2, 5
	v_and_b32_e32 v181, 3, v181
	s_delay_alu instid0(VALU_DEP_2) | instskip(SKIP_1) | instid1(VALU_DEP_1)
	v_cmp_eq_u32_e32 vcc_lo, 0, v177
	v_dual_cndmask_b32 v177, v177, v180 :: v_dual_lshlrev_b32 v178, 24, v178
	v_dual_cndmask_b32 v179, v179, v181 :: v_dual_and_b32 v178, 0x80000000, v178
	s_delay_alu instid0(VALU_DEP_2) | instskip(NEXT) | instid1(VALU_DEP_2)
	v_lshl_add_u32 v177, v177, 23, 0x37800000
	v_lshlrev_b32_e32 v179, 21, v179
	s_delay_alu instid0(VALU_DEP_1)
	v_or3_b32 v177, v178, v177, v179
.LBB6_3591:                             ;   in Loop: Header=BB6_3059 Depth=2
	s_or_b32 exec_lo, exec_lo, s22
	v_lshrrev_b16 v178, 8, v18
	s_mov_b32 s7, 0
	s_mov_b32 s23, exec_lo
                                        ; implicit-def: $sgpr22
	s_delay_alu instid0(VALU_DEP_1)
	v_cmpx_lt_i16_e64 0x7f, v178
	s_xor_b32 s23, exec_lo, s23
	s_cbranch_execnz .LBB6_4349
; %bb.3592:                             ;   in Loop: Header=BB6_3059 Depth=2
	s_or_saveexec_b32 s23, s23
	v_mov_b32_e32 v179, s22
	s_xor_b32 exec_lo, exec_lo, s23
	s_cbranch_execnz .LBB6_4352
.LBB6_3593:                             ;   in Loop: Header=BB6_3059 Depth=2
	s_or_b32 exec_lo, exec_lo, s23
	s_and_saveexec_b32 s22, s7
	s_cbranch_execz .LBB6_3595
.LBB6_3594:                             ;   in Loop: Header=BB6_3059 Depth=2
	v_and_b32_e32 v179, 0xffff, v178
	v_lshlrev_b32_e32 v178, 24, v178
	s_delay_alu instid0(VALU_DEP_2) | instskip(NEXT) | instid1(VALU_DEP_2)
	v_and_b32_e32 v180, 3, v179
	v_and_b32_e32 v178, 0x80000000, v178
	s_delay_alu instid0(VALU_DEP_2) | instskip(NEXT) | instid1(VALU_DEP_1)
	v_clz_i32_u32_e32 v181, v180
	v_min_u32_e32 v181, 32, v181
	s_delay_alu instid0(VALU_DEP_1) | instskip(SKIP_1) | instid1(VALU_DEP_2)
	v_subrev_nc_u32_e32 v182, 29, v181
	v_sub_nc_u32_e32 v181, 30, v181
	v_lshlrev_b32_e32 v182, v182, v179
	v_bfe_u32 v179, v179, 2, 5
	s_delay_alu instid0(VALU_DEP_2) | instskip(NEXT) | instid1(VALU_DEP_2)
	v_and_b32_e32 v182, 3, v182
	v_cmp_eq_u32_e32 vcc_lo, 0, v179
	s_delay_alu instid0(VALU_DEP_2) | instskip(NEXT) | instid1(VALU_DEP_1)
	v_dual_cndmask_b32 v179, v179, v181 :: v_dual_cndmask_b32 v180, v180, v182
	v_lshl_add_u32 v179, v179, 23, 0x37800000
	s_delay_alu instid0(VALU_DEP_2) | instskip(NEXT) | instid1(VALU_DEP_1)
	v_lshlrev_b32_e32 v180, 21, v180
	v_or3_b32 v179, v178, v179, v180
.LBB6_3595:                             ;   in Loop: Header=BB6_3059 Depth=2
	s_or_b32 exec_lo, exec_lo, s22
	s_delay_alu instid0(VALU_DEP_1) | instskip(NEXT) | instid1(VALU_DEP_1)
	v_mul_f32_e32 v178, v177, v179
	v_and_b32_e32 v177, 0x7f800000, v178
	s_delay_alu instid0(VALU_DEP_1)
	v_cmp_ne_u32_e32 vcc_lo, 0x7f800000, v177
	v_mov_b32_e32 v177, 0x80
	s_and_saveexec_b32 s22, vcc_lo
	s_cbranch_execz .LBB6_3603
; %bb.3596:                             ;   in Loop: Header=BB6_3059 Depth=2
	v_mov_b32_e32 v177, 0
	s_mov_b32 s23, exec_lo
	v_cmpx_ne_u32_e32 0, v178
	s_cbranch_execz .LBB6_3602
; %bb.3597:                             ;   in Loop: Header=BB6_3059 Depth=2
	v_bfe_u32 v177, v178, 23, 8
	s_delay_alu instid0(VALU_DEP_1) | instskip(SKIP_1) | instid1(VALU_DEP_2)
	v_sub_nc_u32_e32 v180, 0x70, v177
	v_cmp_gt_u32_e32 vcc_lo, 0x71, v177
	v_dual_cndmask_b32 v180, 0, v180 :: v_dual_and_b32 v179, 0x7fffff, v178
	s_delay_alu instid0(VALU_DEP_1) | instskip(SKIP_2) | instid1(VALU_DEP_4)
	v_or_b32_e32 v181, 0x800000, v179
	v_cmp_eq_u32_e32 vcc_lo, 0, v177
	v_add_nc_u32_e32 v177, 0xffffff91, v177
	v_cndmask_b32_e64 v180, v180, 0x6f, vcc_lo
	s_delay_alu instid0(VALU_DEP_2) | instskip(SKIP_1) | instid1(VALU_DEP_3)
	v_cndmask_b32_e64 v177, v177, 0xffffff92, vcc_lo
	v_cndmask_b32_e32 v179, v181, v179, vcc_lo
	v_lshl_add_u32 v181, 0x200000, v180, -1
	v_lshlrev_b32_e64 v40, v180, 0x100000
	s_delay_alu instid0(VALU_DEP_3) | instskip(SKIP_1) | instid1(VALU_DEP_4)
	v_lshrrev_b32_e32 v182, v180, v179
	v_add_nc_u32_e32 v180, v180, v177
	v_and_b32_e32 v179, v181, v179
	s_delay_alu instid0(VALU_DEP_3) | instskip(NEXT) | instid1(VALU_DEP_2)
	v_bfe_u32 v183, v182, 21, 1
	v_cmp_eq_u32_e64 s7, v179, v40
	s_delay_alu instid0(VALU_DEP_2) | instskip(NEXT) | instid1(VALU_DEP_1)
	v_add_nc_u32_e32 v181, -1, v183
	v_cndmask_b32_e64 v179, 0, v181, s7
	v_lshrrev_b32_e32 v181, 23, v182
	s_mov_b32 s7, exec_lo
	s_delay_alu instid0(VALU_DEP_2) | instskip(NEXT) | instid1(VALU_DEP_2)
	v_add_nc_u32_e32 v179, v179, v182
	v_xor_b32_e32 v181, 1, v181
	s_delay_alu instid0(VALU_DEP_2) | instskip(NEXT) | instid1(VALU_DEP_1)
	v_and_b32_e32 v177, 0x1fffff, v179
	v_add_nc_u32_e32 v179, v177, v182
                                        ; implicit-def: $vgpr177
	s_delay_alu instid0(VALU_DEP_3)
	v_cmpx_ne_u32_e64 v180, v181
	s_xor_b32 s7, exec_lo, s7
; %bb.3598:                             ;   in Loop: Header=BB6_3059 Depth=2
	s_delay_alu instid0(VALU_DEP_2) | instskip(SKIP_2) | instid1(VALU_DEP_2)
	v_cmp_lt_u32_e32 vcc_lo, 0xffffff, v179
	v_sub_nc_u32_e32 v177, v180, v181
	v_cndmask_b32_e64 v180, 0, 1, vcc_lo
	v_add_co_ci_u32_e32 v177, vcc_lo, 0, v177, vcc_lo
	s_delay_alu instid0(VALU_DEP_2)
	v_lshrrev_b32_e32 v179, v180, v179
; %bb.3599:                             ;   in Loop: Header=BB6_3059 Depth=2
	s_and_not1_saveexec_b32 s7, s7
; %bb.3600:                             ;   in Loop: Header=BB6_3059 Depth=2
	s_delay_alu instid0(VALU_DEP_1)
	v_bfe_u32 v177, v179, 23, 1
; %bb.3601:                             ;   in Loop: Header=BB6_3059 Depth=2
	s_or_b32 exec_lo, exec_lo, s7
	v_lshrrev_b32_e32 v179, 21, v179
	s_delay_alu instid0(VALU_DEP_2) | instskip(SKIP_2) | instid1(VALU_DEP_2)
	v_cmp_gt_i32_e32 vcc_lo, 32, v177
	v_lshrrev_b32_e32 v178, 24, v178
	v_min_i32_e32 v180, 31, v177
	v_dual_cndmask_b32 v179, 3, v179 :: v_dual_and_b32 v178, 0x80, v178
	s_delay_alu instid0(VALU_DEP_1) | instskip(SKIP_1) | instid1(VALU_DEP_2)
	v_or_b32_e32 v177, v177, v179
	v_and_b32_e32 v181, 3, v179
	v_cmp_ne_u32_e32 vcc_lo, 0, v177
	v_lshlrev_b32_e32 v180, 2, v180
	s_delay_alu instid0(VALU_DEP_1) | instskip(NEXT) | instid1(VALU_DEP_1)
	v_or3_b32 v178, v180, v178, v181
	v_cndmask_b32_e32 v177, 0, v178, vcc_lo
.LBB6_3602:                             ;   in Loop: Header=BB6_3059 Depth=2
	s_or_b32 exec_lo, exec_lo, s23
.LBB6_3603:                             ;   in Loop: Header=BB6_3059 Depth=2
	s_delay_alu instid0(SALU_CYCLE_1) | instskip(SKIP_3) | instid1(VALU_DEP_1)
	s_or_b32 exec_lo, exec_lo, s22
	v_lshrrev_b32_e32 v179, 16, v22
	s_mov_b32 s7, 0
	s_mov_b32 s23, exec_lo
                                        ; implicit-def: $sgpr22
	v_and_b32_e32 v180, 0xff, v179
	s_delay_alu instid0(VALU_DEP_1)
	v_cmpx_lt_i16_e64 0x7f, v180
	s_xor_b32 s23, exec_lo, s23
	s_cbranch_execnz .LBB6_4353
; %bb.3604:                             ;   in Loop: Header=BB6_3059 Depth=2
	s_or_saveexec_b32 s23, s23
	v_mov_b32_e32 v178, s22
	s_xor_b32 exec_lo, exec_lo, s23
	s_cbranch_execnz .LBB6_4356
.LBB6_3605:                             ;   in Loop: Header=BB6_3059 Depth=2
	s_or_b32 exec_lo, exec_lo, s23
	s_and_saveexec_b32 s22, s7
	s_cbranch_execz .LBB6_3607
.LBB6_3606:                             ;   in Loop: Header=BB6_3059 Depth=2
	v_bfe_u32 v178, v22, 16, 2
	v_lshlrev_b32_e32 v182, 8, v22
	s_delay_alu instid0(VALU_DEP_2) | instskip(NEXT) | instid1(VALU_DEP_1)
	v_clz_i32_u32_e32 v180, v178
	v_min_u32_e32 v180, 32, v180
	s_delay_alu instid0(VALU_DEP_1) | instskip(SKIP_1) | instid1(VALU_DEP_2)
	v_subrev_nc_u32_e32 v181, 29, v180
	v_sub_nc_u32_e32 v180, 30, v180
	v_lshlrev_b32_e32 v179, v181, v179
	v_bfe_u32 v181, v22, 18, 5
	s_delay_alu instid0(VALU_DEP_1) | instskip(NEXT) | instid1(VALU_DEP_3)
	v_cmp_eq_u32_e32 vcc_lo, 0, v181
	v_dual_cndmask_b32 v180, v181, v180 :: v_dual_and_b32 v179, 3, v179
	s_delay_alu instid0(VALU_DEP_1) | instskip(NEXT) | instid1(VALU_DEP_2)
	v_dual_cndmask_b32 v178, v178, v179 :: v_dual_and_b32 v179, 0x80000000, v182
	v_lshl_add_u32 v180, v180, 23, 0x37800000
	s_delay_alu instid0(VALU_DEP_2) | instskip(NEXT) | instid1(VALU_DEP_1)
	v_lshlrev_b32_e32 v178, 21, v178
	v_or3_b32 v178, v179, v180, v178
.LBB6_3607:                             ;   in Loop: Header=BB6_3059 Depth=2
	s_or_b32 exec_lo, exec_lo, s22
	v_lshrrev_b32_e32 v179, 16, v18
	s_mov_b32 s7, 0
	s_mov_b32 s23, exec_lo
                                        ; implicit-def: $sgpr22
	s_delay_alu instid0(VALU_DEP_1) | instskip(NEXT) | instid1(VALU_DEP_1)
	v_and_b32_e32 v181, 0xff, v179
	v_cmpx_lt_i16_e64 0x7f, v181
	s_xor_b32 s23, exec_lo, s23
	s_cbranch_execnz .LBB6_4357
; %bb.3608:                             ;   in Loop: Header=BB6_3059 Depth=2
	s_or_saveexec_b32 s23, s23
	v_mov_b32_e32 v180, s22
	s_xor_b32 exec_lo, exec_lo, s23
	s_cbranch_execnz .LBB6_4360
.LBB6_3609:                             ;   in Loop: Header=BB6_3059 Depth=2
	s_or_b32 exec_lo, exec_lo, s23
	s_and_saveexec_b32 s22, s7
	s_cbranch_execz .LBB6_3611
.LBB6_3610:                             ;   in Loop: Header=BB6_3059 Depth=2
	v_bfe_u32 v180, v18, 16, 2
	v_lshlrev_b32_e32 v183, 8, v18
	s_delay_alu instid0(VALU_DEP_2) | instskip(NEXT) | instid1(VALU_DEP_1)
	v_clz_i32_u32_e32 v181, v180
	v_min_u32_e32 v181, 32, v181
	s_delay_alu instid0(VALU_DEP_1) | instskip(SKIP_1) | instid1(VALU_DEP_2)
	v_subrev_nc_u32_e32 v182, 29, v181
	v_sub_nc_u32_e32 v181, 30, v181
	v_lshlrev_b32_e32 v179, v182, v179
	v_bfe_u32 v182, v18, 18, 5
	s_delay_alu instid0(VALU_DEP_2) | instskip(NEXT) | instid1(VALU_DEP_2)
	v_and_b32_e32 v179, 3, v179
	v_cmp_eq_u32_e32 vcc_lo, 0, v182
	v_cndmask_b32_e32 v181, v182, v181, vcc_lo
	s_delay_alu instid0(VALU_DEP_3) | instskip(SKIP_1) | instid1(VALU_DEP_3)
	v_cndmask_b32_e32 v179, v180, v179, vcc_lo
	v_and_b32_e32 v180, 0x80000000, v183
	v_lshl_add_u32 v181, v181, 23, 0x37800000
	s_delay_alu instid0(VALU_DEP_3) | instskip(NEXT) | instid1(VALU_DEP_1)
	v_lshlrev_b32_e32 v179, 21, v179
	v_or3_b32 v180, v180, v181, v179
.LBB6_3611:                             ;   in Loop: Header=BB6_3059 Depth=2
	s_or_b32 exec_lo, exec_lo, s22
	s_delay_alu instid0(VALU_DEP_1) | instskip(NEXT) | instid1(VALU_DEP_1)
	v_mul_f32_e32 v179, v178, v180
	v_and_b32_e32 v178, 0x7f800000, v179
	s_delay_alu instid0(VALU_DEP_1)
	v_cmp_ne_u32_e32 vcc_lo, 0x7f800000, v178
	v_mov_b32_e32 v178, 0x80
	s_and_saveexec_b32 s22, vcc_lo
	s_cbranch_execz .LBB6_3619
; %bb.3612:                             ;   in Loop: Header=BB6_3059 Depth=2
	v_mov_b32_e32 v178, 0
	s_mov_b32 s23, exec_lo
	v_cmpx_ne_u32_e32 0, v179
	s_cbranch_execz .LBB6_3618
; %bb.3613:                             ;   in Loop: Header=BB6_3059 Depth=2
	v_bfe_u32 v178, v179, 23, 8
	s_delay_alu instid0(VALU_DEP_1) | instskip(SKIP_1) | instid1(VALU_DEP_2)
	v_sub_nc_u32_e32 v181, 0x70, v178
	v_cmp_gt_u32_e32 vcc_lo, 0x71, v178
	v_dual_cndmask_b32 v181, 0, v181 :: v_dual_and_b32 v180, 0x7fffff, v179
	s_delay_alu instid0(VALU_DEP_1) | instskip(SKIP_2) | instid1(VALU_DEP_4)
	v_or_b32_e32 v182, 0x800000, v180
	v_cmp_eq_u32_e32 vcc_lo, 0, v178
	v_add_nc_u32_e32 v178, 0xffffff91, v178
	v_cndmask_b32_e64 v181, v181, 0x6f, vcc_lo
	s_delay_alu instid0(VALU_DEP_2) | instskip(SKIP_1) | instid1(VALU_DEP_3)
	v_cndmask_b32_e64 v178, v178, 0xffffff92, vcc_lo
	v_cndmask_b32_e32 v180, v182, v180, vcc_lo
	v_lshl_add_u32 v182, 0x200000, v181, -1
	v_lshlrev_b32_e64 v41, v181, 0x100000
	s_delay_alu instid0(VALU_DEP_3) | instskip(SKIP_1) | instid1(VALU_DEP_4)
	v_lshrrev_b32_e32 v183, v181, v180
	v_add_nc_u32_e32 v181, v181, v178
	v_and_b32_e32 v180, v182, v180
	s_delay_alu instid0(VALU_DEP_3) | instskip(NEXT) | instid1(VALU_DEP_2)
	v_bfe_u32 v40, v183, 21, 1
	v_cmp_eq_u32_e64 s7, v180, v41
	s_delay_alu instid0(VALU_DEP_2) | instskip(NEXT) | instid1(VALU_DEP_1)
	v_add_nc_u32_e32 v182, -1, v40
	v_cndmask_b32_e64 v180, 0, v182, s7
	v_lshrrev_b32_e32 v182, 23, v183
	s_mov_b32 s7, exec_lo
	s_delay_alu instid0(VALU_DEP_2) | instskip(NEXT) | instid1(VALU_DEP_2)
	v_add_nc_u32_e32 v180, v180, v183
	v_xor_b32_e32 v182, 1, v182
	s_delay_alu instid0(VALU_DEP_2) | instskip(NEXT) | instid1(VALU_DEP_1)
	v_and_b32_e32 v178, 0x1fffff, v180
	v_add_nc_u32_e32 v180, v178, v183
                                        ; implicit-def: $vgpr178
	s_delay_alu instid0(VALU_DEP_3)
	v_cmpx_ne_u32_e64 v181, v182
	s_xor_b32 s7, exec_lo, s7
; %bb.3614:                             ;   in Loop: Header=BB6_3059 Depth=2
	s_delay_alu instid0(VALU_DEP_2) | instskip(SKIP_2) | instid1(VALU_DEP_2)
	v_cmp_lt_u32_e32 vcc_lo, 0xffffff, v180
	v_sub_nc_u32_e32 v178, v181, v182
	v_cndmask_b32_e64 v181, 0, 1, vcc_lo
	v_add_co_ci_u32_e32 v178, vcc_lo, 0, v178, vcc_lo
	s_delay_alu instid0(VALU_DEP_2)
	v_lshrrev_b32_e32 v180, v181, v180
; %bb.3615:                             ;   in Loop: Header=BB6_3059 Depth=2
	s_and_not1_saveexec_b32 s7, s7
; %bb.3616:                             ;   in Loop: Header=BB6_3059 Depth=2
	s_delay_alu instid0(VALU_DEP_1)
	v_bfe_u32 v178, v180, 23, 1
; %bb.3617:                             ;   in Loop: Header=BB6_3059 Depth=2
	s_or_b32 exec_lo, exec_lo, s7
	v_lshrrev_b32_e32 v180, 21, v180
	s_delay_alu instid0(VALU_DEP_2) | instskip(SKIP_2) | instid1(VALU_DEP_2)
	v_cmp_gt_i32_e32 vcc_lo, 32, v178
	v_lshrrev_b32_e32 v179, 24, v179
	v_min_i32_e32 v181, 31, v178
	v_dual_cndmask_b32 v180, 3, v180 :: v_dual_and_b32 v179, 0x80, v179
	s_delay_alu instid0(VALU_DEP_1) | instskip(SKIP_1) | instid1(VALU_DEP_2)
	v_or_b32_e32 v178, v178, v180
	v_and_b32_e32 v182, 3, v180
	v_cmp_ne_u32_e32 vcc_lo, 0, v178
	v_lshlrev_b32_e32 v181, 2, v181
	s_delay_alu instid0(VALU_DEP_1) | instskip(NEXT) | instid1(VALU_DEP_1)
	v_or3_b32 v179, v181, v179, v182
	v_cndmask_b32_e32 v178, 0, v179, vcc_lo
.LBB6_3618:                             ;   in Loop: Header=BB6_3059 Depth=2
	s_or_b32 exec_lo, exec_lo, s23
.LBB6_3619:                             ;   in Loop: Header=BB6_3059 Depth=2
	s_delay_alu instid0(SALU_CYCLE_1) | instskip(SKIP_3) | instid1(VALU_DEP_1)
	s_or_b32 exec_lo, exec_lo, s22
	v_lshrrev_b32_e32 v180, 24, v22
	s_mov_b32 s7, 0
	s_mov_b32 s23, exec_lo
                                        ; implicit-def: $sgpr22
	v_cmpx_lt_i16_e64 0x7f, v180
	s_xor_b32 s23, exec_lo, s23
	s_cbranch_execnz .LBB6_4361
; %bb.3620:                             ;   in Loop: Header=BB6_3059 Depth=2
	s_or_saveexec_b32 s23, s23
	v_mov_b32_e32 v179, s22
	s_xor_b32 exec_lo, exec_lo, s23
	s_cbranch_execnz .LBB6_4364
.LBB6_3621:                             ;   in Loop: Header=BB6_3059 Depth=2
	s_or_b32 exec_lo, exec_lo, s23
	s_and_saveexec_b32 s22, s7
	s_cbranch_execz .LBB6_3623
.LBB6_3622:                             ;   in Loop: Header=BB6_3059 Depth=2
	v_bfe_u32 v179, v22, 24, 2
	s_delay_alu instid0(VALU_DEP_1) | instskip(NEXT) | instid1(VALU_DEP_1)
	v_clz_i32_u32_e32 v181, v179
	v_min_u32_e32 v181, 32, v181
	s_delay_alu instid0(VALU_DEP_1) | instskip(SKIP_1) | instid1(VALU_DEP_2)
	v_subrev_nc_u32_e32 v182, 29, v181
	v_sub_nc_u32_e32 v181, 30, v181
	v_lshlrev_b32_e32 v180, v182, v180
	v_bfe_u32 v182, v22, 26, 5
	v_and_b32_e32 v22, 0x80000000, v22
	s_delay_alu instid0(VALU_DEP_2) | instskip(NEXT) | instid1(VALU_DEP_4)
	v_cmp_eq_u32_e32 vcc_lo, 0, v182
	v_dual_cndmask_b32 v181, v182, v181 :: v_dual_and_b32 v180, 3, v180
	s_delay_alu instid0(VALU_DEP_1) | instskip(NEXT) | instid1(VALU_DEP_2)
	v_cndmask_b32_e32 v179, v179, v180, vcc_lo
	v_lshl_add_u32 v180, v181, 23, 0x37800000
	s_delay_alu instid0(VALU_DEP_2) | instskip(NEXT) | instid1(VALU_DEP_1)
	v_lshlrev_b32_e32 v179, 21, v179
	v_or3_b32 v179, v22, v180, v179
.LBB6_3623:                             ;   in Loop: Header=BB6_3059 Depth=2
	s_or_b32 exec_lo, exec_lo, s22
	v_lshrrev_b32_e32 v22, 24, v18
	s_mov_b32 s7, 0
	s_mov_b32 s23, exec_lo
                                        ; implicit-def: $sgpr22
	s_delay_alu instid0(VALU_DEP_1)
	v_cmpx_lt_i16_e32 0x7f, v22
	s_xor_b32 s23, exec_lo, s23
	s_cbranch_execnz .LBB6_4365
; %bb.3624:                             ;   in Loop: Header=BB6_3059 Depth=2
	s_or_saveexec_b32 s23, s23
	v_mov_b32_e32 v180, s22
	s_xor_b32 exec_lo, exec_lo, s23
	s_cbranch_execnz .LBB6_4368
.LBB6_3625:                             ;   in Loop: Header=BB6_3059 Depth=2
	s_or_b32 exec_lo, exec_lo, s23
	s_and_saveexec_b32 s22, s7
	s_cbranch_execz .LBB6_3627
.LBB6_3626:                             ;   in Loop: Header=BB6_3059 Depth=2
	v_bfe_u32 v180, v18, 24, 2
	s_delay_alu instid0(VALU_DEP_1) | instskip(NEXT) | instid1(VALU_DEP_1)
	v_clz_i32_u32_e32 v181, v180
	v_min_u32_e32 v181, 32, v181
	s_delay_alu instid0(VALU_DEP_1) | instskip(SKIP_1) | instid1(VALU_DEP_2)
	v_subrev_nc_u32_e32 v182, 29, v181
	v_sub_nc_u32_e32 v181, 30, v181
	v_lshlrev_b32_e32 v22, v182, v22
	v_bfe_u32 v182, v18, 26, 5
	v_and_b32_e32 v18, 0x80000000, v18
	s_delay_alu instid0(VALU_DEP_2) | instskip(NEXT) | instid1(VALU_DEP_4)
	v_cmp_eq_u32_e32 vcc_lo, 0, v182
	v_dual_cndmask_b32 v181, v182, v181 :: v_dual_and_b32 v22, 3, v22
	s_delay_alu instid0(VALU_DEP_1) | instskip(NEXT) | instid1(VALU_DEP_2)
	v_cndmask_b32_e32 v22, v180, v22, vcc_lo
	v_lshl_add_u32 v180, v181, 23, 0x37800000
	s_delay_alu instid0(VALU_DEP_2) | instskip(NEXT) | instid1(VALU_DEP_1)
	v_lshlrev_b32_e32 v22, 21, v22
	v_or3_b32 v180, v18, v180, v22
.LBB6_3627:                             ;   in Loop: Header=BB6_3059 Depth=2
	s_or_b32 exec_lo, exec_lo, s22
	s_delay_alu instid0(VALU_DEP_1) | instskip(NEXT) | instid1(VALU_DEP_1)
	v_mul_f32_e32 v22, v179, v180
	v_and_b32_e32 v18, 0x7f800000, v22
	s_delay_alu instid0(VALU_DEP_1)
	v_cmp_ne_u32_e32 vcc_lo, 0x7f800000, v18
	v_mov_b32_e32 v18, 0x80
	s_and_saveexec_b32 s22, vcc_lo
	s_cbranch_execz .LBB6_3635
; %bb.3628:                             ;   in Loop: Header=BB6_3059 Depth=2
	v_mov_b32_e32 v18, 0
	s_mov_b32 s23, exec_lo
	v_cmpx_ne_u32_e32 0, v22
	s_cbranch_execz .LBB6_3634
; %bb.3629:                             ;   in Loop: Header=BB6_3059 Depth=2
	v_bfe_u32 v18, v22, 23, 8
	s_delay_alu instid0(VALU_DEP_1) | instskip(SKIP_1) | instid1(VALU_DEP_2)
	v_sub_nc_u32_e32 v180, 0x70, v18
	v_cmp_gt_u32_e32 vcc_lo, 0x71, v18
	v_dual_cndmask_b32 v180, 0, v180 :: v_dual_and_b32 v179, 0x7fffff, v22
	s_delay_alu instid0(VALU_DEP_1) | instskip(SKIP_2) | instid1(VALU_DEP_4)
	v_or_b32_e32 v181, 0x800000, v179
	v_cmp_eq_u32_e32 vcc_lo, 0, v18
	v_add_nc_u32_e32 v18, 0xffffff91, v18
	v_cndmask_b32_e64 v180, v180, 0x6f, vcc_lo
	s_delay_alu instid0(VALU_DEP_4) | instskip(NEXT) | instid1(VALU_DEP_3)
	v_cndmask_b32_e32 v179, v181, v179, vcc_lo
	v_cndmask_b32_e64 v18, v18, 0xffffff92, vcc_lo
	s_delay_alu instid0(VALU_DEP_3) | instskip(NEXT) | instid1(VALU_DEP_3)
	v_lshl_add_u32 v181, 0x200000, v180, -1
	v_lshrrev_b32_e32 v182, v180, v179
	v_lshlrev_b32_e64 v40, v180, 0x100000
	s_delay_alu instid0(VALU_DEP_4) | instskip(NEXT) | instid1(VALU_DEP_4)
	v_add_nc_u32_e32 v180, v180, v18
	v_and_b32_e32 v179, v181, v179
	s_delay_alu instid0(VALU_DEP_4) | instskip(NEXT) | instid1(VALU_DEP_2)
	v_bfe_u32 v183, v182, 21, 1
	v_cmp_eq_u32_e64 s7, v179, v40
	s_delay_alu instid0(VALU_DEP_2) | instskip(NEXT) | instid1(VALU_DEP_1)
	v_add_nc_u32_e32 v181, -1, v183
	v_cndmask_b32_e64 v179, 0, v181, s7
	v_lshrrev_b32_e32 v181, 23, v182
	s_mov_b32 s7, exec_lo
	s_delay_alu instid0(VALU_DEP_2) | instskip(NEXT) | instid1(VALU_DEP_2)
	v_add_nc_u32_e32 v179, v179, v182
	v_xor_b32_e32 v181, 1, v181
	s_delay_alu instid0(VALU_DEP_2) | instskip(NEXT) | instid1(VALU_DEP_1)
	v_and_b32_e32 v18, 0x1fffff, v179
	v_add_nc_u32_e32 v179, v18, v182
                                        ; implicit-def: $vgpr18
	s_delay_alu instid0(VALU_DEP_3)
	v_cmpx_ne_u32_e64 v180, v181
	s_xor_b32 s7, exec_lo, s7
; %bb.3630:                             ;   in Loop: Header=BB6_3059 Depth=2
	s_delay_alu instid0(VALU_DEP_2) | instskip(SKIP_2) | instid1(VALU_DEP_2)
	v_cmp_lt_u32_e32 vcc_lo, 0xffffff, v179
	v_sub_nc_u32_e32 v18, v180, v181
	v_cndmask_b32_e64 v180, 0, 1, vcc_lo
	v_add_co_ci_u32_e32 v18, vcc_lo, 0, v18, vcc_lo
	s_delay_alu instid0(VALU_DEP_2)
	v_lshrrev_b32_e32 v179, v180, v179
; %bb.3631:                             ;   in Loop: Header=BB6_3059 Depth=2
	s_and_not1_saveexec_b32 s7, s7
; %bb.3632:                             ;   in Loop: Header=BB6_3059 Depth=2
	s_delay_alu instid0(VALU_DEP_1)
	v_bfe_u32 v18, v179, 23, 1
; %bb.3633:                             ;   in Loop: Header=BB6_3059 Depth=2
	s_or_b32 exec_lo, exec_lo, s7
	v_lshrrev_b32_e32 v179, 21, v179
	s_delay_alu instid0(VALU_DEP_2) | instskip(SKIP_2) | instid1(VALU_DEP_2)
	v_cmp_gt_i32_e32 vcc_lo, 32, v18
	v_lshrrev_b32_e32 v22, 24, v22
	v_min_i32_e32 v180, 31, v18
	v_dual_cndmask_b32 v179, 3, v179 :: v_dual_and_b32 v22, 0x80, v22
	s_delay_alu instid0(VALU_DEP_2) | instskip(NEXT) | instid1(VALU_DEP_2)
	v_lshlrev_b32_e32 v180, 2, v180
	v_or_b32_e32 v18, v18, v179
	s_delay_alu instid0(VALU_DEP_1) | instskip(SKIP_1) | instid1(VALU_DEP_1)
	v_cmp_ne_u32_e32 vcc_lo, 0, v18
	v_and_b32_e32 v181, 3, v179
	v_or3_b32 v22, v180, v22, v181
	s_delay_alu instid0(VALU_DEP_1)
	v_cndmask_b32_e32 v18, 0, v22, vcc_lo
.LBB6_3634:                             ;   in Loop: Header=BB6_3059 Depth=2
	s_or_b32 exec_lo, exec_lo, s23
.LBB6_3635:                             ;   in Loop: Header=BB6_3059 Depth=2
	s_delay_alu instid0(SALU_CYCLE_1) | instskip(SKIP_3) | instid1(VALU_DEP_1)
	s_or_b32 exec_lo, exec_lo, s22
	v_and_b32_e32 v179, 0xff, v23
	s_mov_b32 s7, 0
	s_mov_b32 s23, exec_lo
                                        ; implicit-def: $sgpr22
	v_cmpx_lt_i16_e64 0x7f, v179
	s_xor_b32 s23, exec_lo, s23
	s_cbranch_execnz .LBB6_4369
; %bb.3636:                             ;   in Loop: Header=BB6_3059 Depth=2
	s_or_saveexec_b32 s23, s23
	v_mov_b32_e32 v22, s22
	s_xor_b32 exec_lo, exec_lo, s23
	s_cbranch_execnz .LBB6_4372
.LBB6_3637:                             ;   in Loop: Header=BB6_3059 Depth=2
	s_or_b32 exec_lo, exec_lo, s23
	s_and_saveexec_b32 s22, s7
	s_cbranch_execz .LBB6_3639
.LBB6_3638:                             ;   in Loop: Header=BB6_3059 Depth=2
	v_and_b32_e32 v22, 3, v23
	v_bfe_u32 v181, v23, 2, 5
	v_lshlrev_b32_e32 v182, 24, v23
	s_delay_alu instid0(VALU_DEP_3) | instskip(NEXT) | instid1(VALU_DEP_3)
	v_clz_i32_u32_e32 v179, v22
	v_cmp_eq_u32_e32 vcc_lo, 0, v181
	s_delay_alu instid0(VALU_DEP_2) | instskip(NEXT) | instid1(VALU_DEP_1)
	v_min_u32_e32 v179, 32, v179
	v_subrev_nc_u32_e32 v180, 29, v179
	v_sub_nc_u32_e32 v179, 30, v179
	s_delay_alu instid0(VALU_DEP_2) | instskip(NEXT) | instid1(VALU_DEP_1)
	v_lshlrev_b32_e32 v180, v180, v23
	v_dual_cndmask_b32 v179, v181, v179 :: v_dual_and_b32 v180, 3, v180
	s_delay_alu instid0(VALU_DEP_1) | instskip(NEXT) | instid1(VALU_DEP_2)
	v_lshl_add_u32 v179, v179, 23, 0x37800000
	v_cndmask_b32_e32 v22, v22, v180, vcc_lo
	v_and_b32_e32 v180, 0x80000000, v182
	s_delay_alu instid0(VALU_DEP_2) | instskip(NEXT) | instid1(VALU_DEP_1)
	v_lshlrev_b32_e32 v22, 21, v22
	v_or3_b32 v22, v180, v179, v22
.LBB6_3639:                             ;   in Loop: Header=BB6_3059 Depth=2
	s_or_b32 exec_lo, exec_lo, s22
	v_and_b32_e32 v180, 0xff, v19
	s_mov_b32 s7, 0
	s_mov_b32 s23, exec_lo
                                        ; implicit-def: $sgpr22
	s_delay_alu instid0(VALU_DEP_1)
	v_cmpx_lt_i16_e64 0x7f, v180
	s_xor_b32 s23, exec_lo, s23
	s_cbranch_execnz .LBB6_4373
; %bb.3640:                             ;   in Loop: Header=BB6_3059 Depth=2
	s_or_saveexec_b32 s23, s23
	v_mov_b32_e32 v179, s22
	s_xor_b32 exec_lo, exec_lo, s23
	s_cbranch_execnz .LBB6_4376
.LBB6_3641:                             ;   in Loop: Header=BB6_3059 Depth=2
	s_or_b32 exec_lo, exec_lo, s23
	s_and_saveexec_b32 s22, s7
	s_cbranch_execz .LBB6_3643
.LBB6_3642:                             ;   in Loop: Header=BB6_3059 Depth=2
	v_bfe_u32 v182, v19, 2, 5
	v_lshlrev_b32_e32 v183, 24, v19
	s_delay_alu instid0(VALU_DEP_2) | instskip(SKIP_1) | instid1(VALU_DEP_1)
	v_cmp_eq_u32_e32 vcc_lo, 0, v182
	v_and_b32_e32 v179, 3, v19
	v_clz_i32_u32_e32 v180, v179
	s_delay_alu instid0(VALU_DEP_1) | instskip(NEXT) | instid1(VALU_DEP_1)
	v_min_u32_e32 v180, 32, v180
	v_subrev_nc_u32_e32 v181, 29, v180
	v_sub_nc_u32_e32 v180, 30, v180
	s_delay_alu instid0(VALU_DEP_1) | instskip(NEXT) | instid1(VALU_DEP_1)
	v_dual_cndmask_b32 v180, v182, v180 :: v_dual_lshlrev_b32 v181, v181, v19
	v_and_b32_e32 v181, 3, v181
	s_delay_alu instid0(VALU_DEP_2) | instskip(NEXT) | instid1(VALU_DEP_2)
	v_lshl_add_u32 v180, v180, 23, 0x37800000
	v_cndmask_b32_e32 v179, v179, v181, vcc_lo
	v_and_b32_e32 v181, 0x80000000, v183
	s_delay_alu instid0(VALU_DEP_2) | instskip(NEXT) | instid1(VALU_DEP_1)
	v_lshlrev_b32_e32 v179, 21, v179
	v_or3_b32 v179, v181, v180, v179
.LBB6_3643:                             ;   in Loop: Header=BB6_3059 Depth=2
	s_or_b32 exec_lo, exec_lo, s22
	s_delay_alu instid0(VALU_DEP_1) | instskip(NEXT) | instid1(VALU_DEP_1)
	v_mul_f32_e32 v179, v22, v179
	v_and_b32_e32 v22, 0x7f800000, v179
	s_delay_alu instid0(VALU_DEP_1)
	v_cmp_ne_u32_e32 vcc_lo, 0x7f800000, v22
	v_mov_b32_e32 v22, 0x80
	s_and_saveexec_b32 s22, vcc_lo
	s_cbranch_execz .LBB6_3651
; %bb.3644:                             ;   in Loop: Header=BB6_3059 Depth=2
	v_mov_b32_e32 v22, 0
	s_mov_b32 s23, exec_lo
	v_cmpx_ne_u32_e32 0, v179
	s_cbranch_execz .LBB6_3650
; %bb.3645:                             ;   in Loop: Header=BB6_3059 Depth=2
	v_bfe_u32 v22, v179, 23, 8
	s_delay_alu instid0(VALU_DEP_1) | instskip(SKIP_1) | instid1(VALU_DEP_2)
	v_sub_nc_u32_e32 v181, 0x70, v22
	v_cmp_gt_u32_e32 vcc_lo, 0x71, v22
	v_dual_cndmask_b32 v181, 0, v181 :: v_dual_and_b32 v180, 0x7fffff, v179
	s_delay_alu instid0(VALU_DEP_1) | instskip(SKIP_2) | instid1(VALU_DEP_4)
	v_or_b32_e32 v182, 0x800000, v180
	v_cmp_eq_u32_e32 vcc_lo, 0, v22
	v_add_nc_u32_e32 v22, 0xffffff91, v22
	v_cndmask_b32_e64 v181, v181, 0x6f, vcc_lo
	s_delay_alu instid0(VALU_DEP_2) | instskip(SKIP_1) | instid1(VALU_DEP_3)
	v_cndmask_b32_e64 v22, v22, 0xffffff92, vcc_lo
	v_cndmask_b32_e32 v180, v182, v180, vcc_lo
	v_lshl_add_u32 v182, 0x200000, v181, -1
	v_lshlrev_b32_e64 v41, v181, 0x100000
	s_delay_alu instid0(VALU_DEP_3) | instskip(SKIP_1) | instid1(VALU_DEP_4)
	v_lshrrev_b32_e32 v183, v181, v180
	v_add_nc_u32_e32 v181, v181, v22
	v_and_b32_e32 v180, v182, v180
	s_delay_alu instid0(VALU_DEP_3) | instskip(NEXT) | instid1(VALU_DEP_2)
	v_bfe_u32 v40, v183, 21, 1
	v_cmp_eq_u32_e64 s7, v180, v41
	s_delay_alu instid0(VALU_DEP_2) | instskip(NEXT) | instid1(VALU_DEP_1)
	v_add_nc_u32_e32 v182, -1, v40
	v_cndmask_b32_e64 v180, 0, v182, s7
	v_lshrrev_b32_e32 v182, 23, v183
	s_mov_b32 s7, exec_lo
	s_delay_alu instid0(VALU_DEP_2) | instskip(NEXT) | instid1(VALU_DEP_2)
	v_add_nc_u32_e32 v180, v180, v183
	v_xor_b32_e32 v182, 1, v182
	s_delay_alu instid0(VALU_DEP_2) | instskip(NEXT) | instid1(VALU_DEP_1)
	v_and_b32_e32 v22, 0x1fffff, v180
	v_add_nc_u32_e32 v180, v22, v183
                                        ; implicit-def: $vgpr22
	s_delay_alu instid0(VALU_DEP_3)
	v_cmpx_ne_u32_e64 v181, v182
	s_xor_b32 s7, exec_lo, s7
; %bb.3646:                             ;   in Loop: Header=BB6_3059 Depth=2
	s_delay_alu instid0(VALU_DEP_2) | instskip(SKIP_2) | instid1(VALU_DEP_2)
	v_cmp_lt_u32_e32 vcc_lo, 0xffffff, v180
	v_sub_nc_u32_e32 v22, v181, v182
	v_cndmask_b32_e64 v181, 0, 1, vcc_lo
	v_add_co_ci_u32_e32 v22, vcc_lo, 0, v22, vcc_lo
	s_delay_alu instid0(VALU_DEP_2)
	v_lshrrev_b32_e32 v180, v181, v180
; %bb.3647:                             ;   in Loop: Header=BB6_3059 Depth=2
	s_and_not1_saveexec_b32 s7, s7
; %bb.3648:                             ;   in Loop: Header=BB6_3059 Depth=2
	s_delay_alu instid0(VALU_DEP_1)
	v_bfe_u32 v22, v180, 23, 1
; %bb.3649:                             ;   in Loop: Header=BB6_3059 Depth=2
	s_or_b32 exec_lo, exec_lo, s7
	v_lshrrev_b32_e32 v180, 21, v180
	s_delay_alu instid0(VALU_DEP_2) | instskip(SKIP_2) | instid1(VALU_DEP_2)
	v_cmp_gt_i32_e32 vcc_lo, 32, v22
	v_lshrrev_b32_e32 v179, 24, v179
	v_min_i32_e32 v181, 31, v22
	v_dual_cndmask_b32 v180, 3, v180 :: v_dual_and_b32 v179, 0x80, v179
	s_delay_alu instid0(VALU_DEP_1) | instskip(SKIP_1) | instid1(VALU_DEP_2)
	v_or_b32_e32 v22, v22, v180
	v_and_b32_e32 v182, 3, v180
	v_cmp_ne_u32_e32 vcc_lo, 0, v22
	v_lshlrev_b32_e32 v181, 2, v181
	s_delay_alu instid0(VALU_DEP_1) | instskip(NEXT) | instid1(VALU_DEP_1)
	v_or3_b32 v179, v181, v179, v182
	v_cndmask_b32_e32 v22, 0, v179, vcc_lo
.LBB6_3650:                             ;   in Loop: Header=BB6_3059 Depth=2
	s_or_b32 exec_lo, exec_lo, s23
.LBB6_3651:                             ;   in Loop: Header=BB6_3059 Depth=2
	s_delay_alu instid0(SALU_CYCLE_1) | instskip(SKIP_3) | instid1(VALU_DEP_1)
	s_or_b32 exec_lo, exec_lo, s22
	v_lshrrev_b16 v180, 8, v23
	s_mov_b32 s7, 0
	s_mov_b32 s23, exec_lo
                                        ; implicit-def: $sgpr22
	v_cmpx_lt_i16_e64 0x7f, v180
	s_xor_b32 s23, exec_lo, s23
	s_cbranch_execnz .LBB6_4377
; %bb.3652:                             ;   in Loop: Header=BB6_3059 Depth=2
	s_or_saveexec_b32 s23, s23
	v_mov_b32_e32 v179, s22
	s_xor_b32 exec_lo, exec_lo, s23
	s_cbranch_execnz .LBB6_4380
.LBB6_3653:                             ;   in Loop: Header=BB6_3059 Depth=2
	s_or_b32 exec_lo, exec_lo, s23
	s_and_saveexec_b32 s22, s7
	s_cbranch_execz .LBB6_3655
.LBB6_3654:                             ;   in Loop: Header=BB6_3059 Depth=2
	v_and_b32_e32 v179, 0xffff, v180
	s_delay_alu instid0(VALU_DEP_1) | instskip(NEXT) | instid1(VALU_DEP_1)
	v_and_b32_e32 v181, 3, v179
	v_clz_i32_u32_e32 v182, v181
	s_delay_alu instid0(VALU_DEP_1) | instskip(NEXT) | instid1(VALU_DEP_1)
	v_min_u32_e32 v182, 32, v182
	v_subrev_nc_u32_e32 v183, 29, v182
	v_sub_nc_u32_e32 v182, 30, v182
	s_delay_alu instid0(VALU_DEP_2) | instskip(SKIP_1) | instid1(VALU_DEP_2)
	v_lshlrev_b32_e32 v183, v183, v179
	v_bfe_u32 v179, v179, 2, 5
	v_and_b32_e32 v183, 3, v183
	s_delay_alu instid0(VALU_DEP_2) | instskip(SKIP_1) | instid1(VALU_DEP_1)
	v_cmp_eq_u32_e32 vcc_lo, 0, v179
	v_dual_cndmask_b32 v179, v179, v182 :: v_dual_lshlrev_b32 v180, 24, v180
	v_dual_cndmask_b32 v181, v181, v183 :: v_dual_and_b32 v180, 0x80000000, v180
	s_delay_alu instid0(VALU_DEP_2) | instskip(NEXT) | instid1(VALU_DEP_2)
	v_lshl_add_u32 v179, v179, 23, 0x37800000
	v_lshlrev_b32_e32 v181, 21, v181
	s_delay_alu instid0(VALU_DEP_1)
	v_or3_b32 v179, v180, v179, v181
.LBB6_3655:                             ;   in Loop: Header=BB6_3059 Depth=2
	s_or_b32 exec_lo, exec_lo, s22
	v_lshrrev_b16 v180, 8, v19
	s_mov_b32 s7, 0
	s_mov_b32 s23, exec_lo
                                        ; implicit-def: $sgpr22
	s_delay_alu instid0(VALU_DEP_1)
	v_cmpx_lt_i16_e64 0x7f, v180
	s_xor_b32 s23, exec_lo, s23
	s_cbranch_execnz .LBB6_4381
; %bb.3656:                             ;   in Loop: Header=BB6_3059 Depth=2
	s_or_saveexec_b32 s23, s23
	v_mov_b32_e32 v181, s22
	s_xor_b32 exec_lo, exec_lo, s23
	s_cbranch_execnz .LBB6_4384
.LBB6_3657:                             ;   in Loop: Header=BB6_3059 Depth=2
	s_or_b32 exec_lo, exec_lo, s23
	s_and_saveexec_b32 s22, s7
	s_cbranch_execz .LBB6_3659
.LBB6_3658:                             ;   in Loop: Header=BB6_3059 Depth=2
	v_and_b32_e32 v181, 0xffff, v180
	v_lshlrev_b32_e32 v180, 24, v180
	s_delay_alu instid0(VALU_DEP_2) | instskip(NEXT) | instid1(VALU_DEP_2)
	v_and_b32_e32 v182, 3, v181
	v_and_b32_e32 v180, 0x80000000, v180
	s_delay_alu instid0(VALU_DEP_2) | instskip(NEXT) | instid1(VALU_DEP_1)
	v_clz_i32_u32_e32 v183, v182
	v_min_u32_e32 v183, 32, v183
	s_delay_alu instid0(VALU_DEP_1) | instskip(SKIP_1) | instid1(VALU_DEP_2)
	v_subrev_nc_u32_e32 v40, 29, v183
	v_sub_nc_u32_e32 v183, 30, v183
	v_lshlrev_b32_e32 v40, v40, v181
	v_bfe_u32 v181, v181, 2, 5
	s_delay_alu instid0(VALU_DEP_2) | instskip(NEXT) | instid1(VALU_DEP_2)
	v_and_b32_e32 v40, 3, v40
	v_cmp_eq_u32_e32 vcc_lo, 0, v181
	s_delay_alu instid0(VALU_DEP_2) | instskip(NEXT) | instid1(VALU_DEP_1)
	v_dual_cndmask_b32 v181, v181, v183 :: v_dual_cndmask_b32 v182, v182, v40
	v_lshl_add_u32 v181, v181, 23, 0x37800000
	s_delay_alu instid0(VALU_DEP_2) | instskip(NEXT) | instid1(VALU_DEP_1)
	v_lshlrev_b32_e32 v182, 21, v182
	v_or3_b32 v181, v180, v181, v182
.LBB6_3659:                             ;   in Loop: Header=BB6_3059 Depth=2
	s_or_b32 exec_lo, exec_lo, s22
	s_delay_alu instid0(VALU_DEP_1) | instskip(NEXT) | instid1(VALU_DEP_1)
	v_mul_f32_e32 v180, v179, v181
	v_and_b32_e32 v179, 0x7f800000, v180
	s_delay_alu instid0(VALU_DEP_1)
	v_cmp_ne_u32_e32 vcc_lo, 0x7f800000, v179
	v_mov_b32_e32 v179, 0x8000
	s_and_saveexec_b32 s22, vcc_lo
	s_cbranch_execz .LBB6_3667
; %bb.3660:                             ;   in Loop: Header=BB6_3059 Depth=2
	v_mov_b32_e32 v179, 0
	s_mov_b32 s23, exec_lo
	v_cmpx_ne_u32_e32 0, v180
	s_cbranch_execz .LBB6_3666
; %bb.3661:                             ;   in Loop: Header=BB6_3059 Depth=2
	v_bfe_u32 v179, v180, 23, 8
	s_delay_alu instid0(VALU_DEP_1) | instskip(SKIP_1) | instid1(VALU_DEP_2)
	v_sub_nc_u32_e32 v182, 0x70, v179
	v_cmp_gt_u32_e32 vcc_lo, 0x71, v179
	v_dual_cndmask_b32 v182, 0, v182 :: v_dual_and_b32 v181, 0x7fffff, v180
	s_delay_alu instid0(VALU_DEP_1) | instskip(SKIP_2) | instid1(VALU_DEP_4)
	v_or_b32_e32 v183, 0x800000, v181
	v_cmp_eq_u32_e32 vcc_lo, 0, v179
	v_add_nc_u32_e32 v179, 0xffffff91, v179
	v_cndmask_b32_e64 v182, v182, 0x6f, vcc_lo
	s_delay_alu instid0(VALU_DEP_2) | instskip(SKIP_1) | instid1(VALU_DEP_3)
	v_cndmask_b32_e64 v179, v179, 0xffffff92, vcc_lo
	v_cndmask_b32_e32 v181, v183, v181, vcc_lo
	v_lshl_add_u32 v183, 0x200000, v182, -1
	v_lshlrev_b32_e64 v42, v182, 0x100000
	s_delay_alu instid0(VALU_DEP_3) | instskip(SKIP_1) | instid1(VALU_DEP_4)
	v_lshrrev_b32_e32 v40, v182, v181
	v_add_nc_u32_e32 v182, v182, v179
	v_and_b32_e32 v181, v183, v181
	s_delay_alu instid0(VALU_DEP_3) | instskip(NEXT) | instid1(VALU_DEP_2)
	v_bfe_u32 v41, v40, 21, 1
	v_cmp_eq_u32_e64 s7, v181, v42
	s_delay_alu instid0(VALU_DEP_2) | instskip(NEXT) | instid1(VALU_DEP_1)
	v_add_nc_u32_e32 v183, -1, v41
	v_cndmask_b32_e64 v181, 0, v183, s7
	v_lshrrev_b32_e32 v183, 23, v40
	s_mov_b32 s7, exec_lo
	s_delay_alu instid0(VALU_DEP_2) | instskip(NEXT) | instid1(VALU_DEP_2)
	v_add_nc_u32_e32 v181, v181, v40
	v_xor_b32_e32 v183, 1, v183
	s_delay_alu instid0(VALU_DEP_2) | instskip(NEXT) | instid1(VALU_DEP_1)
	v_and_b32_e32 v179, 0x1fffff, v181
	v_add_nc_u32_e32 v181, v179, v40
                                        ; implicit-def: $vgpr179
	s_delay_alu instid0(VALU_DEP_3)
	v_cmpx_ne_u32_e64 v182, v183
	s_xor_b32 s7, exec_lo, s7
; %bb.3662:                             ;   in Loop: Header=BB6_3059 Depth=2
	s_delay_alu instid0(VALU_DEP_2) | instskip(SKIP_2) | instid1(VALU_DEP_2)
	v_cmp_lt_u32_e32 vcc_lo, 0xffffff, v181
	v_sub_nc_u32_e32 v179, v182, v183
	v_cndmask_b32_e64 v182, 0, 1, vcc_lo
	v_add_co_ci_u32_e32 v179, vcc_lo, 0, v179, vcc_lo
	s_delay_alu instid0(VALU_DEP_2)
	v_lshrrev_b32_e32 v181, v182, v181
; %bb.3663:                             ;   in Loop: Header=BB6_3059 Depth=2
	s_and_not1_saveexec_b32 s7, s7
; %bb.3664:                             ;   in Loop: Header=BB6_3059 Depth=2
	s_delay_alu instid0(VALU_DEP_1)
	v_bfe_u32 v179, v181, 23, 1
; %bb.3665:                             ;   in Loop: Header=BB6_3059 Depth=2
	s_or_b32 exec_lo, exec_lo, s7
	v_lshrrev_b32_e32 v181, 21, v181
	s_delay_alu instid0(VALU_DEP_2) | instskip(SKIP_2) | instid1(VALU_DEP_2)
	v_cmp_gt_i32_e32 vcc_lo, 32, v179
	v_min_i32_e32 v182, 31, v179
	v_lshrrev_b32_e32 v180, 24, v180
	v_dual_cndmask_b32 v181, 3, v181 :: v_dual_lshlrev_b32 v182, 2, v182
	s_delay_alu instid0(VALU_DEP_2) | instskip(NEXT) | instid1(VALU_DEP_2)
	v_and_b32_e32 v180, 0x80, v180
	v_or_b32_e32 v179, v179, v181
	v_and_b32_e32 v183, 3, v181
	s_delay_alu instid0(VALU_DEP_2) | instskip(SKIP_1) | instid1(VALU_DEP_1)
	v_cmp_ne_u32_e32 vcc_lo, 0, v179
	v_and_b32_e32 v182, 0xfc, v182
	v_or3_b32 v180, v180, v182, v183
	s_delay_alu instid0(VALU_DEP_1) | instskip(NEXT) | instid1(VALU_DEP_1)
	v_lshlrev_b32_e32 v180, 8, v180
	v_cndmask_b32_e32 v179, 0, v180, vcc_lo
.LBB6_3666:                             ;   in Loop: Header=BB6_3059 Depth=2
	s_or_b32 exec_lo, exec_lo, s23
.LBB6_3667:                             ;   in Loop: Header=BB6_3059 Depth=2
	s_delay_alu instid0(SALU_CYCLE_1) | instskip(SKIP_3) | instid1(VALU_DEP_1)
	s_or_b32 exec_lo, exec_lo, s22
	v_lshrrev_b32_e32 v181, 16, v23
	s_mov_b32 s7, 0
	s_mov_b32 s23, exec_lo
                                        ; implicit-def: $sgpr22
	v_and_b32_e32 v182, 0xff, v181
	s_delay_alu instid0(VALU_DEP_1)
	v_cmpx_lt_i16_e64 0x7f, v182
	s_xor_b32 s23, exec_lo, s23
	s_cbranch_execnz .LBB6_4385
; %bb.3668:                             ;   in Loop: Header=BB6_3059 Depth=2
	s_or_saveexec_b32 s23, s23
	v_mov_b32_e32 v180, s22
	s_xor_b32 exec_lo, exec_lo, s23
	s_cbranch_execnz .LBB6_4388
.LBB6_3669:                             ;   in Loop: Header=BB6_3059 Depth=2
	s_or_b32 exec_lo, exec_lo, s23
	s_and_saveexec_b32 s22, s7
	s_cbranch_execz .LBB6_3671
.LBB6_3670:                             ;   in Loop: Header=BB6_3059 Depth=2
	v_bfe_u32 v180, v23, 16, 2
	v_lshlrev_b32_e32 v40, 8, v23
	s_delay_alu instid0(VALU_DEP_2) | instskip(NEXT) | instid1(VALU_DEP_1)
	v_clz_i32_u32_e32 v182, v180
	v_min_u32_e32 v182, 32, v182
	s_delay_alu instid0(VALU_DEP_1) | instskip(SKIP_1) | instid1(VALU_DEP_2)
	v_subrev_nc_u32_e32 v183, 29, v182
	v_sub_nc_u32_e32 v182, 30, v182
	v_lshlrev_b32_e32 v181, v183, v181
	v_bfe_u32 v183, v23, 18, 5
	s_delay_alu instid0(VALU_DEP_1) | instskip(NEXT) | instid1(VALU_DEP_3)
	v_cmp_eq_u32_e32 vcc_lo, 0, v183
	v_dual_cndmask_b32 v182, v183, v182 :: v_dual_and_b32 v181, 3, v181
	s_delay_alu instid0(VALU_DEP_1) | instskip(NEXT) | instid1(VALU_DEP_2)
	v_dual_cndmask_b32 v180, v180, v181 :: v_dual_and_b32 v181, 0x80000000, v40
	v_lshl_add_u32 v182, v182, 23, 0x37800000
	s_delay_alu instid0(VALU_DEP_2) | instskip(NEXT) | instid1(VALU_DEP_1)
	v_lshlrev_b32_e32 v180, 21, v180
	v_or3_b32 v180, v181, v182, v180
.LBB6_3671:                             ;   in Loop: Header=BB6_3059 Depth=2
	s_or_b32 exec_lo, exec_lo, s22
	v_lshrrev_b32_e32 v181, 16, v19
	s_mov_b32 s7, 0
	s_mov_b32 s23, exec_lo
                                        ; implicit-def: $sgpr22
	s_delay_alu instid0(VALU_DEP_1) | instskip(NEXT) | instid1(VALU_DEP_1)
	v_and_b32_e32 v183, 0xff, v181
	v_cmpx_lt_i16_e64 0x7f, v183
	s_xor_b32 s23, exec_lo, s23
	s_cbranch_execnz .LBB6_4389
; %bb.3672:                             ;   in Loop: Header=BB6_3059 Depth=2
	s_or_saveexec_b32 s23, s23
	v_mov_b32_e32 v182, s22
	s_xor_b32 exec_lo, exec_lo, s23
	s_cbranch_execnz .LBB6_4392
.LBB6_3673:                             ;   in Loop: Header=BB6_3059 Depth=2
	s_or_b32 exec_lo, exec_lo, s23
	s_and_saveexec_b32 s22, s7
	s_cbranch_execz .LBB6_3675
.LBB6_3674:                             ;   in Loop: Header=BB6_3059 Depth=2
	v_bfe_u32 v182, v19, 16, 2
	v_lshlrev_b32_e32 v41, 8, v19
	s_delay_alu instid0(VALU_DEP_2) | instskip(NEXT) | instid1(VALU_DEP_1)
	v_clz_i32_u32_e32 v183, v182
	v_min_u32_e32 v183, 32, v183
	s_delay_alu instid0(VALU_DEP_1) | instskip(SKIP_1) | instid1(VALU_DEP_2)
	v_subrev_nc_u32_e32 v40, 29, v183
	v_sub_nc_u32_e32 v183, 30, v183
	v_lshlrev_b32_e32 v181, v40, v181
	v_bfe_u32 v40, v19, 18, 5
	s_delay_alu instid0(VALU_DEP_2) | instskip(NEXT) | instid1(VALU_DEP_2)
	v_and_b32_e32 v181, 3, v181
	v_cmp_eq_u32_e32 vcc_lo, 0, v40
	v_cndmask_b32_e32 v183, v40, v183, vcc_lo
	s_delay_alu instid0(VALU_DEP_3) | instskip(SKIP_1) | instid1(VALU_DEP_3)
	v_cndmask_b32_e32 v181, v182, v181, vcc_lo
	v_and_b32_e32 v182, 0x80000000, v41
	v_lshl_add_u32 v183, v183, 23, 0x37800000
	s_delay_alu instid0(VALU_DEP_3) | instskip(NEXT) | instid1(VALU_DEP_1)
	v_lshlrev_b32_e32 v181, 21, v181
	v_or3_b32 v182, v182, v183, v181
.LBB6_3675:                             ;   in Loop: Header=BB6_3059 Depth=2
	s_or_b32 exec_lo, exec_lo, s22
	s_delay_alu instid0(VALU_DEP_1) | instskip(NEXT) | instid1(VALU_DEP_1)
	v_mul_f32_e32 v181, v180, v182
	v_and_b32_e32 v180, 0x7f800000, v181
	s_delay_alu instid0(VALU_DEP_1)
	v_cmp_ne_u32_e32 vcc_lo, 0x7f800000, v180
	v_mov_b32_e32 v180, 0x80
	s_and_saveexec_b32 s22, vcc_lo
	s_cbranch_execz .LBB6_3683
; %bb.3676:                             ;   in Loop: Header=BB6_3059 Depth=2
	v_mov_b32_e32 v180, 0
	s_mov_b32 s23, exec_lo
	v_cmpx_ne_u32_e32 0, v181
	s_cbranch_execz .LBB6_3682
; %bb.3677:                             ;   in Loop: Header=BB6_3059 Depth=2
	v_bfe_u32 v180, v181, 23, 8
	s_delay_alu instid0(VALU_DEP_1) | instskip(SKIP_1) | instid1(VALU_DEP_2)
	v_sub_nc_u32_e32 v183, 0x70, v180
	v_cmp_gt_u32_e32 vcc_lo, 0x71, v180
	v_dual_cndmask_b32 v183, 0, v183 :: v_dual_and_b32 v182, 0x7fffff, v181
	s_delay_alu instid0(VALU_DEP_1) | instskip(SKIP_2) | instid1(VALU_DEP_4)
	v_or_b32_e32 v40, 0x800000, v182
	v_cmp_eq_u32_e32 vcc_lo, 0, v180
	v_add_nc_u32_e32 v180, 0xffffff91, v180
	v_cndmask_b32_e64 v183, v183, 0x6f, vcc_lo
	s_delay_alu instid0(VALU_DEP_2) | instskip(SKIP_1) | instid1(VALU_DEP_3)
	v_cndmask_b32_e64 v180, v180, 0xffffff92, vcc_lo
	v_cndmask_b32_e32 v182, v40, v182, vcc_lo
	v_lshl_add_u32 v40, 0x200000, v183, -1
	v_lshlrev_b32_e64 v43, v183, 0x100000
	s_delay_alu instid0(VALU_DEP_3) | instskip(SKIP_1) | instid1(VALU_DEP_4)
	v_lshrrev_b32_e32 v41, v183, v182
	v_add_nc_u32_e32 v183, v183, v180
	v_and_b32_e32 v182, v40, v182
	s_delay_alu instid0(VALU_DEP_3) | instskip(NEXT) | instid1(VALU_DEP_2)
	v_bfe_u32 v42, v41, 21, 1
	v_cmp_eq_u32_e64 s7, v182, v43
	s_delay_alu instid0(VALU_DEP_2) | instskip(NEXT) | instid1(VALU_DEP_1)
	v_add_nc_u32_e32 v40, -1, v42
	v_cndmask_b32_e64 v182, 0, v40, s7
	v_lshrrev_b32_e32 v40, 23, v41
	s_mov_b32 s7, exec_lo
	s_delay_alu instid0(VALU_DEP_2) | instskip(NEXT) | instid1(VALU_DEP_2)
	v_add_nc_u32_e32 v182, v182, v41
	v_xor_b32_e32 v40, 1, v40
	s_delay_alu instid0(VALU_DEP_2) | instskip(NEXT) | instid1(VALU_DEP_1)
	v_and_b32_e32 v180, 0x1fffff, v182
	v_add_nc_u32_e32 v182, v180, v41
                                        ; implicit-def: $vgpr180
	s_delay_alu instid0(VALU_DEP_3)
	v_cmpx_ne_u32_e64 v183, v40
	s_xor_b32 s7, exec_lo, s7
; %bb.3678:                             ;   in Loop: Header=BB6_3059 Depth=2
	s_delay_alu instid0(VALU_DEP_2) | instskip(SKIP_2) | instid1(VALU_DEP_2)
	v_cmp_lt_u32_e32 vcc_lo, 0xffffff, v182
	v_sub_nc_u32_e32 v180, v183, v40
	v_cndmask_b32_e64 v183, 0, 1, vcc_lo
	v_add_co_ci_u32_e32 v180, vcc_lo, 0, v180, vcc_lo
	s_delay_alu instid0(VALU_DEP_2)
	v_lshrrev_b32_e32 v182, v183, v182
; %bb.3679:                             ;   in Loop: Header=BB6_3059 Depth=2
	s_and_not1_saveexec_b32 s7, s7
; %bb.3680:                             ;   in Loop: Header=BB6_3059 Depth=2
	s_delay_alu instid0(VALU_DEP_1)
	v_bfe_u32 v180, v182, 23, 1
; %bb.3681:                             ;   in Loop: Header=BB6_3059 Depth=2
	s_or_b32 exec_lo, exec_lo, s7
	v_lshrrev_b32_e32 v182, 21, v182
	s_delay_alu instid0(VALU_DEP_2) | instskip(SKIP_2) | instid1(VALU_DEP_2)
	v_cmp_gt_i32_e32 vcc_lo, 32, v180
	v_min_i32_e32 v183, 31, v180
	v_lshrrev_b32_e32 v181, 24, v181
	v_dual_cndmask_b32 v182, 3, v182 :: v_dual_lshlrev_b32 v183, 2, v183
	s_delay_alu instid0(VALU_DEP_2) | instskip(NEXT) | instid1(VALU_DEP_2)
	v_and_b32_e32 v181, 0x80, v181
	v_or_b32_e32 v180, v180, v182
	v_and_b32_e32 v40, 3, v182
	s_delay_alu instid0(VALU_DEP_2) | instskip(SKIP_1) | instid1(VALU_DEP_1)
	v_cmp_ne_u32_e32 vcc_lo, 0, v180
	v_and_b32_e32 v183, 0xfc, v183
	v_or3_b32 v181, v183, v181, v40
	s_delay_alu instid0(VALU_DEP_1)
	v_cndmask_b32_e32 v180, 0, v181, vcc_lo
.LBB6_3682:                             ;   in Loop: Header=BB6_3059 Depth=2
	s_or_b32 exec_lo, exec_lo, s23
.LBB6_3683:                             ;   in Loop: Header=BB6_3059 Depth=2
	s_delay_alu instid0(SALU_CYCLE_1) | instskip(SKIP_3) | instid1(VALU_DEP_1)
	s_or_b32 exec_lo, exec_lo, s22
	v_lshrrev_b32_e32 v182, 24, v23
	s_mov_b32 s7, 0
	s_mov_b32 s23, exec_lo
                                        ; implicit-def: $sgpr22
	v_cmpx_lt_i16_e64 0x7f, v182
	s_xor_b32 s23, exec_lo, s23
	s_cbranch_execnz .LBB6_4393
; %bb.3684:                             ;   in Loop: Header=BB6_3059 Depth=2
	s_or_saveexec_b32 s23, s23
	v_mov_b32_e32 v181, s22
	s_xor_b32 exec_lo, exec_lo, s23
	s_cbranch_execnz .LBB6_4396
.LBB6_3685:                             ;   in Loop: Header=BB6_3059 Depth=2
	s_or_b32 exec_lo, exec_lo, s23
	s_and_saveexec_b32 s22, s7
	s_cbranch_execz .LBB6_3687
.LBB6_3686:                             ;   in Loop: Header=BB6_3059 Depth=2
	v_bfe_u32 v181, v23, 24, 2
	s_delay_alu instid0(VALU_DEP_1) | instskip(NEXT) | instid1(VALU_DEP_1)
	v_clz_i32_u32_e32 v183, v181
	v_min_u32_e32 v183, 32, v183
	s_delay_alu instid0(VALU_DEP_1) | instskip(SKIP_1) | instid1(VALU_DEP_2)
	v_subrev_nc_u32_e32 v40, 29, v183
	v_sub_nc_u32_e32 v183, 30, v183
	v_lshlrev_b32_e32 v182, v40, v182
	v_bfe_u32 v40, v23, 26, 5
	v_and_b32_e32 v23, 0x80000000, v23
	s_delay_alu instid0(VALU_DEP_2) | instskip(NEXT) | instid1(VALU_DEP_4)
	v_cmp_eq_u32_e32 vcc_lo, 0, v40
	v_dual_cndmask_b32 v183, v40, v183 :: v_dual_and_b32 v182, 3, v182
	s_delay_alu instid0(VALU_DEP_1) | instskip(NEXT) | instid1(VALU_DEP_2)
	v_cndmask_b32_e32 v181, v181, v182, vcc_lo
	v_lshl_add_u32 v182, v183, 23, 0x37800000
	s_delay_alu instid0(VALU_DEP_2) | instskip(NEXT) | instid1(VALU_DEP_1)
	v_lshlrev_b32_e32 v181, 21, v181
	v_or3_b32 v181, v23, v182, v181
.LBB6_3687:                             ;   in Loop: Header=BB6_3059 Depth=2
	s_or_b32 exec_lo, exec_lo, s22
	v_lshrrev_b32_e32 v23, 24, v19
	s_mov_b32 s7, 0
	s_mov_b32 s23, exec_lo
                                        ; implicit-def: $sgpr22
	s_delay_alu instid0(VALU_DEP_1)
	v_cmpx_lt_i16_e32 0x7f, v23
	s_xor_b32 s23, exec_lo, s23
	s_cbranch_execnz .LBB6_4397
; %bb.3688:                             ;   in Loop: Header=BB6_3059 Depth=2
	s_or_saveexec_b32 s23, s23
	v_mov_b32_e32 v182, s22
	s_xor_b32 exec_lo, exec_lo, s23
	s_cbranch_execnz .LBB6_4400
.LBB6_3689:                             ;   in Loop: Header=BB6_3059 Depth=2
	s_or_b32 exec_lo, exec_lo, s23
	s_and_saveexec_b32 s22, s7
	s_cbranch_execz .LBB6_3691
.LBB6_3690:                             ;   in Loop: Header=BB6_3059 Depth=2
	v_bfe_u32 v182, v19, 24, 2
	s_delay_alu instid0(VALU_DEP_1) | instskip(NEXT) | instid1(VALU_DEP_1)
	v_clz_i32_u32_e32 v183, v182
	v_min_u32_e32 v183, 32, v183
	s_delay_alu instid0(VALU_DEP_1) | instskip(SKIP_1) | instid1(VALU_DEP_2)
	v_subrev_nc_u32_e32 v40, 29, v183
	v_sub_nc_u32_e32 v183, 30, v183
	v_lshlrev_b32_e32 v23, v40, v23
	v_bfe_u32 v40, v19, 26, 5
	v_and_b32_e32 v19, 0x80000000, v19
	s_delay_alu instid0(VALU_DEP_3) | instskip(NEXT) | instid1(VALU_DEP_3)
	v_and_b32_e32 v23, 3, v23
	v_cmp_eq_u32_e32 vcc_lo, 0, v40
	v_cndmask_b32_e32 v183, v40, v183, vcc_lo
	s_delay_alu instid0(VALU_DEP_3) | instskip(NEXT) | instid1(VALU_DEP_2)
	v_cndmask_b32_e32 v23, v182, v23, vcc_lo
	v_lshl_add_u32 v182, v183, 23, 0x37800000
	s_delay_alu instid0(VALU_DEP_2) | instskip(NEXT) | instid1(VALU_DEP_1)
	v_lshlrev_b32_e32 v23, 21, v23
	v_or3_b32 v182, v19, v182, v23
.LBB6_3691:                             ;   in Loop: Header=BB6_3059 Depth=2
	s_or_b32 exec_lo, exec_lo, s22
	s_delay_alu instid0(VALU_DEP_1) | instskip(NEXT) | instid1(VALU_DEP_1)
	v_mul_f32_e32 v23, v181, v182
	v_and_b32_e32 v19, 0x7f800000, v23
	s_delay_alu instid0(VALU_DEP_1)
	v_cmp_ne_u32_e32 vcc_lo, 0x7f800000, v19
	v_mov_b32_e32 v19, 0x8000
	s_and_saveexec_b32 s22, vcc_lo
	s_cbranch_execz .LBB6_3699
; %bb.3692:                             ;   in Loop: Header=BB6_3059 Depth=2
	v_mov_b32_e32 v19, 0
	s_mov_b32 s23, exec_lo
	v_cmpx_ne_u32_e32 0, v23
	s_cbranch_execz .LBB6_3698
; %bb.3693:                             ;   in Loop: Header=BB6_3059 Depth=2
	v_bfe_u32 v19, v23, 23, 8
	s_delay_alu instid0(VALU_DEP_1) | instskip(SKIP_1) | instid1(VALU_DEP_2)
	v_sub_nc_u32_e32 v182, 0x70, v19
	v_cmp_gt_u32_e32 vcc_lo, 0x71, v19
	v_dual_cndmask_b32 v182, 0, v182 :: v_dual_and_b32 v181, 0x7fffff, v23
	s_delay_alu instid0(VALU_DEP_1) | instskip(SKIP_2) | instid1(VALU_DEP_4)
	v_or_b32_e32 v183, 0x800000, v181
	v_cmp_eq_u32_e32 vcc_lo, 0, v19
	v_add_nc_u32_e32 v19, 0xffffff91, v19
	v_cndmask_b32_e64 v182, v182, 0x6f, vcc_lo
	s_delay_alu instid0(VALU_DEP_2) | instskip(SKIP_1) | instid1(VALU_DEP_3)
	v_cndmask_b32_e64 v19, v19, 0xffffff92, vcc_lo
	v_cndmask_b32_e32 v181, v183, v181, vcc_lo
	v_lshl_add_u32 v183, 0x200000, v182, -1
	v_lshlrev_b32_e64 v42, v182, 0x100000
	s_delay_alu instid0(VALU_DEP_3) | instskip(SKIP_1) | instid1(VALU_DEP_4)
	v_lshrrev_b32_e32 v40, v182, v181
	v_add_nc_u32_e32 v182, v182, v19
	v_and_b32_e32 v181, v183, v181
	s_delay_alu instid0(VALU_DEP_3) | instskip(NEXT) | instid1(VALU_DEP_2)
	v_bfe_u32 v41, v40, 21, 1
	v_cmp_eq_u32_e64 s7, v181, v42
	s_delay_alu instid0(VALU_DEP_2) | instskip(NEXT) | instid1(VALU_DEP_1)
	v_add_nc_u32_e32 v183, -1, v41
	v_cndmask_b32_e64 v181, 0, v183, s7
	v_lshrrev_b32_e32 v183, 23, v40
	s_mov_b32 s7, exec_lo
	s_delay_alu instid0(VALU_DEP_2) | instskip(NEXT) | instid1(VALU_DEP_2)
	v_add_nc_u32_e32 v181, v181, v40
	v_xor_b32_e32 v183, 1, v183
	s_delay_alu instid0(VALU_DEP_2) | instskip(NEXT) | instid1(VALU_DEP_1)
	v_and_b32_e32 v19, 0x1fffff, v181
	v_add_nc_u32_e32 v181, v19, v40
                                        ; implicit-def: $vgpr19
	s_delay_alu instid0(VALU_DEP_3)
	v_cmpx_ne_u32_e64 v182, v183
	s_xor_b32 s7, exec_lo, s7
; %bb.3694:                             ;   in Loop: Header=BB6_3059 Depth=2
	s_delay_alu instid0(VALU_DEP_2) | instskip(SKIP_2) | instid1(VALU_DEP_2)
	v_cmp_lt_u32_e32 vcc_lo, 0xffffff, v181
	v_sub_nc_u32_e32 v19, v182, v183
	v_cndmask_b32_e64 v182, 0, 1, vcc_lo
	v_add_co_ci_u32_e32 v19, vcc_lo, 0, v19, vcc_lo
	s_delay_alu instid0(VALU_DEP_2)
	v_lshrrev_b32_e32 v181, v182, v181
; %bb.3695:                             ;   in Loop: Header=BB6_3059 Depth=2
	s_and_not1_saveexec_b32 s7, s7
; %bb.3696:                             ;   in Loop: Header=BB6_3059 Depth=2
	s_delay_alu instid0(VALU_DEP_1)
	v_bfe_u32 v19, v181, 23, 1
; %bb.3697:                             ;   in Loop: Header=BB6_3059 Depth=2
	s_or_b32 exec_lo, exec_lo, s7
	v_lshrrev_b32_e32 v181, 21, v181
	s_delay_alu instid0(VALU_DEP_2) | instskip(SKIP_2) | instid1(VALU_DEP_2)
	v_cmp_gt_i32_e32 vcc_lo, 32, v19
	v_min_i32_e32 v182, 31, v19
	v_lshrrev_b32_e32 v23, 24, v23
	v_dual_cndmask_b32 v181, 3, v181 :: v_dual_lshlrev_b32 v182, 2, v182
	s_delay_alu instid0(VALU_DEP_2) | instskip(NEXT) | instid1(VALU_DEP_2)
	v_and_b32_e32 v23, 0x80, v23
	v_or_b32_e32 v19, v19, v181
	v_and_b32_e32 v183, 3, v181
	s_delay_alu instid0(VALU_DEP_2) | instskip(SKIP_1) | instid1(VALU_DEP_1)
	v_cmp_ne_u32_e32 vcc_lo, 0, v19
	v_and_b32_e32 v182, 0xfc, v182
	v_or3_b32 v23, v23, v182, v183
	s_delay_alu instid0(VALU_DEP_1) | instskip(NEXT) | instid1(VALU_DEP_1)
	v_lshlrev_b32_e32 v23, 8, v23
	v_cndmask_b32_e32 v19, 0, v23, vcc_lo
.LBB6_3698:                             ;   in Loop: Header=BB6_3059 Depth=2
	s_or_b32 exec_lo, exec_lo, s23
.LBB6_3699:                             ;   in Loop: Header=BB6_3059 Depth=2
	s_delay_alu instid0(SALU_CYCLE_1) | instskip(SKIP_3) | instid1(VALU_DEP_1)
	s_or_b32 exec_lo, exec_lo, s22
	v_and_b32_e32 v181, 0xff, v24
	s_mov_b32 s7, 0
	s_mov_b32 s23, exec_lo
                                        ; implicit-def: $sgpr22
	v_cmpx_lt_i16_e64 0x7f, v181
	s_xor_b32 s23, exec_lo, s23
	s_cbranch_execnz .LBB6_4401
; %bb.3700:                             ;   in Loop: Header=BB6_3059 Depth=2
	s_or_saveexec_b32 s23, s23
	v_mov_b32_e32 v23, s22
	s_xor_b32 exec_lo, exec_lo, s23
	s_cbranch_execnz .LBB6_4404
.LBB6_3701:                             ;   in Loop: Header=BB6_3059 Depth=2
	s_or_b32 exec_lo, exec_lo, s23
	s_and_saveexec_b32 s22, s7
	s_cbranch_execz .LBB6_3703
.LBB6_3702:                             ;   in Loop: Header=BB6_3059 Depth=2
	v_and_b32_e32 v23, 3, v24
	v_bfe_u32 v183, v24, 2, 5
	s_delay_alu instid0(VALU_DEP_2) | instskip(NEXT) | instid1(VALU_DEP_2)
	v_clz_i32_u32_e32 v181, v23
	v_cmp_eq_u32_e32 vcc_lo, 0, v183
	s_delay_alu instid0(VALU_DEP_2) | instskip(NEXT) | instid1(VALU_DEP_1)
	v_min_u32_e32 v181, 32, v181
	v_subrev_nc_u32_e32 v182, 29, v181
	v_sub_nc_u32_e32 v181, 30, v181
	s_delay_alu instid0(VALU_DEP_1) | instskip(NEXT) | instid1(VALU_DEP_1)
	v_dual_cndmask_b32 v181, v183, v181 :: v_dual_lshlrev_b32 v182, v182, v24
	v_and_b32_e32 v182, 3, v182
	v_lshlrev_b32_e32 v40, 24, v24
	s_delay_alu instid0(VALU_DEP_3) | instskip(NEXT) | instid1(VALU_DEP_2)
	v_lshl_add_u32 v181, v181, 23, 0x37800000
	v_dual_cndmask_b32 v23, v23, v182 :: v_dual_and_b32 v182, 0x80000000, v40
	s_delay_alu instid0(VALU_DEP_1) | instskip(NEXT) | instid1(VALU_DEP_1)
	v_lshlrev_b32_e32 v23, 21, v23
	v_or3_b32 v23, v182, v181, v23
.LBB6_3703:                             ;   in Loop: Header=BB6_3059 Depth=2
	s_or_b32 exec_lo, exec_lo, s22
	v_and_b32_e32 v182, 0xff, v20
	s_mov_b32 s7, 0
	s_mov_b32 s23, exec_lo
                                        ; implicit-def: $sgpr22
	s_delay_alu instid0(VALU_DEP_1)
	v_cmpx_lt_i16_e64 0x7f, v182
	s_xor_b32 s23, exec_lo, s23
	s_cbranch_execnz .LBB6_4405
; %bb.3704:                             ;   in Loop: Header=BB6_3059 Depth=2
	s_or_saveexec_b32 s23, s23
	v_mov_b32_e32 v181, s22
	s_xor_b32 exec_lo, exec_lo, s23
	s_cbranch_execnz .LBB6_4408
.LBB6_3705:                             ;   in Loop: Header=BB6_3059 Depth=2
	s_or_b32 exec_lo, exec_lo, s23
	s_and_saveexec_b32 s22, s7
	s_cbranch_execz .LBB6_3707
.LBB6_3706:                             ;   in Loop: Header=BB6_3059 Depth=2
	v_bfe_u32 v40, v20, 2, 5
	v_lshlrev_b32_e32 v41, 24, v20
	s_delay_alu instid0(VALU_DEP_2) | instskip(SKIP_1) | instid1(VALU_DEP_1)
	v_cmp_eq_u32_e32 vcc_lo, 0, v40
	v_and_b32_e32 v181, 3, v20
	v_clz_i32_u32_e32 v182, v181
	s_delay_alu instid0(VALU_DEP_1) | instskip(NEXT) | instid1(VALU_DEP_1)
	v_min_u32_e32 v182, 32, v182
	v_subrev_nc_u32_e32 v183, 29, v182
	v_sub_nc_u32_e32 v182, 30, v182
	s_delay_alu instid0(VALU_DEP_1) | instskip(NEXT) | instid1(VALU_DEP_1)
	v_dual_cndmask_b32 v182, v40, v182 :: v_dual_lshlrev_b32 v183, v183, v20
	v_and_b32_e32 v183, 3, v183
	s_delay_alu instid0(VALU_DEP_2) | instskip(NEXT) | instid1(VALU_DEP_2)
	v_lshl_add_u32 v182, v182, 23, 0x37800000
	v_cndmask_b32_e32 v181, v181, v183, vcc_lo
	v_and_b32_e32 v183, 0x80000000, v41
	s_delay_alu instid0(VALU_DEP_2) | instskip(NEXT) | instid1(VALU_DEP_1)
	v_lshlrev_b32_e32 v181, 21, v181
	v_or3_b32 v181, v183, v182, v181
.LBB6_3707:                             ;   in Loop: Header=BB6_3059 Depth=2
	s_or_b32 exec_lo, exec_lo, s22
	s_delay_alu instid0(VALU_DEP_1) | instskip(NEXT) | instid1(VALU_DEP_1)
	v_mul_f32_e32 v181, v23, v181
	v_and_b32_e32 v23, 0x7f800000, v181
	s_delay_alu instid0(VALU_DEP_1)
	v_cmp_ne_u32_e32 vcc_lo, 0x7f800000, v23
	v_mov_b32_e32 v23, 0x80
	s_and_saveexec_b32 s22, vcc_lo
	s_cbranch_execz .LBB6_3715
; %bb.3708:                             ;   in Loop: Header=BB6_3059 Depth=2
	v_mov_b32_e32 v23, 0
	s_mov_b32 s23, exec_lo
	v_cmpx_ne_u32_e32 0, v181
	s_cbranch_execz .LBB6_3714
; %bb.3709:                             ;   in Loop: Header=BB6_3059 Depth=2
	v_bfe_u32 v23, v181, 23, 8
	s_delay_alu instid0(VALU_DEP_1) | instskip(SKIP_1) | instid1(VALU_DEP_2)
	v_sub_nc_u32_e32 v183, 0x70, v23
	v_cmp_gt_u32_e32 vcc_lo, 0x71, v23
	v_dual_cndmask_b32 v183, 0, v183 :: v_dual_and_b32 v182, 0x7fffff, v181
	s_delay_alu instid0(VALU_DEP_1) | instskip(SKIP_2) | instid1(VALU_DEP_4)
	v_or_b32_e32 v40, 0x800000, v182
	v_cmp_eq_u32_e32 vcc_lo, 0, v23
	v_add_nc_u32_e32 v23, 0xffffff91, v23
	v_cndmask_b32_e64 v183, v183, 0x6f, vcc_lo
	s_delay_alu instid0(VALU_DEP_4) | instskip(NEXT) | instid1(VALU_DEP_3)
	v_cndmask_b32_e32 v182, v40, v182, vcc_lo
	v_cndmask_b32_e64 v23, v23, 0xffffff92, vcc_lo
	s_delay_alu instid0(VALU_DEP_3) | instskip(NEXT) | instid1(VALU_DEP_3)
	v_lshl_add_u32 v40, 0x200000, v183, -1
	v_lshrrev_b32_e32 v41, v183, v182
	v_lshlrev_b32_e64 v43, v183, 0x100000
	s_delay_alu instid0(VALU_DEP_4) | instskip(NEXT) | instid1(VALU_DEP_4)
	v_add_nc_u32_e32 v183, v183, v23
	v_and_b32_e32 v182, v40, v182
	s_delay_alu instid0(VALU_DEP_4) | instskip(NEXT) | instid1(VALU_DEP_2)
	v_bfe_u32 v42, v41, 21, 1
	v_cmp_eq_u32_e64 s7, v182, v43
	s_delay_alu instid0(VALU_DEP_2) | instskip(NEXT) | instid1(VALU_DEP_1)
	v_add_nc_u32_e32 v40, -1, v42
	v_cndmask_b32_e64 v182, 0, v40, s7
	v_lshrrev_b32_e32 v40, 23, v41
	s_mov_b32 s7, exec_lo
	s_delay_alu instid0(VALU_DEP_2) | instskip(NEXT) | instid1(VALU_DEP_2)
	v_add_nc_u32_e32 v182, v182, v41
	v_xor_b32_e32 v40, 1, v40
	s_delay_alu instid0(VALU_DEP_2) | instskip(NEXT) | instid1(VALU_DEP_1)
	v_and_b32_e32 v23, 0x1fffff, v182
	v_add_nc_u32_e32 v182, v23, v41
                                        ; implicit-def: $vgpr23
	s_delay_alu instid0(VALU_DEP_3)
	v_cmpx_ne_u32_e64 v183, v40
	s_xor_b32 s7, exec_lo, s7
; %bb.3710:                             ;   in Loop: Header=BB6_3059 Depth=2
	s_delay_alu instid0(VALU_DEP_2) | instskip(SKIP_2) | instid1(VALU_DEP_2)
	v_cmp_lt_u32_e32 vcc_lo, 0xffffff, v182
	v_sub_nc_u32_e32 v23, v183, v40
	v_cndmask_b32_e64 v183, 0, 1, vcc_lo
	v_add_co_ci_u32_e32 v23, vcc_lo, 0, v23, vcc_lo
	s_delay_alu instid0(VALU_DEP_2)
	v_lshrrev_b32_e32 v182, v183, v182
; %bb.3711:                             ;   in Loop: Header=BB6_3059 Depth=2
	s_and_not1_saveexec_b32 s7, s7
; %bb.3712:                             ;   in Loop: Header=BB6_3059 Depth=2
	s_delay_alu instid0(VALU_DEP_1)
	v_bfe_u32 v23, v182, 23, 1
; %bb.3713:                             ;   in Loop: Header=BB6_3059 Depth=2
	s_or_b32 exec_lo, exec_lo, s7
	v_lshrrev_b32_e32 v182, 21, v182
	s_delay_alu instid0(VALU_DEP_2) | instskip(SKIP_2) | instid1(VALU_DEP_2)
	v_cmp_gt_i32_e32 vcc_lo, 32, v23
	v_lshrrev_b32_e32 v181, 24, v181
	v_min_i32_e32 v183, 31, v23
	v_dual_cndmask_b32 v182, 3, v182 :: v_dual_and_b32 v181, 0x80, v181
	s_delay_alu instid0(VALU_DEP_2) | instskip(NEXT) | instid1(VALU_DEP_2)
	v_lshlrev_b32_e32 v183, 2, v183
	v_or_b32_e32 v23, v23, v182
	s_delay_alu instid0(VALU_DEP_1) | instskip(SKIP_1) | instid1(VALU_DEP_1)
	v_cmp_ne_u32_e32 vcc_lo, 0, v23
	v_and_b32_e32 v40, 3, v182
	v_or3_b32 v181, v183, v181, v40
	s_delay_alu instid0(VALU_DEP_1)
	v_cndmask_b32_e32 v23, 0, v181, vcc_lo
.LBB6_3714:                             ;   in Loop: Header=BB6_3059 Depth=2
	s_or_b32 exec_lo, exec_lo, s23
.LBB6_3715:                             ;   in Loop: Header=BB6_3059 Depth=2
	s_delay_alu instid0(SALU_CYCLE_1) | instskip(SKIP_3) | instid1(VALU_DEP_1)
	s_or_b32 exec_lo, exec_lo, s22
	v_lshrrev_b16 v182, 8, v24
	s_mov_b32 s7, 0
	s_mov_b32 s23, exec_lo
                                        ; implicit-def: $sgpr22
	v_cmpx_lt_i16_e64 0x7f, v182
	s_xor_b32 s23, exec_lo, s23
	s_cbranch_execnz .LBB6_4409
; %bb.3716:                             ;   in Loop: Header=BB6_3059 Depth=2
	s_or_saveexec_b32 s23, s23
	v_mov_b32_e32 v181, s22
	s_xor_b32 exec_lo, exec_lo, s23
	s_cbranch_execnz .LBB6_4412
.LBB6_3717:                             ;   in Loop: Header=BB6_3059 Depth=2
	s_or_b32 exec_lo, exec_lo, s23
	s_and_saveexec_b32 s22, s7
	s_cbranch_execz .LBB6_3719
.LBB6_3718:                             ;   in Loop: Header=BB6_3059 Depth=2
	v_and_b32_e32 v181, 0xffff, v182
	s_delay_alu instid0(VALU_DEP_1) | instskip(NEXT) | instid1(VALU_DEP_1)
	v_and_b32_e32 v183, 3, v181
	v_clz_i32_u32_e32 v40, v183
	s_delay_alu instid0(VALU_DEP_1) | instskip(NEXT) | instid1(VALU_DEP_1)
	v_min_u32_e32 v40, 32, v40
	v_subrev_nc_u32_e32 v41, 29, v40
	v_sub_nc_u32_e32 v40, 30, v40
	s_delay_alu instid0(VALU_DEP_2) | instskip(SKIP_1) | instid1(VALU_DEP_2)
	v_lshlrev_b32_e32 v41, v41, v181
	v_bfe_u32 v181, v181, 2, 5
	v_and_b32_e32 v41, 3, v41
	s_delay_alu instid0(VALU_DEP_2) | instskip(SKIP_1) | instid1(VALU_DEP_1)
	v_cmp_eq_u32_e32 vcc_lo, 0, v181
	v_dual_cndmask_b32 v181, v181, v40 :: v_dual_lshlrev_b32 v182, 24, v182
	v_dual_cndmask_b32 v183, v183, v41 :: v_dual_and_b32 v182, 0x80000000, v182
	s_delay_alu instid0(VALU_DEP_2) | instskip(NEXT) | instid1(VALU_DEP_2)
	v_lshl_add_u32 v181, v181, 23, 0x37800000
	v_lshlrev_b32_e32 v183, 21, v183
	s_delay_alu instid0(VALU_DEP_1)
	v_or3_b32 v181, v182, v181, v183
.LBB6_3719:                             ;   in Loop: Header=BB6_3059 Depth=2
	s_or_b32 exec_lo, exec_lo, s22
	v_lshrrev_b16 v182, 8, v20
	s_mov_b32 s7, 0
	s_mov_b32 s23, exec_lo
                                        ; implicit-def: $sgpr22
	s_delay_alu instid0(VALU_DEP_1)
	v_cmpx_lt_i16_e64 0x7f, v182
	s_xor_b32 s23, exec_lo, s23
	s_cbranch_execnz .LBB6_4413
; %bb.3720:                             ;   in Loop: Header=BB6_3059 Depth=2
	s_or_saveexec_b32 s23, s23
	v_mov_b32_e32 v183, s22
	s_xor_b32 exec_lo, exec_lo, s23
	s_cbranch_execnz .LBB6_4416
.LBB6_3721:                             ;   in Loop: Header=BB6_3059 Depth=2
	s_or_b32 exec_lo, exec_lo, s23
	s_and_saveexec_b32 s22, s7
	s_cbranch_execz .LBB6_3723
.LBB6_3722:                             ;   in Loop: Header=BB6_3059 Depth=2
	v_and_b32_e32 v183, 0xffff, v182
	v_lshlrev_b32_e32 v182, 24, v182
	s_delay_alu instid0(VALU_DEP_2) | instskip(NEXT) | instid1(VALU_DEP_2)
	v_and_b32_e32 v40, 3, v183
	v_and_b32_e32 v182, 0x80000000, v182
	s_delay_alu instid0(VALU_DEP_2) | instskip(NEXT) | instid1(VALU_DEP_1)
	v_clz_i32_u32_e32 v41, v40
	v_min_u32_e32 v41, 32, v41
	s_delay_alu instid0(VALU_DEP_1) | instskip(SKIP_1) | instid1(VALU_DEP_2)
	v_subrev_nc_u32_e32 v42, 29, v41
	v_sub_nc_u32_e32 v41, 30, v41
	v_lshlrev_b32_e32 v42, v42, v183
	v_bfe_u32 v183, v183, 2, 5
	s_delay_alu instid0(VALU_DEP_2) | instskip(NEXT) | instid1(VALU_DEP_2)
	v_and_b32_e32 v42, 3, v42
	v_cmp_eq_u32_e32 vcc_lo, 0, v183
	s_delay_alu instid0(VALU_DEP_2) | instskip(NEXT) | instid1(VALU_DEP_1)
	v_dual_cndmask_b32 v183, v183, v41 :: v_dual_cndmask_b32 v40, v40, v42
	v_lshl_add_u32 v183, v183, 23, 0x37800000
	s_delay_alu instid0(VALU_DEP_2) | instskip(NEXT) | instid1(VALU_DEP_1)
	v_lshlrev_b32_e32 v40, 21, v40
	v_or3_b32 v183, v182, v183, v40
.LBB6_3723:                             ;   in Loop: Header=BB6_3059 Depth=2
	s_or_b32 exec_lo, exec_lo, s22
	s_delay_alu instid0(VALU_DEP_1) | instskip(NEXT) | instid1(VALU_DEP_1)
	v_mul_f32_e32 v182, v181, v183
	v_and_b32_e32 v181, 0x7f800000, v182
	s_delay_alu instid0(VALU_DEP_1)
	v_cmp_ne_u32_e32 vcc_lo, 0x7f800000, v181
	v_mov_b32_e32 v181, 0x80
	s_and_saveexec_b32 s22, vcc_lo
	s_cbranch_execz .LBB6_3731
; %bb.3724:                             ;   in Loop: Header=BB6_3059 Depth=2
	v_mov_b32_e32 v181, 0
	s_mov_b32 s23, exec_lo
	v_cmpx_ne_u32_e32 0, v182
	s_cbranch_execz .LBB6_3730
; %bb.3725:                             ;   in Loop: Header=BB6_3059 Depth=2
	v_bfe_u32 v181, v182, 23, 8
	s_delay_alu instid0(VALU_DEP_1) | instskip(SKIP_1) | instid1(VALU_DEP_2)
	v_sub_nc_u32_e32 v40, 0x70, v181
	v_cmp_gt_u32_e32 vcc_lo, 0x71, v181
	v_dual_cndmask_b32 v40, 0, v40 :: v_dual_and_b32 v183, 0x7fffff, v182
	s_delay_alu instid0(VALU_DEP_1) | instskip(SKIP_2) | instid1(VALU_DEP_4)
	v_or_b32_e32 v41, 0x800000, v183
	v_cmp_eq_u32_e32 vcc_lo, 0, v181
	v_add_nc_u32_e32 v181, 0xffffff91, v181
	v_cndmask_b32_e64 v40, v40, 0x6f, vcc_lo
	s_delay_alu instid0(VALU_DEP_2) | instskip(SKIP_1) | instid1(VALU_DEP_3)
	v_cndmask_b32_e64 v181, v181, 0xffffff92, vcc_lo
	v_cndmask_b32_e32 v183, v41, v183, vcc_lo
	v_lshl_add_u32 v41, 0x200000, v40, -1
	v_lshlrev_b32_e64 v44, v40, 0x100000
	s_delay_alu instid0(VALU_DEP_3) | instskip(SKIP_1) | instid1(VALU_DEP_4)
	v_lshrrev_b32_e32 v42, v40, v183
	v_add_nc_u32_e32 v40, v40, v181
	v_and_b32_e32 v183, v41, v183
	s_delay_alu instid0(VALU_DEP_3) | instskip(NEXT) | instid1(VALU_DEP_2)
	v_bfe_u32 v43, v42, 21, 1
	v_cmp_eq_u32_e64 s7, v183, v44
	s_delay_alu instid0(VALU_DEP_2) | instskip(NEXT) | instid1(VALU_DEP_1)
	v_add_nc_u32_e32 v41, -1, v43
	v_cndmask_b32_e64 v183, 0, v41, s7
	v_lshrrev_b32_e32 v41, 23, v42
	s_mov_b32 s7, exec_lo
	s_delay_alu instid0(VALU_DEP_2) | instskip(NEXT) | instid1(VALU_DEP_2)
	v_add_nc_u32_e32 v183, v183, v42
	v_xor_b32_e32 v41, 1, v41
	s_delay_alu instid0(VALU_DEP_2) | instskip(NEXT) | instid1(VALU_DEP_1)
	v_and_b32_e32 v181, 0x1fffff, v183
	v_add_nc_u32_e32 v183, v181, v42
                                        ; implicit-def: $vgpr181
	s_delay_alu instid0(VALU_DEP_3)
	v_cmpx_ne_u32_e64 v40, v41
	s_xor_b32 s7, exec_lo, s7
; %bb.3726:                             ;   in Loop: Header=BB6_3059 Depth=2
	s_delay_alu instid0(VALU_DEP_2) | instskip(SKIP_2) | instid1(VALU_DEP_2)
	v_cmp_lt_u32_e32 vcc_lo, 0xffffff, v183
	v_sub_nc_u32_e32 v181, v40, v41
	v_cndmask_b32_e64 v40, 0, 1, vcc_lo
	v_add_co_ci_u32_e32 v181, vcc_lo, 0, v181, vcc_lo
	s_delay_alu instid0(VALU_DEP_2)
	v_lshrrev_b32_e32 v183, v40, v183
; %bb.3727:                             ;   in Loop: Header=BB6_3059 Depth=2
	s_and_not1_saveexec_b32 s7, s7
; %bb.3728:                             ;   in Loop: Header=BB6_3059 Depth=2
	s_delay_alu instid0(VALU_DEP_1)
	v_bfe_u32 v181, v183, 23, 1
; %bb.3729:                             ;   in Loop: Header=BB6_3059 Depth=2
	s_or_b32 exec_lo, exec_lo, s7
	v_lshrrev_b32_e32 v183, 21, v183
	s_delay_alu instid0(VALU_DEP_2) | instskip(SKIP_2) | instid1(VALU_DEP_2)
	v_cmp_gt_i32_e32 vcc_lo, 32, v181
	v_lshrrev_b32_e32 v182, 24, v182
	v_min_i32_e32 v40, 31, v181
	v_dual_cndmask_b32 v183, 3, v183 :: v_dual_and_b32 v182, 0x80, v182
	s_delay_alu instid0(VALU_DEP_1) | instskip(SKIP_1) | instid1(VALU_DEP_2)
	v_or_b32_e32 v181, v181, v183
	v_and_b32_e32 v41, 3, v183
	v_cmp_ne_u32_e32 vcc_lo, 0, v181
	v_lshlrev_b32_e32 v40, 2, v40
	s_delay_alu instid0(VALU_DEP_1) | instskip(NEXT) | instid1(VALU_DEP_1)
	v_or3_b32 v182, v40, v182, v41
	v_cndmask_b32_e32 v181, 0, v182, vcc_lo
.LBB6_3730:                             ;   in Loop: Header=BB6_3059 Depth=2
	s_or_b32 exec_lo, exec_lo, s23
.LBB6_3731:                             ;   in Loop: Header=BB6_3059 Depth=2
	s_delay_alu instid0(SALU_CYCLE_1) | instskip(SKIP_3) | instid1(VALU_DEP_1)
	s_or_b32 exec_lo, exec_lo, s22
	v_lshrrev_b32_e32 v183, 16, v24
	s_mov_b32 s7, 0
	s_mov_b32 s23, exec_lo
                                        ; implicit-def: $sgpr22
	v_and_b32_e32 v40, 0xff, v183
	s_delay_alu instid0(VALU_DEP_1)
	v_cmpx_lt_i16_e32 0x7f, v40
	s_xor_b32 s23, exec_lo, s23
	s_cbranch_execnz .LBB6_4417
; %bb.3732:                             ;   in Loop: Header=BB6_3059 Depth=2
	s_or_saveexec_b32 s23, s23
	v_mov_b32_e32 v182, s22
	s_xor_b32 exec_lo, exec_lo, s23
	s_cbranch_execnz .LBB6_4420
.LBB6_3733:                             ;   in Loop: Header=BB6_3059 Depth=2
	s_or_b32 exec_lo, exec_lo, s23
	s_and_saveexec_b32 s22, s7
	s_cbranch_execz .LBB6_3735
.LBB6_3734:                             ;   in Loop: Header=BB6_3059 Depth=2
	v_bfe_u32 v182, v24, 16, 2
	v_lshlrev_b32_e32 v42, 8, v24
	s_delay_alu instid0(VALU_DEP_2) | instskip(NEXT) | instid1(VALU_DEP_1)
	v_clz_i32_u32_e32 v40, v182
	v_min_u32_e32 v40, 32, v40
	s_delay_alu instid0(VALU_DEP_1) | instskip(SKIP_1) | instid1(VALU_DEP_2)
	v_subrev_nc_u32_e32 v41, 29, v40
	v_sub_nc_u32_e32 v40, 30, v40
	v_lshlrev_b32_e32 v183, v41, v183
	v_bfe_u32 v41, v24, 18, 5
	s_delay_alu instid0(VALU_DEP_1) | instskip(NEXT) | instid1(VALU_DEP_3)
	v_cmp_eq_u32_e32 vcc_lo, 0, v41
	v_dual_cndmask_b32 v40, v41, v40 :: v_dual_and_b32 v183, 3, v183
	s_delay_alu instid0(VALU_DEP_1) | instskip(NEXT) | instid1(VALU_DEP_2)
	v_dual_cndmask_b32 v182, v182, v183 :: v_dual_and_b32 v183, 0x80000000, v42
	v_lshl_add_u32 v40, v40, 23, 0x37800000
	s_delay_alu instid0(VALU_DEP_2) | instskip(NEXT) | instid1(VALU_DEP_1)
	v_lshlrev_b32_e32 v182, 21, v182
	v_or3_b32 v182, v183, v40, v182
.LBB6_3735:                             ;   in Loop: Header=BB6_3059 Depth=2
	s_or_b32 exec_lo, exec_lo, s22
	v_lshrrev_b32_e32 v183, 16, v20
	s_mov_b32 s7, 0
	s_mov_b32 s23, exec_lo
                                        ; implicit-def: $sgpr22
	s_delay_alu instid0(VALU_DEP_1) | instskip(NEXT) | instid1(VALU_DEP_1)
	v_and_b32_e32 v41, 0xff, v183
	v_cmpx_lt_i16_e32 0x7f, v41
	s_xor_b32 s23, exec_lo, s23
	s_cbranch_execnz .LBB6_4421
; %bb.3736:                             ;   in Loop: Header=BB6_3059 Depth=2
	s_or_saveexec_b32 s23, s23
	v_mov_b32_e32 v40, s22
	s_xor_b32 exec_lo, exec_lo, s23
	s_cbranch_execnz .LBB6_4424
.LBB6_3737:                             ;   in Loop: Header=BB6_3059 Depth=2
	s_or_b32 exec_lo, exec_lo, s23
	s_and_saveexec_b32 s22, s7
	s_cbranch_execz .LBB6_3739
.LBB6_3738:                             ;   in Loop: Header=BB6_3059 Depth=2
	v_bfe_u32 v40, v20, 16, 2
	v_lshlrev_b32_e32 v43, 8, v20
	s_delay_alu instid0(VALU_DEP_2) | instskip(NEXT) | instid1(VALU_DEP_1)
	v_clz_i32_u32_e32 v41, v40
	v_min_u32_e32 v41, 32, v41
	s_delay_alu instid0(VALU_DEP_1) | instskip(SKIP_1) | instid1(VALU_DEP_2)
	v_subrev_nc_u32_e32 v42, 29, v41
	v_sub_nc_u32_e32 v41, 30, v41
	v_lshlrev_b32_e32 v183, v42, v183
	v_bfe_u32 v42, v20, 18, 5
	s_delay_alu instid0(VALU_DEP_2) | instskip(NEXT) | instid1(VALU_DEP_2)
	v_and_b32_e32 v183, 3, v183
	v_cmp_eq_u32_e32 vcc_lo, 0, v42
	v_cndmask_b32_e32 v41, v42, v41, vcc_lo
	s_delay_alu instid0(VALU_DEP_3) | instskip(SKIP_1) | instid1(VALU_DEP_3)
	v_cndmask_b32_e32 v183, v40, v183, vcc_lo
	v_and_b32_e32 v40, 0x80000000, v43
	v_lshl_add_u32 v41, v41, 23, 0x37800000
	s_delay_alu instid0(VALU_DEP_3) | instskip(NEXT) | instid1(VALU_DEP_1)
	v_lshlrev_b32_e32 v183, 21, v183
	v_or3_b32 v40, v40, v41, v183
.LBB6_3739:                             ;   in Loop: Header=BB6_3059 Depth=2
	s_or_b32 exec_lo, exec_lo, s22
	s_delay_alu instid0(VALU_DEP_1) | instskip(NEXT) | instid1(VALU_DEP_1)
	v_mul_f32_e32 v183, v182, v40
	v_and_b32_e32 v182, 0x7f800000, v183
	s_delay_alu instid0(VALU_DEP_1)
	v_cmp_ne_u32_e32 vcc_lo, 0x7f800000, v182
	v_mov_b32_e32 v182, 0x80
	s_and_saveexec_b32 s22, vcc_lo
	s_cbranch_execz .LBB6_3747
; %bb.3740:                             ;   in Loop: Header=BB6_3059 Depth=2
	v_mov_b32_e32 v182, 0
	s_mov_b32 s23, exec_lo
	v_cmpx_ne_u32_e32 0, v183
	s_cbranch_execz .LBB6_3746
; %bb.3741:                             ;   in Loop: Header=BB6_3059 Depth=2
	v_bfe_u32 v182, v183, 23, 8
	s_delay_alu instid0(VALU_DEP_1) | instskip(SKIP_1) | instid1(VALU_DEP_2)
	v_sub_nc_u32_e32 v41, 0x70, v182
	v_cmp_gt_u32_e32 vcc_lo, 0x71, v182
	v_dual_cndmask_b32 v41, 0, v41 :: v_dual_and_b32 v40, 0x7fffff, v183
	s_delay_alu instid0(VALU_DEP_1) | instskip(SKIP_2) | instid1(VALU_DEP_4)
	v_or_b32_e32 v42, 0x800000, v40
	v_cmp_eq_u32_e32 vcc_lo, 0, v182
	v_add_nc_u32_e32 v182, 0xffffff91, v182
	v_cndmask_b32_e64 v41, v41, 0x6f, vcc_lo
	s_delay_alu instid0(VALU_DEP_2) | instskip(SKIP_1) | instid1(VALU_DEP_3)
	v_cndmask_b32_e64 v182, v182, 0xffffff92, vcc_lo
	v_cndmask_b32_e32 v40, v42, v40, vcc_lo
	v_lshl_add_u32 v42, 0x200000, v41, -1
	v_lshlrev_b32_e64 v45, v41, 0x100000
	s_delay_alu instid0(VALU_DEP_3) | instskip(SKIP_1) | instid1(VALU_DEP_4)
	v_lshrrev_b32_e32 v43, v41, v40
	v_add_nc_u32_e32 v41, v41, v182
	v_and_b32_e32 v40, v42, v40
	s_delay_alu instid0(VALU_DEP_3) | instskip(NEXT) | instid1(VALU_DEP_2)
	v_bfe_u32 v44, v43, 21, 1
	v_cmp_eq_u32_e64 s7, v40, v45
	s_delay_alu instid0(VALU_DEP_2) | instskip(NEXT) | instid1(VALU_DEP_1)
	v_add_nc_u32_e32 v42, -1, v44
	v_cndmask_b32_e64 v40, 0, v42, s7
	v_lshrrev_b32_e32 v42, 23, v43
	s_mov_b32 s7, exec_lo
	s_delay_alu instid0(VALU_DEP_2) | instskip(NEXT) | instid1(VALU_DEP_2)
	v_add_nc_u32_e32 v40, v40, v43
	v_xor_b32_e32 v42, 1, v42
	s_delay_alu instid0(VALU_DEP_2) | instskip(NEXT) | instid1(VALU_DEP_1)
	v_and_b32_e32 v182, 0x1fffff, v40
	v_add_nc_u32_e32 v40, v182, v43
                                        ; implicit-def: $vgpr182
	s_delay_alu instid0(VALU_DEP_3)
	v_cmpx_ne_u32_e64 v41, v42
	s_xor_b32 s7, exec_lo, s7
; %bb.3742:                             ;   in Loop: Header=BB6_3059 Depth=2
	s_delay_alu instid0(VALU_DEP_2) | instskip(SKIP_2) | instid1(VALU_DEP_2)
	v_cmp_lt_u32_e32 vcc_lo, 0xffffff, v40
	v_sub_nc_u32_e32 v182, v41, v42
	v_cndmask_b32_e64 v41, 0, 1, vcc_lo
	v_add_co_ci_u32_e32 v182, vcc_lo, 0, v182, vcc_lo
	s_delay_alu instid0(VALU_DEP_2)
	v_lshrrev_b32_e32 v40, v41, v40
; %bb.3743:                             ;   in Loop: Header=BB6_3059 Depth=2
	s_and_not1_saveexec_b32 s7, s7
; %bb.3744:                             ;   in Loop: Header=BB6_3059 Depth=2
	s_delay_alu instid0(VALU_DEP_1)
	v_bfe_u32 v182, v40, 23, 1
; %bb.3745:                             ;   in Loop: Header=BB6_3059 Depth=2
	s_or_b32 exec_lo, exec_lo, s7
	v_lshrrev_b32_e32 v40, 21, v40
	s_delay_alu instid0(VALU_DEP_2) | instskip(SKIP_2) | instid1(VALU_DEP_2)
	v_cmp_gt_i32_e32 vcc_lo, 32, v182
	v_lshrrev_b32_e32 v183, 24, v183
	v_min_i32_e32 v41, 31, v182
	v_dual_cndmask_b32 v40, 3, v40 :: v_dual_and_b32 v183, 0x80, v183
	s_delay_alu instid0(VALU_DEP_1) | instskip(SKIP_1) | instid1(VALU_DEP_2)
	v_or_b32_e32 v182, v182, v40
	v_and_b32_e32 v42, 3, v40
	v_cmp_ne_u32_e32 vcc_lo, 0, v182
	v_lshlrev_b32_e32 v41, 2, v41
	s_delay_alu instid0(VALU_DEP_1) | instskip(NEXT) | instid1(VALU_DEP_1)
	v_or3_b32 v183, v41, v183, v42
	v_cndmask_b32_e32 v182, 0, v183, vcc_lo
.LBB6_3746:                             ;   in Loop: Header=BB6_3059 Depth=2
	s_or_b32 exec_lo, exec_lo, s23
.LBB6_3747:                             ;   in Loop: Header=BB6_3059 Depth=2
	s_delay_alu instid0(SALU_CYCLE_1) | instskip(SKIP_3) | instid1(VALU_DEP_1)
	s_or_b32 exec_lo, exec_lo, s22
	v_lshrrev_b32_e32 v40, 24, v24
	s_mov_b32 s7, 0
	s_mov_b32 s23, exec_lo
                                        ; implicit-def: $sgpr22
	v_cmpx_lt_i16_e32 0x7f, v40
	s_xor_b32 s23, exec_lo, s23
	s_cbranch_execnz .LBB6_4425
; %bb.3748:                             ;   in Loop: Header=BB6_3059 Depth=2
	s_or_saveexec_b32 s23, s23
	v_mov_b32_e32 v183, s22
	s_xor_b32 exec_lo, exec_lo, s23
	s_cbranch_execnz .LBB6_4428
.LBB6_3749:                             ;   in Loop: Header=BB6_3059 Depth=2
	s_or_b32 exec_lo, exec_lo, s23
	s_and_saveexec_b32 s22, s7
	s_cbranch_execz .LBB6_3751
.LBB6_3750:                             ;   in Loop: Header=BB6_3059 Depth=2
	v_bfe_u32 v183, v24, 24, 2
	s_delay_alu instid0(VALU_DEP_1) | instskip(NEXT) | instid1(VALU_DEP_1)
	v_clz_i32_u32_e32 v41, v183
	v_min_u32_e32 v41, 32, v41
	s_delay_alu instid0(VALU_DEP_1) | instskip(SKIP_1) | instid1(VALU_DEP_2)
	v_subrev_nc_u32_e32 v42, 29, v41
	v_sub_nc_u32_e32 v41, 30, v41
	v_lshlrev_b32_e32 v40, v42, v40
	v_bfe_u32 v42, v24, 26, 5
	v_and_b32_e32 v24, 0x80000000, v24
	s_delay_alu instid0(VALU_DEP_2) | instskip(NEXT) | instid1(VALU_DEP_4)
	v_cmp_eq_u32_e32 vcc_lo, 0, v42
	v_dual_cndmask_b32 v41, v42, v41 :: v_dual_and_b32 v40, 3, v40
	s_delay_alu instid0(VALU_DEP_1) | instskip(NEXT) | instid1(VALU_DEP_2)
	v_cndmask_b32_e32 v183, v183, v40, vcc_lo
	v_lshl_add_u32 v40, v41, 23, 0x37800000
	s_delay_alu instid0(VALU_DEP_2) | instskip(NEXT) | instid1(VALU_DEP_1)
	v_lshlrev_b32_e32 v183, 21, v183
	v_or3_b32 v183, v24, v40, v183
.LBB6_3751:                             ;   in Loop: Header=BB6_3059 Depth=2
	s_or_b32 exec_lo, exec_lo, s22
	v_lshrrev_b32_e32 v24, 24, v20
	s_mov_b32 s7, 0
	s_mov_b32 s23, exec_lo
                                        ; implicit-def: $sgpr22
	s_delay_alu instid0(VALU_DEP_1)
	v_cmpx_lt_i16_e32 0x7f, v24
	s_xor_b32 s23, exec_lo, s23
	s_cbranch_execnz .LBB6_4429
; %bb.3752:                             ;   in Loop: Header=BB6_3059 Depth=2
	s_or_saveexec_b32 s23, s23
	v_mov_b32_e32 v40, s22
	s_xor_b32 exec_lo, exec_lo, s23
	s_cbranch_execnz .LBB6_4432
.LBB6_3753:                             ;   in Loop: Header=BB6_3059 Depth=2
	s_or_b32 exec_lo, exec_lo, s23
	s_and_saveexec_b32 s22, s7
	s_cbranch_execz .LBB6_3755
.LBB6_3754:                             ;   in Loop: Header=BB6_3059 Depth=2
	v_bfe_u32 v40, v20, 24, 2
	s_delay_alu instid0(VALU_DEP_1) | instskip(NEXT) | instid1(VALU_DEP_1)
	v_clz_i32_u32_e32 v41, v40
	v_min_u32_e32 v41, 32, v41
	s_delay_alu instid0(VALU_DEP_1) | instskip(SKIP_1) | instid1(VALU_DEP_2)
	v_subrev_nc_u32_e32 v42, 29, v41
	v_sub_nc_u32_e32 v41, 30, v41
	v_lshlrev_b32_e32 v24, v42, v24
	v_bfe_u32 v42, v20, 26, 5
	v_and_b32_e32 v20, 0x80000000, v20
	s_delay_alu instid0(VALU_DEP_2) | instskip(NEXT) | instid1(VALU_DEP_4)
	v_cmp_eq_u32_e32 vcc_lo, 0, v42
	v_dual_cndmask_b32 v41, v42, v41 :: v_dual_and_b32 v24, 3, v24
	s_delay_alu instid0(VALU_DEP_1) | instskip(NEXT) | instid1(VALU_DEP_2)
	v_cndmask_b32_e32 v24, v40, v24, vcc_lo
	v_lshl_add_u32 v40, v41, 23, 0x37800000
	s_delay_alu instid0(VALU_DEP_2) | instskip(NEXT) | instid1(VALU_DEP_1)
	v_lshlrev_b32_e32 v24, 21, v24
	v_or3_b32 v40, v20, v40, v24
.LBB6_3755:                             ;   in Loop: Header=BB6_3059 Depth=2
	s_or_b32 exec_lo, exec_lo, s22
	s_delay_alu instid0(VALU_DEP_1) | instskip(NEXT) | instid1(VALU_DEP_1)
	v_mul_f32_e32 v24, v183, v40
	v_and_b32_e32 v20, 0x7f800000, v24
	s_delay_alu instid0(VALU_DEP_1)
	v_cmp_ne_u32_e32 vcc_lo, 0x7f800000, v20
	v_mov_b32_e32 v20, 0x80
	s_and_saveexec_b32 s22, vcc_lo
	s_cbranch_execz .LBB6_3763
; %bb.3756:                             ;   in Loop: Header=BB6_3059 Depth=2
	v_mov_b32_e32 v20, 0
	s_mov_b32 s23, exec_lo
	v_cmpx_ne_u32_e32 0, v24
	s_cbranch_execz .LBB6_3762
; %bb.3757:                             ;   in Loop: Header=BB6_3059 Depth=2
	v_bfe_u32 v20, v24, 23, 8
	v_and_b32_e32 v183, 0x7fffff, v24
	s_delay_alu instid0(VALU_DEP_2) | instskip(SKIP_1) | instid1(VALU_DEP_3)
	v_sub_nc_u32_e32 v40, 0x70, v20
	v_cmp_gt_u32_e32 vcc_lo, 0x71, v20
	v_or_b32_e32 v41, 0x800000, v183
	s_delay_alu instid0(VALU_DEP_3) | instskip(SKIP_1) | instid1(VALU_DEP_3)
	v_cndmask_b32_e32 v40, 0, v40, vcc_lo
	v_cmp_eq_u32_e32 vcc_lo, 0, v20
	v_dual_cndmask_b32 v183, v41, v183 :: v_dual_add_nc_u32 v20, 0xffffff91, v20
	s_delay_alu instid0(VALU_DEP_3) | instskip(NEXT) | instid1(VALU_DEP_2)
	v_cndmask_b32_e64 v40, v40, 0x6f, vcc_lo
	v_cndmask_b32_e64 v20, v20, 0xffffff92, vcc_lo
	s_delay_alu instid0(VALU_DEP_2) | instskip(SKIP_2) | instid1(VALU_DEP_4)
	v_lshrrev_b32_e32 v42, v40, v183
	v_lshl_add_u32 v41, 0x200000, v40, -1
	v_lshlrev_b32_e64 v44, v40, 0x100000
	v_add_nc_u32_e32 v40, v40, v20
	s_delay_alu instid0(VALU_DEP_4) | instskip(NEXT) | instid1(VALU_DEP_4)
	v_bfe_u32 v43, v42, 21, 1
	v_and_b32_e32 v183, v41, v183
	s_delay_alu instid0(VALU_DEP_2) | instskip(NEXT) | instid1(VALU_DEP_2)
	v_add_nc_u32_e32 v41, -1, v43
	v_cmp_eq_u32_e64 s7, v183, v44
	s_delay_alu instid0(VALU_DEP_1) | instskip(SKIP_2) | instid1(VALU_DEP_2)
	v_cndmask_b32_e64 v183, 0, v41, s7
	v_lshrrev_b32_e32 v41, 23, v42
	s_mov_b32 s7, exec_lo
	v_add_nc_u32_e32 v183, v183, v42
	s_delay_alu instid0(VALU_DEP_2) | instskip(NEXT) | instid1(VALU_DEP_2)
	v_xor_b32_e32 v41, 1, v41
	v_and_b32_e32 v20, 0x1fffff, v183
	s_delay_alu instid0(VALU_DEP_1) | instskip(NEXT) | instid1(VALU_DEP_3)
	v_add_nc_u32_e32 v183, v20, v42
                                        ; implicit-def: $vgpr20
	v_cmpx_ne_u32_e64 v40, v41
	s_xor_b32 s7, exec_lo, s7
; %bb.3758:                             ;   in Loop: Header=BB6_3059 Depth=2
	s_delay_alu instid0(VALU_DEP_2) | instskip(SKIP_2) | instid1(VALU_DEP_2)
	v_cmp_lt_u32_e32 vcc_lo, 0xffffff, v183
	v_sub_nc_u32_e32 v20, v40, v41
	v_cndmask_b32_e64 v40, 0, 1, vcc_lo
	v_add_co_ci_u32_e32 v20, vcc_lo, 0, v20, vcc_lo
	s_delay_alu instid0(VALU_DEP_2)
	v_lshrrev_b32_e32 v183, v40, v183
; %bb.3759:                             ;   in Loop: Header=BB6_3059 Depth=2
	s_and_not1_saveexec_b32 s7, s7
; %bb.3760:                             ;   in Loop: Header=BB6_3059 Depth=2
	s_delay_alu instid0(VALU_DEP_1)
	v_bfe_u32 v20, v183, 23, 1
; %bb.3761:                             ;   in Loop: Header=BB6_3059 Depth=2
	s_or_b32 exec_lo, exec_lo, s7
	v_lshrrev_b32_e32 v183, 21, v183
	s_delay_alu instid0(VALU_DEP_2) | instskip(SKIP_2) | instid1(VALU_DEP_2)
	v_cmp_gt_i32_e32 vcc_lo, 32, v20
	v_lshrrev_b32_e32 v24, 24, v24
	v_min_i32_e32 v40, 31, v20
	v_dual_cndmask_b32 v183, 3, v183 :: v_dual_and_b32 v24, 0x80, v24
	s_delay_alu instid0(VALU_DEP_2) | instskip(NEXT) | instid1(VALU_DEP_2)
	v_lshlrev_b32_e32 v40, 2, v40
	v_or_b32_e32 v20, v20, v183
	s_delay_alu instid0(VALU_DEP_1) | instskip(SKIP_1) | instid1(VALU_DEP_1)
	v_cmp_ne_u32_e32 vcc_lo, 0, v20
	v_and_b32_e32 v41, 3, v183
	v_or3_b32 v24, v40, v24, v41
	s_delay_alu instid0(VALU_DEP_1)
	v_cndmask_b32_e32 v20, 0, v24, vcc_lo
.LBB6_3762:                             ;   in Loop: Header=BB6_3059 Depth=2
	s_or_b32 exec_lo, exec_lo, s23
.LBB6_3763:                             ;   in Loop: Header=BB6_3059 Depth=2
	s_delay_alu instid0(SALU_CYCLE_1) | instskip(SKIP_3) | instid1(VALU_DEP_1)
	s_or_b32 exec_lo, exec_lo, s22
	v_and_b32_e32 v183, 0xff, v25
	s_mov_b32 s7, 0
	s_mov_b32 s23, exec_lo
                                        ; implicit-def: $sgpr22
	v_cmpx_lt_i16_e64 0x7f, v183
	s_xor_b32 s23, exec_lo, s23
	s_cbranch_execnz .LBB6_4433
; %bb.3764:                             ;   in Loop: Header=BB6_3059 Depth=2
	s_or_saveexec_b32 s23, s23
	v_mov_b32_e32 v24, s22
	s_xor_b32 exec_lo, exec_lo, s23
	s_cbranch_execnz .LBB6_4436
.LBB6_3765:                             ;   in Loop: Header=BB6_3059 Depth=2
	s_or_b32 exec_lo, exec_lo, s23
	s_and_saveexec_b32 s22, s7
	s_cbranch_execz .LBB6_3767
.LBB6_3766:                             ;   in Loop: Header=BB6_3059 Depth=2
	v_bfe_u32 v41, v25, 2, 5
	v_lshlrev_b32_e32 v42, 24, v25
	s_delay_alu instid0(VALU_DEP_2) | instskip(SKIP_1) | instid1(VALU_DEP_1)
	v_cmp_eq_u32_e32 vcc_lo, 0, v41
	v_and_b32_e32 v24, 3, v25
	v_clz_i32_u32_e32 v183, v24
	s_delay_alu instid0(VALU_DEP_1) | instskip(NEXT) | instid1(VALU_DEP_1)
	v_min_u32_e32 v183, 32, v183
	v_subrev_nc_u32_e32 v40, 29, v183
	v_sub_nc_u32_e32 v183, 30, v183
	s_delay_alu instid0(VALU_DEP_1) | instskip(NEXT) | instid1(VALU_DEP_1)
	v_dual_cndmask_b32 v183, v41, v183 :: v_dual_lshlrev_b32 v40, v40, v25
	v_and_b32_e32 v40, 3, v40
	s_delay_alu instid0(VALU_DEP_2) | instskip(NEXT) | instid1(VALU_DEP_2)
	v_lshl_add_u32 v183, v183, 23, 0x37800000
	v_cndmask_b32_e32 v24, v24, v40, vcc_lo
	v_and_b32_e32 v40, 0x80000000, v42
	s_delay_alu instid0(VALU_DEP_2) | instskip(NEXT) | instid1(VALU_DEP_1)
	v_lshlrev_b32_e32 v24, 21, v24
	v_or3_b32 v24, v40, v183, v24
.LBB6_3767:                             ;   in Loop: Header=BB6_3059 Depth=2
	s_or_b32 exec_lo, exec_lo, s22
	v_and_b32_e32 v40, 0xff, v21
	s_mov_b32 s7, 0
	s_mov_b32 s23, exec_lo
                                        ; implicit-def: $sgpr22
	s_delay_alu instid0(VALU_DEP_1)
	v_cmpx_lt_i16_e32 0x7f, v40
	s_xor_b32 s23, exec_lo, s23
	s_cbranch_execnz .LBB6_4437
; %bb.3768:                             ;   in Loop: Header=BB6_3059 Depth=2
	s_or_saveexec_b32 s23, s23
	v_mov_b32_e32 v183, s22
	s_xor_b32 exec_lo, exec_lo, s23
	s_cbranch_execnz .LBB6_4440
.LBB6_3769:                             ;   in Loop: Header=BB6_3059 Depth=2
	s_or_b32 exec_lo, exec_lo, s23
	s_and_saveexec_b32 s22, s7
	s_cbranch_execz .LBB6_3771
.LBB6_3770:                             ;   in Loop: Header=BB6_3059 Depth=2
	v_bfe_u32 v42, v21, 2, 5
	v_lshlrev_b32_e32 v43, 24, v21
	s_delay_alu instid0(VALU_DEP_2) | instskip(SKIP_1) | instid1(VALU_DEP_1)
	v_cmp_eq_u32_e32 vcc_lo, 0, v42
	v_and_b32_e32 v183, 3, v21
	v_clz_i32_u32_e32 v40, v183
	s_delay_alu instid0(VALU_DEP_1) | instskip(NEXT) | instid1(VALU_DEP_1)
	v_min_u32_e32 v40, 32, v40
	v_subrev_nc_u32_e32 v41, 29, v40
	v_sub_nc_u32_e32 v40, 30, v40
	s_delay_alu instid0(VALU_DEP_1) | instskip(NEXT) | instid1(VALU_DEP_1)
	v_dual_cndmask_b32 v40, v42, v40 :: v_dual_lshlrev_b32 v41, v41, v21
	v_and_b32_e32 v41, 3, v41
	s_delay_alu instid0(VALU_DEP_2) | instskip(NEXT) | instid1(VALU_DEP_2)
	v_lshl_add_u32 v40, v40, 23, 0x37800000
	v_cndmask_b32_e32 v183, v183, v41, vcc_lo
	v_and_b32_e32 v41, 0x80000000, v43
	s_delay_alu instid0(VALU_DEP_2) | instskip(NEXT) | instid1(VALU_DEP_1)
	v_lshlrev_b32_e32 v183, 21, v183
	v_or3_b32 v183, v41, v40, v183
.LBB6_3771:                             ;   in Loop: Header=BB6_3059 Depth=2
	s_or_b32 exec_lo, exec_lo, s22
	s_delay_alu instid0(VALU_DEP_1) | instskip(NEXT) | instid1(VALU_DEP_1)
	v_mul_f32_e32 v183, v24, v183
	v_and_b32_e32 v24, 0x7f800000, v183
	s_delay_alu instid0(VALU_DEP_1)
	v_cmp_ne_u32_e32 vcc_lo, 0x7f800000, v24
	v_mov_b32_e32 v24, 0x80
	s_and_saveexec_b32 s22, vcc_lo
	s_cbranch_execz .LBB6_3779
; %bb.3772:                             ;   in Loop: Header=BB6_3059 Depth=2
	v_mov_b32_e32 v24, 0
	s_mov_b32 s23, exec_lo
	v_cmpx_ne_u32_e32 0, v183
	s_cbranch_execz .LBB6_3778
; %bb.3773:                             ;   in Loop: Header=BB6_3059 Depth=2
	v_bfe_u32 v24, v183, 23, 8
	s_delay_alu instid0(VALU_DEP_1) | instskip(SKIP_1) | instid1(VALU_DEP_2)
	v_sub_nc_u32_e32 v41, 0x70, v24
	v_cmp_gt_u32_e32 vcc_lo, 0x71, v24
	v_dual_cndmask_b32 v41, 0, v41 :: v_dual_and_b32 v40, 0x7fffff, v183
	s_delay_alu instid0(VALU_DEP_1) | instskip(SKIP_2) | instid1(VALU_DEP_4)
	v_or_b32_e32 v42, 0x800000, v40
	v_cmp_eq_u32_e32 vcc_lo, 0, v24
	v_add_nc_u32_e32 v24, 0xffffff91, v24
	v_cndmask_b32_e64 v41, v41, 0x6f, vcc_lo
	s_delay_alu instid0(VALU_DEP_4) | instskip(NEXT) | instid1(VALU_DEP_3)
	v_cndmask_b32_e32 v40, v42, v40, vcc_lo
	v_cndmask_b32_e64 v24, v24, 0xffffff92, vcc_lo
	s_delay_alu instid0(VALU_DEP_3) | instskip(NEXT) | instid1(VALU_DEP_3)
	v_lshl_add_u32 v42, 0x200000, v41, -1
	v_lshrrev_b32_e32 v43, v41, v40
	v_lshlrev_b32_e64 v45, v41, 0x100000
	s_delay_alu instid0(VALU_DEP_4) | instskip(NEXT) | instid1(VALU_DEP_4)
	v_add_nc_u32_e32 v41, v41, v24
	v_and_b32_e32 v40, v42, v40
	s_delay_alu instid0(VALU_DEP_4) | instskip(NEXT) | instid1(VALU_DEP_2)
	v_bfe_u32 v44, v43, 21, 1
	v_cmp_eq_u32_e64 s7, v40, v45
	s_delay_alu instid0(VALU_DEP_2) | instskip(NEXT) | instid1(VALU_DEP_1)
	v_add_nc_u32_e32 v42, -1, v44
	v_cndmask_b32_e64 v40, 0, v42, s7
	v_lshrrev_b32_e32 v42, 23, v43
	s_mov_b32 s7, exec_lo
	s_delay_alu instid0(VALU_DEP_2) | instskip(NEXT) | instid1(VALU_DEP_2)
	v_add_nc_u32_e32 v40, v40, v43
	v_xor_b32_e32 v42, 1, v42
	s_delay_alu instid0(VALU_DEP_2) | instskip(NEXT) | instid1(VALU_DEP_1)
	v_and_b32_e32 v24, 0x1fffff, v40
	v_add_nc_u32_e32 v40, v24, v43
                                        ; implicit-def: $vgpr24
	s_delay_alu instid0(VALU_DEP_3)
	v_cmpx_ne_u32_e64 v41, v42
	s_xor_b32 s7, exec_lo, s7
; %bb.3774:                             ;   in Loop: Header=BB6_3059 Depth=2
	s_delay_alu instid0(VALU_DEP_2) | instskip(SKIP_2) | instid1(VALU_DEP_2)
	v_cmp_lt_u32_e32 vcc_lo, 0xffffff, v40
	v_sub_nc_u32_e32 v24, v41, v42
	v_cndmask_b32_e64 v41, 0, 1, vcc_lo
	v_add_co_ci_u32_e32 v24, vcc_lo, 0, v24, vcc_lo
	s_delay_alu instid0(VALU_DEP_2)
	v_lshrrev_b32_e32 v40, v41, v40
; %bb.3775:                             ;   in Loop: Header=BB6_3059 Depth=2
	s_and_not1_saveexec_b32 s7, s7
; %bb.3776:                             ;   in Loop: Header=BB6_3059 Depth=2
	s_delay_alu instid0(VALU_DEP_1)
	v_bfe_u32 v24, v40, 23, 1
; %bb.3777:                             ;   in Loop: Header=BB6_3059 Depth=2
	s_or_b32 exec_lo, exec_lo, s7
	v_lshrrev_b32_e32 v40, 21, v40
	s_delay_alu instid0(VALU_DEP_2) | instskip(SKIP_2) | instid1(VALU_DEP_2)
	v_cmp_gt_i32_e32 vcc_lo, 32, v24
	v_lshrrev_b32_e32 v183, 24, v183
	v_min_i32_e32 v41, 31, v24
	v_dual_cndmask_b32 v40, 3, v40 :: v_dual_and_b32 v183, 0x80, v183
	s_delay_alu instid0(VALU_DEP_1) | instskip(SKIP_1) | instid1(VALU_DEP_2)
	v_or_b32_e32 v24, v24, v40
	v_and_b32_e32 v42, 3, v40
	v_cmp_ne_u32_e32 vcc_lo, 0, v24
	v_lshlrev_b32_e32 v41, 2, v41
	s_delay_alu instid0(VALU_DEP_1) | instskip(NEXT) | instid1(VALU_DEP_1)
	v_or3_b32 v183, v41, v183, v42
	v_cndmask_b32_e32 v24, 0, v183, vcc_lo
.LBB6_3778:                             ;   in Loop: Header=BB6_3059 Depth=2
	s_or_b32 exec_lo, exec_lo, s23
.LBB6_3779:                             ;   in Loop: Header=BB6_3059 Depth=2
	s_delay_alu instid0(SALU_CYCLE_1) | instskip(SKIP_3) | instid1(VALU_DEP_1)
	s_or_b32 exec_lo, exec_lo, s22
	v_lshrrev_b16 v40, 8, v25
	s_mov_b32 s7, 0
	s_mov_b32 s23, exec_lo
                                        ; implicit-def: $sgpr22
	v_cmpx_lt_i16_e32 0x7f, v40
	s_xor_b32 s23, exec_lo, s23
	s_cbranch_execnz .LBB6_4441
; %bb.3780:                             ;   in Loop: Header=BB6_3059 Depth=2
	s_or_saveexec_b32 s23, s23
	v_mov_b32_e32 v183, s22
	s_xor_b32 exec_lo, exec_lo, s23
	s_cbranch_execnz .LBB6_4444
.LBB6_3781:                             ;   in Loop: Header=BB6_3059 Depth=2
	s_or_b32 exec_lo, exec_lo, s23
	s_and_saveexec_b32 s22, s7
	s_cbranch_execz .LBB6_3783
.LBB6_3782:                             ;   in Loop: Header=BB6_3059 Depth=2
	v_and_b32_e32 v183, 0xffff, v40
	s_delay_alu instid0(VALU_DEP_1) | instskip(NEXT) | instid1(VALU_DEP_1)
	v_and_b32_e32 v41, 3, v183
	v_clz_i32_u32_e32 v42, v41
	s_delay_alu instid0(VALU_DEP_1) | instskip(NEXT) | instid1(VALU_DEP_1)
	v_min_u32_e32 v42, 32, v42
	v_subrev_nc_u32_e32 v43, 29, v42
	v_sub_nc_u32_e32 v42, 30, v42
	s_delay_alu instid0(VALU_DEP_2) | instskip(SKIP_1) | instid1(VALU_DEP_2)
	v_lshlrev_b32_e32 v43, v43, v183
	v_bfe_u32 v183, v183, 2, 5
	v_and_b32_e32 v43, 3, v43
	s_delay_alu instid0(VALU_DEP_2) | instskip(SKIP_1) | instid1(VALU_DEP_1)
	v_cmp_eq_u32_e32 vcc_lo, 0, v183
	v_dual_cndmask_b32 v183, v183, v42 :: v_dual_lshlrev_b32 v40, 24, v40
	v_dual_cndmask_b32 v41, v41, v43 :: v_dual_and_b32 v40, 0x80000000, v40
	s_delay_alu instid0(VALU_DEP_2) | instskip(NEXT) | instid1(VALU_DEP_2)
	v_lshl_add_u32 v183, v183, 23, 0x37800000
	v_lshlrev_b32_e32 v41, 21, v41
	s_delay_alu instid0(VALU_DEP_1)
	v_or3_b32 v183, v40, v183, v41
.LBB6_3783:                             ;   in Loop: Header=BB6_3059 Depth=2
	s_or_b32 exec_lo, exec_lo, s22
	v_lshrrev_b16 v40, 8, v21
	s_mov_b32 s7, 0
	s_mov_b32 s23, exec_lo
                                        ; implicit-def: $sgpr22
	s_delay_alu instid0(VALU_DEP_1)
	v_cmpx_lt_i16_e32 0x7f, v40
	s_xor_b32 s23, exec_lo, s23
	s_cbranch_execnz .LBB6_4445
; %bb.3784:                             ;   in Loop: Header=BB6_3059 Depth=2
	s_or_saveexec_b32 s23, s23
	v_mov_b32_e32 v41, s22
	s_xor_b32 exec_lo, exec_lo, s23
	s_cbranch_execnz .LBB6_4448
.LBB6_3785:                             ;   in Loop: Header=BB6_3059 Depth=2
	s_or_b32 exec_lo, exec_lo, s23
	s_and_saveexec_b32 s22, s7
	s_cbranch_execz .LBB6_3787
.LBB6_3786:                             ;   in Loop: Header=BB6_3059 Depth=2
	v_and_b32_e32 v41, 0xffff, v40
	v_lshlrev_b32_e32 v40, 24, v40
	s_delay_alu instid0(VALU_DEP_2) | instskip(NEXT) | instid1(VALU_DEP_2)
	v_and_b32_e32 v42, 3, v41
	v_and_b32_e32 v40, 0x80000000, v40
	s_delay_alu instid0(VALU_DEP_2) | instskip(NEXT) | instid1(VALU_DEP_1)
	v_clz_i32_u32_e32 v43, v42
	v_min_u32_e32 v43, 32, v43
	s_delay_alu instid0(VALU_DEP_1) | instskip(SKIP_1) | instid1(VALU_DEP_2)
	v_subrev_nc_u32_e32 v44, 29, v43
	v_sub_nc_u32_e32 v43, 30, v43
	v_lshlrev_b32_e32 v44, v44, v41
	v_bfe_u32 v41, v41, 2, 5
	s_delay_alu instid0(VALU_DEP_2) | instskip(NEXT) | instid1(VALU_DEP_2)
	v_and_b32_e32 v44, 3, v44
	v_cmp_eq_u32_e32 vcc_lo, 0, v41
	s_delay_alu instid0(VALU_DEP_2) | instskip(NEXT) | instid1(VALU_DEP_1)
	v_dual_cndmask_b32 v41, v41, v43 :: v_dual_cndmask_b32 v42, v42, v44
	v_lshl_add_u32 v41, v41, 23, 0x37800000
	s_delay_alu instid0(VALU_DEP_2) | instskip(NEXT) | instid1(VALU_DEP_1)
	v_lshlrev_b32_e32 v42, 21, v42
	v_or3_b32 v41, v40, v41, v42
.LBB6_3787:                             ;   in Loop: Header=BB6_3059 Depth=2
	s_or_b32 exec_lo, exec_lo, s22
	s_delay_alu instid0(VALU_DEP_1) | instskip(NEXT) | instid1(VALU_DEP_1)
	v_mul_f32_e32 v40, v183, v41
	v_and_b32_e32 v183, 0x7f800000, v40
	s_delay_alu instid0(VALU_DEP_1)
	v_cmp_ne_u32_e32 vcc_lo, 0x7f800000, v183
	v_mov_b32_e32 v183, 0x8000
	s_and_saveexec_b32 s22, vcc_lo
	s_cbranch_execz .LBB6_3795
; %bb.3788:                             ;   in Loop: Header=BB6_3059 Depth=2
	v_mov_b32_e32 v183, 0
	s_mov_b32 s23, exec_lo
	v_cmpx_ne_u32_e32 0, v40
	s_cbranch_execz .LBB6_3794
; %bb.3789:                             ;   in Loop: Header=BB6_3059 Depth=2
	v_bfe_u32 v183, v40, 23, 8
	s_delay_alu instid0(VALU_DEP_1) | instskip(SKIP_1) | instid1(VALU_DEP_2)
	v_sub_nc_u32_e32 v42, 0x70, v183
	v_cmp_gt_u32_e32 vcc_lo, 0x71, v183
	v_dual_cndmask_b32 v42, 0, v42 :: v_dual_and_b32 v41, 0x7fffff, v40
	s_delay_alu instid0(VALU_DEP_1) | instskip(SKIP_2) | instid1(VALU_DEP_4)
	v_or_b32_e32 v43, 0x800000, v41
	v_cmp_eq_u32_e32 vcc_lo, 0, v183
	v_add_nc_u32_e32 v183, 0xffffff91, v183
	v_cndmask_b32_e64 v42, v42, 0x6f, vcc_lo
	s_delay_alu instid0(VALU_DEP_2) | instskip(SKIP_1) | instid1(VALU_DEP_3)
	v_cndmask_b32_e64 v183, v183, 0xffffff92, vcc_lo
	v_cndmask_b32_e32 v41, v43, v41, vcc_lo
	v_lshl_add_u32 v43, 0x200000, v42, -1
	v_lshlrev_b32_e64 v46, v42, 0x100000
	s_delay_alu instid0(VALU_DEP_3) | instskip(SKIP_1) | instid1(VALU_DEP_4)
	v_lshrrev_b32_e32 v44, v42, v41
	v_add_nc_u32_e32 v42, v42, v183
	v_and_b32_e32 v41, v43, v41
	s_delay_alu instid0(VALU_DEP_3) | instskip(NEXT) | instid1(VALU_DEP_2)
	v_bfe_u32 v45, v44, 21, 1
	v_cmp_eq_u32_e64 s7, v41, v46
	s_delay_alu instid0(VALU_DEP_2) | instskip(NEXT) | instid1(VALU_DEP_1)
	v_add_nc_u32_e32 v43, -1, v45
	v_cndmask_b32_e64 v41, 0, v43, s7
	v_lshrrev_b32_e32 v43, 23, v44
	s_mov_b32 s7, exec_lo
	s_delay_alu instid0(VALU_DEP_2) | instskip(NEXT) | instid1(VALU_DEP_2)
	v_add_nc_u32_e32 v41, v41, v44
	v_xor_b32_e32 v43, 1, v43
	s_delay_alu instid0(VALU_DEP_2) | instskip(NEXT) | instid1(VALU_DEP_1)
	v_and_b32_e32 v183, 0x1fffff, v41
	v_add_nc_u32_e32 v41, v183, v44
                                        ; implicit-def: $vgpr183
	s_delay_alu instid0(VALU_DEP_3)
	v_cmpx_ne_u32_e64 v42, v43
	s_xor_b32 s7, exec_lo, s7
; %bb.3790:                             ;   in Loop: Header=BB6_3059 Depth=2
	s_delay_alu instid0(VALU_DEP_2) | instskip(SKIP_2) | instid1(VALU_DEP_2)
	v_cmp_lt_u32_e32 vcc_lo, 0xffffff, v41
	v_sub_nc_u32_e32 v183, v42, v43
	v_cndmask_b32_e64 v42, 0, 1, vcc_lo
	v_add_co_ci_u32_e32 v183, vcc_lo, 0, v183, vcc_lo
	s_delay_alu instid0(VALU_DEP_2)
	v_lshrrev_b32_e32 v41, v42, v41
; %bb.3791:                             ;   in Loop: Header=BB6_3059 Depth=2
	s_and_not1_saveexec_b32 s7, s7
; %bb.3792:                             ;   in Loop: Header=BB6_3059 Depth=2
	s_delay_alu instid0(VALU_DEP_1)
	v_bfe_u32 v183, v41, 23, 1
; %bb.3793:                             ;   in Loop: Header=BB6_3059 Depth=2
	s_or_b32 exec_lo, exec_lo, s7
	v_lshrrev_b32_e32 v41, 21, v41
	s_delay_alu instid0(VALU_DEP_2) | instskip(SKIP_2) | instid1(VALU_DEP_2)
	v_cmp_gt_i32_e32 vcc_lo, 32, v183
	v_min_i32_e32 v42, 31, v183
	v_lshrrev_b32_e32 v40, 24, v40
	v_dual_cndmask_b32 v41, 3, v41 :: v_dual_lshlrev_b32 v42, 2, v42
	s_delay_alu instid0(VALU_DEP_2) | instskip(NEXT) | instid1(VALU_DEP_2)
	v_and_b32_e32 v40, 0x80, v40
	v_or_b32_e32 v183, v183, v41
	v_and_b32_e32 v43, 3, v41
	s_delay_alu instid0(VALU_DEP_2) | instskip(SKIP_1) | instid1(VALU_DEP_1)
	v_cmp_ne_u32_e32 vcc_lo, 0, v183
	v_and_b32_e32 v42, 0xfc, v42
	v_or3_b32 v40, v40, v42, v43
	s_delay_alu instid0(VALU_DEP_1) | instskip(NEXT) | instid1(VALU_DEP_1)
	v_lshlrev_b32_e32 v40, 8, v40
	v_cndmask_b32_e32 v183, 0, v40, vcc_lo
.LBB6_3794:                             ;   in Loop: Header=BB6_3059 Depth=2
	s_or_b32 exec_lo, exec_lo, s23
.LBB6_3795:                             ;   in Loop: Header=BB6_3059 Depth=2
	s_delay_alu instid0(SALU_CYCLE_1) | instskip(SKIP_3) | instid1(VALU_DEP_1)
	s_or_b32 exec_lo, exec_lo, s22
	v_lshrrev_b32_e32 v41, 16, v25
	s_mov_b32 s7, 0
	s_mov_b32 s23, exec_lo
                                        ; implicit-def: $sgpr22
	v_and_b32_e32 v42, 0xff, v41
	s_delay_alu instid0(VALU_DEP_1)
	v_cmpx_lt_i16_e32 0x7f, v42
	s_xor_b32 s23, exec_lo, s23
	s_cbranch_execnz .LBB6_4449
; %bb.3796:                             ;   in Loop: Header=BB6_3059 Depth=2
	s_or_saveexec_b32 s23, s23
	v_mov_b32_e32 v40, s22
	s_xor_b32 exec_lo, exec_lo, s23
	s_cbranch_execnz .LBB6_4452
.LBB6_3797:                             ;   in Loop: Header=BB6_3059 Depth=2
	s_or_b32 exec_lo, exec_lo, s23
	s_and_saveexec_b32 s22, s7
	s_cbranch_execz .LBB6_3799
.LBB6_3798:                             ;   in Loop: Header=BB6_3059 Depth=2
	v_bfe_u32 v40, v25, 16, 2
	v_lshlrev_b32_e32 v44, 8, v25
	s_delay_alu instid0(VALU_DEP_2) | instskip(NEXT) | instid1(VALU_DEP_1)
	v_clz_i32_u32_e32 v42, v40
	v_min_u32_e32 v42, 32, v42
	s_delay_alu instid0(VALU_DEP_1) | instskip(SKIP_1) | instid1(VALU_DEP_2)
	v_subrev_nc_u32_e32 v43, 29, v42
	v_sub_nc_u32_e32 v42, 30, v42
	v_lshlrev_b32_e32 v41, v43, v41
	v_bfe_u32 v43, v25, 18, 5
	s_delay_alu instid0(VALU_DEP_1) | instskip(NEXT) | instid1(VALU_DEP_3)
	v_cmp_eq_u32_e32 vcc_lo, 0, v43
	v_dual_cndmask_b32 v42, v43, v42 :: v_dual_and_b32 v41, 3, v41
	s_delay_alu instid0(VALU_DEP_1) | instskip(NEXT) | instid1(VALU_DEP_2)
	v_dual_cndmask_b32 v40, v40, v41 :: v_dual_and_b32 v41, 0x80000000, v44
	v_lshl_add_u32 v42, v42, 23, 0x37800000
	s_delay_alu instid0(VALU_DEP_2) | instskip(NEXT) | instid1(VALU_DEP_1)
	v_lshlrev_b32_e32 v40, 21, v40
	v_or3_b32 v40, v41, v42, v40
.LBB6_3799:                             ;   in Loop: Header=BB6_3059 Depth=2
	s_or_b32 exec_lo, exec_lo, s22
	v_lshrrev_b32_e32 v41, 16, v21
	s_mov_b32 s7, 0
	s_mov_b32 s23, exec_lo
                                        ; implicit-def: $sgpr22
	s_delay_alu instid0(VALU_DEP_1) | instskip(NEXT) | instid1(VALU_DEP_1)
	v_and_b32_e32 v43, 0xff, v41
	v_cmpx_lt_i16_e32 0x7f, v43
	s_xor_b32 s23, exec_lo, s23
	s_cbranch_execnz .LBB6_4453
; %bb.3800:                             ;   in Loop: Header=BB6_3059 Depth=2
	s_or_saveexec_b32 s23, s23
	v_mov_b32_e32 v42, s22
	s_xor_b32 exec_lo, exec_lo, s23
	s_cbranch_execnz .LBB6_4456
.LBB6_3801:                             ;   in Loop: Header=BB6_3059 Depth=2
	s_or_b32 exec_lo, exec_lo, s23
	s_and_saveexec_b32 s22, s7
	s_cbranch_execz .LBB6_3803
.LBB6_3802:                             ;   in Loop: Header=BB6_3059 Depth=2
	v_bfe_u32 v42, v21, 16, 2
	v_lshlrev_b32_e32 v45, 8, v21
	s_delay_alu instid0(VALU_DEP_2) | instskip(NEXT) | instid1(VALU_DEP_1)
	v_clz_i32_u32_e32 v43, v42
	v_min_u32_e32 v43, 32, v43
	s_delay_alu instid0(VALU_DEP_1) | instskip(SKIP_1) | instid1(VALU_DEP_2)
	v_subrev_nc_u32_e32 v44, 29, v43
	v_sub_nc_u32_e32 v43, 30, v43
	v_lshlrev_b32_e32 v41, v44, v41
	v_bfe_u32 v44, v21, 18, 5
	s_delay_alu instid0(VALU_DEP_2) | instskip(NEXT) | instid1(VALU_DEP_2)
	v_and_b32_e32 v41, 3, v41
	v_cmp_eq_u32_e32 vcc_lo, 0, v44
	v_cndmask_b32_e32 v43, v44, v43, vcc_lo
	s_delay_alu instid0(VALU_DEP_3) | instskip(SKIP_1) | instid1(VALU_DEP_3)
	v_cndmask_b32_e32 v41, v42, v41, vcc_lo
	v_and_b32_e32 v42, 0x80000000, v45
	v_lshl_add_u32 v43, v43, 23, 0x37800000
	s_delay_alu instid0(VALU_DEP_3) | instskip(NEXT) | instid1(VALU_DEP_1)
	v_lshlrev_b32_e32 v41, 21, v41
	v_or3_b32 v42, v42, v43, v41
.LBB6_3803:                             ;   in Loop: Header=BB6_3059 Depth=2
	s_or_b32 exec_lo, exec_lo, s22
	s_delay_alu instid0(VALU_DEP_1) | instskip(NEXT) | instid1(VALU_DEP_1)
	v_mul_f32_e32 v41, v40, v42
	v_and_b32_e32 v40, 0x7f800000, v41
	s_delay_alu instid0(VALU_DEP_1)
	v_cmp_ne_u32_e32 vcc_lo, 0x7f800000, v40
	v_mov_b32_e32 v40, 0x80
	s_and_saveexec_b32 s22, vcc_lo
	s_cbranch_execz .LBB6_3811
; %bb.3804:                             ;   in Loop: Header=BB6_3059 Depth=2
	v_mov_b32_e32 v40, 0
	s_mov_b32 s23, exec_lo
	v_cmpx_ne_u32_e32 0, v41
	s_cbranch_execz .LBB6_3810
; %bb.3805:                             ;   in Loop: Header=BB6_3059 Depth=2
	v_bfe_u32 v40, v41, 23, 8
	s_delay_alu instid0(VALU_DEP_1) | instskip(SKIP_1) | instid1(VALU_DEP_2)
	v_sub_nc_u32_e32 v43, 0x70, v40
	v_cmp_gt_u32_e32 vcc_lo, 0x71, v40
	v_dual_cndmask_b32 v43, 0, v43 :: v_dual_and_b32 v42, 0x7fffff, v41
	s_delay_alu instid0(VALU_DEP_1) | instskip(SKIP_2) | instid1(VALU_DEP_4)
	v_or_b32_e32 v44, 0x800000, v42
	v_cmp_eq_u32_e32 vcc_lo, 0, v40
	v_add_nc_u32_e32 v40, 0xffffff91, v40
	v_cndmask_b32_e64 v43, v43, 0x6f, vcc_lo
	s_delay_alu instid0(VALU_DEP_2) | instskip(SKIP_1) | instid1(VALU_DEP_3)
	v_cndmask_b32_e64 v40, v40, 0xffffff92, vcc_lo
	v_cndmask_b32_e32 v42, v44, v42, vcc_lo
	v_lshl_add_u32 v44, 0x200000, v43, -1
	v_lshlrev_b32_e64 v47, v43, 0x100000
	s_delay_alu instid0(VALU_DEP_3) | instskip(SKIP_1) | instid1(VALU_DEP_4)
	v_lshrrev_b32_e32 v45, v43, v42
	v_add_nc_u32_e32 v43, v43, v40
	v_and_b32_e32 v42, v44, v42
	s_delay_alu instid0(VALU_DEP_3) | instskip(NEXT) | instid1(VALU_DEP_2)
	v_bfe_u32 v46, v45, 21, 1
	v_cmp_eq_u32_e64 s7, v42, v47
	s_delay_alu instid0(VALU_DEP_2) | instskip(NEXT) | instid1(VALU_DEP_1)
	v_add_nc_u32_e32 v44, -1, v46
	v_cndmask_b32_e64 v42, 0, v44, s7
	v_lshrrev_b32_e32 v44, 23, v45
	s_mov_b32 s7, exec_lo
	s_delay_alu instid0(VALU_DEP_2) | instskip(NEXT) | instid1(VALU_DEP_2)
	v_add_nc_u32_e32 v42, v42, v45
	v_xor_b32_e32 v44, 1, v44
	s_delay_alu instid0(VALU_DEP_2) | instskip(NEXT) | instid1(VALU_DEP_1)
	v_and_b32_e32 v40, 0x1fffff, v42
	v_add_nc_u32_e32 v42, v40, v45
                                        ; implicit-def: $vgpr40
	s_delay_alu instid0(VALU_DEP_3)
	v_cmpx_ne_u32_e64 v43, v44
	s_xor_b32 s7, exec_lo, s7
; %bb.3806:                             ;   in Loop: Header=BB6_3059 Depth=2
	s_delay_alu instid0(VALU_DEP_2) | instskip(SKIP_2) | instid1(VALU_DEP_2)
	v_cmp_lt_u32_e32 vcc_lo, 0xffffff, v42
	v_sub_nc_u32_e32 v40, v43, v44
	v_cndmask_b32_e64 v43, 0, 1, vcc_lo
	v_add_co_ci_u32_e32 v40, vcc_lo, 0, v40, vcc_lo
	s_delay_alu instid0(VALU_DEP_2)
	v_lshrrev_b32_e32 v42, v43, v42
; %bb.3807:                             ;   in Loop: Header=BB6_3059 Depth=2
	s_and_not1_saveexec_b32 s7, s7
; %bb.3808:                             ;   in Loop: Header=BB6_3059 Depth=2
	s_delay_alu instid0(VALU_DEP_1)
	v_bfe_u32 v40, v42, 23, 1
; %bb.3809:                             ;   in Loop: Header=BB6_3059 Depth=2
	s_or_b32 exec_lo, exec_lo, s7
	v_lshrrev_b32_e32 v42, 21, v42
	s_delay_alu instid0(VALU_DEP_2) | instskip(SKIP_2) | instid1(VALU_DEP_2)
	v_cmp_gt_i32_e32 vcc_lo, 32, v40
	v_min_i32_e32 v43, 31, v40
	v_lshrrev_b32_e32 v41, 24, v41
	v_dual_cndmask_b32 v42, 3, v42 :: v_dual_lshlrev_b32 v43, 2, v43
	s_delay_alu instid0(VALU_DEP_2) | instskip(NEXT) | instid1(VALU_DEP_2)
	v_and_b32_e32 v41, 0x80, v41
	v_or_b32_e32 v40, v40, v42
	v_and_b32_e32 v44, 3, v42
	s_delay_alu instid0(VALU_DEP_2) | instskip(SKIP_1) | instid1(VALU_DEP_1)
	v_cmp_ne_u32_e32 vcc_lo, 0, v40
	v_and_b32_e32 v43, 0xfc, v43
	v_or3_b32 v41, v43, v41, v44
	s_delay_alu instid0(VALU_DEP_1)
	v_cndmask_b32_e32 v40, 0, v41, vcc_lo
.LBB6_3810:                             ;   in Loop: Header=BB6_3059 Depth=2
	s_or_b32 exec_lo, exec_lo, s23
.LBB6_3811:                             ;   in Loop: Header=BB6_3059 Depth=2
	s_delay_alu instid0(SALU_CYCLE_1) | instskip(SKIP_3) | instid1(VALU_DEP_1)
	s_or_b32 exec_lo, exec_lo, s22
	v_lshrrev_b32_e32 v42, 24, v25
	s_mov_b32 s7, 0
	s_mov_b32 s23, exec_lo
                                        ; implicit-def: $sgpr22
	v_cmpx_lt_i16_e32 0x7f, v42
	s_xor_b32 s23, exec_lo, s23
	s_cbranch_execnz .LBB6_4457
; %bb.3812:                             ;   in Loop: Header=BB6_3059 Depth=2
	s_or_saveexec_b32 s23, s23
	v_mov_b32_e32 v41, s22
	s_xor_b32 exec_lo, exec_lo, s23
	s_cbranch_execnz .LBB6_4460
.LBB6_3813:                             ;   in Loop: Header=BB6_3059 Depth=2
	s_or_b32 exec_lo, exec_lo, s23
	s_and_saveexec_b32 s22, s7
	s_cbranch_execz .LBB6_3815
.LBB6_3814:                             ;   in Loop: Header=BB6_3059 Depth=2
	v_bfe_u32 v41, v25, 24, 2
	s_delay_alu instid0(VALU_DEP_1) | instskip(NEXT) | instid1(VALU_DEP_1)
	v_clz_i32_u32_e32 v43, v41
	v_min_u32_e32 v43, 32, v43
	s_delay_alu instid0(VALU_DEP_1) | instskip(SKIP_1) | instid1(VALU_DEP_2)
	v_subrev_nc_u32_e32 v44, 29, v43
	v_sub_nc_u32_e32 v43, 30, v43
	v_lshlrev_b32_e32 v42, v44, v42
	v_bfe_u32 v44, v25, 26, 5
	v_and_b32_e32 v25, 0x80000000, v25
	s_delay_alu instid0(VALU_DEP_2) | instskip(NEXT) | instid1(VALU_DEP_4)
	v_cmp_eq_u32_e32 vcc_lo, 0, v44
	v_dual_cndmask_b32 v43, v44, v43 :: v_dual_and_b32 v42, 3, v42
	s_delay_alu instid0(VALU_DEP_1) | instskip(NEXT) | instid1(VALU_DEP_2)
	v_cndmask_b32_e32 v41, v41, v42, vcc_lo
	v_lshl_add_u32 v42, v43, 23, 0x37800000
	s_delay_alu instid0(VALU_DEP_2) | instskip(NEXT) | instid1(VALU_DEP_1)
	v_lshlrev_b32_e32 v41, 21, v41
	v_or3_b32 v41, v25, v42, v41
.LBB6_3815:                             ;   in Loop: Header=BB6_3059 Depth=2
	s_or_b32 exec_lo, exec_lo, s22
	v_lshrrev_b32_e32 v25, 24, v21
	s_mov_b32 s7, 0
	s_mov_b32 s23, exec_lo
                                        ; implicit-def: $sgpr22
	s_delay_alu instid0(VALU_DEP_1)
	v_cmpx_lt_i16_e32 0x7f, v25
	s_xor_b32 s23, exec_lo, s23
	s_cbranch_execnz .LBB6_4461
; %bb.3816:                             ;   in Loop: Header=BB6_3059 Depth=2
	s_or_saveexec_b32 s23, s23
	v_mov_b32_e32 v42, s22
	s_xor_b32 exec_lo, exec_lo, s23
	s_cbranch_execnz .LBB6_4464
.LBB6_3817:                             ;   in Loop: Header=BB6_3059 Depth=2
	s_or_b32 exec_lo, exec_lo, s23
	s_and_saveexec_b32 s22, s7
	s_cbranch_execz .LBB6_3819
.LBB6_3818:                             ;   in Loop: Header=BB6_3059 Depth=2
	v_bfe_u32 v42, v21, 24, 2
	s_delay_alu instid0(VALU_DEP_1) | instskip(NEXT) | instid1(VALU_DEP_1)
	v_clz_i32_u32_e32 v43, v42
	v_min_u32_e32 v43, 32, v43
	s_delay_alu instid0(VALU_DEP_1) | instskip(SKIP_1) | instid1(VALU_DEP_2)
	v_subrev_nc_u32_e32 v44, 29, v43
	v_sub_nc_u32_e32 v43, 30, v43
	v_lshlrev_b32_e32 v25, v44, v25
	v_bfe_u32 v44, v21, 26, 5
	v_and_b32_e32 v21, 0x80000000, v21
	s_delay_alu instid0(VALU_DEP_3) | instskip(NEXT) | instid1(VALU_DEP_3)
	v_and_b32_e32 v25, 3, v25
	v_cmp_eq_u32_e32 vcc_lo, 0, v44
	v_cndmask_b32_e32 v43, v44, v43, vcc_lo
	s_delay_alu instid0(VALU_DEP_3) | instskip(NEXT) | instid1(VALU_DEP_2)
	v_cndmask_b32_e32 v25, v42, v25, vcc_lo
	v_lshl_add_u32 v42, v43, 23, 0x37800000
	s_delay_alu instid0(VALU_DEP_2) | instskip(NEXT) | instid1(VALU_DEP_1)
	v_lshlrev_b32_e32 v25, 21, v25
	v_or3_b32 v42, v21, v42, v25
.LBB6_3819:                             ;   in Loop: Header=BB6_3059 Depth=2
	s_or_b32 exec_lo, exec_lo, s22
	s_delay_alu instid0(VALU_DEP_1) | instskip(NEXT) | instid1(VALU_DEP_1)
	v_mul_f32_e32 v25, v41, v42
	v_and_b32_e32 v21, 0x7f800000, v25
	s_delay_alu instid0(VALU_DEP_1)
	v_cmp_ne_u32_e32 vcc_lo, 0x7f800000, v21
	v_mov_b32_e32 v21, 0x8000
	s_and_saveexec_b32 s22, vcc_lo
	s_cbranch_execz .LBB6_3827
; %bb.3820:                             ;   in Loop: Header=BB6_3059 Depth=2
	v_mov_b32_e32 v21, 0
	s_mov_b32 s23, exec_lo
	v_cmpx_ne_u32_e32 0, v25
	s_cbranch_execz .LBB6_3826
; %bb.3821:                             ;   in Loop: Header=BB6_3059 Depth=2
	v_bfe_u32 v21, v25, 23, 8
	s_delay_alu instid0(VALU_DEP_1) | instskip(SKIP_1) | instid1(VALU_DEP_2)
	v_sub_nc_u32_e32 v42, 0x70, v21
	v_cmp_gt_u32_e32 vcc_lo, 0x71, v21
	v_dual_cndmask_b32 v42, 0, v42 :: v_dual_and_b32 v41, 0x7fffff, v25
	s_delay_alu instid0(VALU_DEP_1) | instskip(SKIP_2) | instid1(VALU_DEP_4)
	v_or_b32_e32 v43, 0x800000, v41
	v_cmp_eq_u32_e32 vcc_lo, 0, v21
	v_add_nc_u32_e32 v21, 0xffffff91, v21
	v_cndmask_b32_e64 v42, v42, 0x6f, vcc_lo
	s_delay_alu instid0(VALU_DEP_4) | instskip(NEXT) | instid1(VALU_DEP_3)
	v_cndmask_b32_e32 v41, v43, v41, vcc_lo
	v_cndmask_b32_e64 v21, v21, 0xffffff92, vcc_lo
	s_delay_alu instid0(VALU_DEP_3) | instskip(NEXT) | instid1(VALU_DEP_3)
	v_lshl_add_u32 v43, 0x200000, v42, -1
	v_lshrrev_b32_e32 v44, v42, v41
	v_lshlrev_b32_e64 v46, v42, 0x100000
	s_delay_alu instid0(VALU_DEP_4) | instskip(NEXT) | instid1(VALU_DEP_4)
	v_add_nc_u32_e32 v42, v42, v21
	v_and_b32_e32 v41, v43, v41
	s_delay_alu instid0(VALU_DEP_4) | instskip(NEXT) | instid1(VALU_DEP_2)
	v_bfe_u32 v45, v44, 21, 1
	v_cmp_eq_u32_e64 s7, v41, v46
	s_delay_alu instid0(VALU_DEP_2) | instskip(NEXT) | instid1(VALU_DEP_1)
	v_add_nc_u32_e32 v43, -1, v45
	v_cndmask_b32_e64 v41, 0, v43, s7
	v_lshrrev_b32_e32 v43, 23, v44
	s_mov_b32 s7, exec_lo
	s_delay_alu instid0(VALU_DEP_2) | instskip(NEXT) | instid1(VALU_DEP_2)
	v_add_nc_u32_e32 v41, v41, v44
	v_xor_b32_e32 v43, 1, v43
	s_delay_alu instid0(VALU_DEP_2) | instskip(NEXT) | instid1(VALU_DEP_1)
	v_and_b32_e32 v21, 0x1fffff, v41
	v_add_nc_u32_e32 v41, v21, v44
                                        ; implicit-def: $vgpr21
	s_delay_alu instid0(VALU_DEP_3)
	v_cmpx_ne_u32_e64 v42, v43
	s_xor_b32 s7, exec_lo, s7
; %bb.3822:                             ;   in Loop: Header=BB6_3059 Depth=2
	s_delay_alu instid0(VALU_DEP_2) | instskip(SKIP_2) | instid1(VALU_DEP_2)
	v_cmp_lt_u32_e32 vcc_lo, 0xffffff, v41
	v_sub_nc_u32_e32 v21, v42, v43
	v_cndmask_b32_e64 v42, 0, 1, vcc_lo
	v_add_co_ci_u32_e32 v21, vcc_lo, 0, v21, vcc_lo
	s_delay_alu instid0(VALU_DEP_2)
	v_lshrrev_b32_e32 v41, v42, v41
; %bb.3823:                             ;   in Loop: Header=BB6_3059 Depth=2
	s_and_not1_saveexec_b32 s7, s7
; %bb.3824:                             ;   in Loop: Header=BB6_3059 Depth=2
	s_delay_alu instid0(VALU_DEP_1)
	v_bfe_u32 v21, v41, 23, 1
; %bb.3825:                             ;   in Loop: Header=BB6_3059 Depth=2
	s_or_b32 exec_lo, exec_lo, s7
	v_lshrrev_b32_e32 v41, 21, v41
	s_delay_alu instid0(VALU_DEP_2) | instskip(SKIP_2) | instid1(VALU_DEP_2)
	v_cmp_gt_i32_e32 vcc_lo, 32, v21
	v_min_i32_e32 v42, 31, v21
	v_lshrrev_b32_e32 v25, 24, v25
	v_dual_cndmask_b32 v41, 3, v41 :: v_dual_lshlrev_b32 v42, 2, v42
	s_delay_alu instid0(VALU_DEP_2) | instskip(NEXT) | instid1(VALU_DEP_2)
	v_and_b32_e32 v25, 0x80, v25
	v_or_b32_e32 v21, v21, v41
	v_and_b32_e32 v43, 3, v41
	s_delay_alu instid0(VALU_DEP_2) | instskip(SKIP_1) | instid1(VALU_DEP_1)
	v_cmp_ne_u32_e32 vcc_lo, 0, v21
	v_and_b32_e32 v42, 0xfc, v42
	v_or3_b32 v25, v25, v42, v43
	s_delay_alu instid0(VALU_DEP_1) | instskip(NEXT) | instid1(VALU_DEP_1)
	v_lshlrev_b32_e32 v25, 8, v25
	v_cndmask_b32_e32 v21, 0, v25, vcc_lo
.LBB6_3826:                             ;   in Loop: Header=BB6_3059 Depth=2
	s_or_b32 exec_lo, exec_lo, s23
.LBB6_3827:                             ;   in Loop: Header=BB6_3059 Depth=2
	s_delay_alu instid0(SALU_CYCLE_1) | instskip(SKIP_3) | instid1(VALU_DEP_1)
	s_or_b32 exec_lo, exec_lo, s22
	v_and_b32_e32 v41, 0xff, v14
	s_mov_b32 s7, 0
	s_mov_b32 s23, exec_lo
                                        ; implicit-def: $sgpr22
	v_cmpx_lt_i16_e32 0x7f, v41
	s_xor_b32 s23, exec_lo, s23
	s_cbranch_execnz .LBB6_4465
; %bb.3828:                             ;   in Loop: Header=BB6_3059 Depth=2
	s_or_saveexec_b32 s23, s23
	v_mov_b32_e32 v25, s22
	s_xor_b32 exec_lo, exec_lo, s23
	s_cbranch_execnz .LBB6_4468
.LBB6_3829:                             ;   in Loop: Header=BB6_3059 Depth=2
	s_or_b32 exec_lo, exec_lo, s23
	s_and_saveexec_b32 s22, s7
	s_cbranch_execz .LBB6_3831
.LBB6_3830:                             ;   in Loop: Header=BB6_3059 Depth=2
	v_and_b32_e32 v25, 3, v14
	v_bfe_u32 v43, v14, 2, 5
	v_lshlrev_b32_e32 v44, 24, v14
	s_delay_alu instid0(VALU_DEP_3) | instskip(NEXT) | instid1(VALU_DEP_3)
	v_clz_i32_u32_e32 v41, v25
	v_cmp_eq_u32_e32 vcc_lo, 0, v43
	s_delay_alu instid0(VALU_DEP_2) | instskip(NEXT) | instid1(VALU_DEP_1)
	v_min_u32_e32 v41, 32, v41
	v_subrev_nc_u32_e32 v42, 29, v41
	v_sub_nc_u32_e32 v41, 30, v41
	s_delay_alu instid0(VALU_DEP_1) | instskip(NEXT) | instid1(VALU_DEP_1)
	v_dual_cndmask_b32 v41, v43, v41 :: v_dual_lshlrev_b32 v42, v42, v14
	v_and_b32_e32 v42, 3, v42
	s_delay_alu instid0(VALU_DEP_2) | instskip(NEXT) | instid1(VALU_DEP_2)
	v_lshl_add_u32 v41, v41, 23, 0x37800000
	v_dual_cndmask_b32 v25, v25, v42 :: v_dual_and_b32 v42, 0x80000000, v44
	s_delay_alu instid0(VALU_DEP_1) | instskip(NEXT) | instid1(VALU_DEP_1)
	v_lshlrev_b32_e32 v25, 21, v25
	v_or3_b32 v25, v42, v41, v25
.LBB6_3831:                             ;   in Loop: Header=BB6_3059 Depth=2
	s_or_b32 exec_lo, exec_lo, s22
	s_waitcnt vmcnt(0)
	v_and_b32_e32 v42, 0xff, v10
	s_mov_b32 s7, 0
	s_mov_b32 s23, exec_lo
                                        ; implicit-def: $sgpr22
	s_delay_alu instid0(VALU_DEP_1)
	v_cmpx_lt_i16_e32 0x7f, v42
	s_xor_b32 s23, exec_lo, s23
	s_cbranch_execnz .LBB6_4469
; %bb.3832:                             ;   in Loop: Header=BB6_3059 Depth=2
	s_or_saveexec_b32 s23, s23
	v_mov_b32_e32 v41, s22
	s_xor_b32 exec_lo, exec_lo, s23
	s_cbranch_execnz .LBB6_4472
.LBB6_3833:                             ;   in Loop: Header=BB6_3059 Depth=2
	s_or_b32 exec_lo, exec_lo, s23
	s_and_saveexec_b32 s22, s7
	s_cbranch_execz .LBB6_3835
.LBB6_3834:                             ;   in Loop: Header=BB6_3059 Depth=2
	v_and_b32_e32 v41, 3, v10
	v_bfe_u32 v44, v10, 2, 5
	v_lshlrev_b32_e32 v45, 24, v10
	s_delay_alu instid0(VALU_DEP_3) | instskip(NEXT) | instid1(VALU_DEP_3)
	v_clz_i32_u32_e32 v42, v41
	v_cmp_eq_u32_e32 vcc_lo, 0, v44
	s_delay_alu instid0(VALU_DEP_2) | instskip(NEXT) | instid1(VALU_DEP_1)
	v_min_u32_e32 v42, 32, v42
	v_subrev_nc_u32_e32 v43, 29, v42
	v_sub_nc_u32_e32 v42, 30, v42
	s_delay_alu instid0(VALU_DEP_2) | instskip(NEXT) | instid1(VALU_DEP_1)
	v_lshlrev_b32_e32 v43, v43, v10
	v_dual_cndmask_b32 v42, v44, v42 :: v_dual_and_b32 v43, 3, v43
	s_delay_alu instid0(VALU_DEP_1) | instskip(NEXT) | instid1(VALU_DEP_2)
	v_lshl_add_u32 v42, v42, 23, 0x37800000
	v_cndmask_b32_e32 v41, v41, v43, vcc_lo
	v_and_b32_e32 v43, 0x80000000, v45
	s_delay_alu instid0(VALU_DEP_2) | instskip(NEXT) | instid1(VALU_DEP_1)
	v_lshlrev_b32_e32 v41, 21, v41
	v_or3_b32 v41, v43, v42, v41
.LBB6_3835:                             ;   in Loop: Header=BB6_3059 Depth=2
	s_or_b32 exec_lo, exec_lo, s22
	s_delay_alu instid0(VALU_DEP_1) | instskip(NEXT) | instid1(VALU_DEP_1)
	v_mul_f32_e32 v41, v25, v41
	v_and_b32_e32 v25, 0x7f800000, v41
	s_delay_alu instid0(VALU_DEP_1)
	v_cmp_ne_u32_e32 vcc_lo, 0x7f800000, v25
	v_mov_b32_e32 v25, 0x80
	s_and_saveexec_b32 s22, vcc_lo
	s_cbranch_execz .LBB6_3843
; %bb.3836:                             ;   in Loop: Header=BB6_3059 Depth=2
	v_mov_b32_e32 v25, 0
	s_mov_b32 s23, exec_lo
	v_cmpx_ne_u32_e32 0, v41
	s_cbranch_execz .LBB6_3842
; %bb.3837:                             ;   in Loop: Header=BB6_3059 Depth=2
	v_bfe_u32 v25, v41, 23, 8
	s_delay_alu instid0(VALU_DEP_1) | instskip(SKIP_1) | instid1(VALU_DEP_2)
	v_sub_nc_u32_e32 v43, 0x70, v25
	v_cmp_gt_u32_e32 vcc_lo, 0x71, v25
	v_dual_cndmask_b32 v43, 0, v43 :: v_dual_and_b32 v42, 0x7fffff, v41
	s_delay_alu instid0(VALU_DEP_1) | instskip(SKIP_2) | instid1(VALU_DEP_4)
	v_or_b32_e32 v44, 0x800000, v42
	v_cmp_eq_u32_e32 vcc_lo, 0, v25
	v_add_nc_u32_e32 v25, 0xffffff91, v25
	v_cndmask_b32_e64 v43, v43, 0x6f, vcc_lo
	s_delay_alu instid0(VALU_DEP_4) | instskip(NEXT) | instid1(VALU_DEP_3)
	v_cndmask_b32_e32 v42, v44, v42, vcc_lo
	v_cndmask_b32_e64 v25, v25, 0xffffff92, vcc_lo
	s_delay_alu instid0(VALU_DEP_3) | instskip(NEXT) | instid1(VALU_DEP_3)
	v_lshl_add_u32 v44, 0x200000, v43, -1
	v_lshrrev_b32_e32 v45, v43, v42
	v_lshlrev_b32_e64 v47, v43, 0x100000
	s_delay_alu instid0(VALU_DEP_4) | instskip(NEXT) | instid1(VALU_DEP_4)
	v_add_nc_u32_e32 v43, v43, v25
	v_and_b32_e32 v42, v44, v42
	s_delay_alu instid0(VALU_DEP_4) | instskip(NEXT) | instid1(VALU_DEP_2)
	v_bfe_u32 v46, v45, 21, 1
	v_cmp_eq_u32_e64 s7, v42, v47
	s_delay_alu instid0(VALU_DEP_2) | instskip(NEXT) | instid1(VALU_DEP_1)
	v_add_nc_u32_e32 v44, -1, v46
	v_cndmask_b32_e64 v42, 0, v44, s7
	v_lshrrev_b32_e32 v44, 23, v45
	s_mov_b32 s7, exec_lo
	s_delay_alu instid0(VALU_DEP_2) | instskip(NEXT) | instid1(VALU_DEP_2)
	v_add_nc_u32_e32 v42, v42, v45
	v_xor_b32_e32 v44, 1, v44
	s_delay_alu instid0(VALU_DEP_2) | instskip(NEXT) | instid1(VALU_DEP_1)
	v_and_b32_e32 v25, 0x1fffff, v42
	v_add_nc_u32_e32 v42, v25, v45
                                        ; implicit-def: $vgpr25
	s_delay_alu instid0(VALU_DEP_3)
	v_cmpx_ne_u32_e64 v43, v44
	s_xor_b32 s7, exec_lo, s7
; %bb.3838:                             ;   in Loop: Header=BB6_3059 Depth=2
	s_delay_alu instid0(VALU_DEP_2) | instskip(SKIP_2) | instid1(VALU_DEP_2)
	v_cmp_lt_u32_e32 vcc_lo, 0xffffff, v42
	v_sub_nc_u32_e32 v25, v43, v44
	v_cndmask_b32_e64 v43, 0, 1, vcc_lo
	v_add_co_ci_u32_e32 v25, vcc_lo, 0, v25, vcc_lo
	s_delay_alu instid0(VALU_DEP_2)
	v_lshrrev_b32_e32 v42, v43, v42
; %bb.3839:                             ;   in Loop: Header=BB6_3059 Depth=2
	s_and_not1_saveexec_b32 s7, s7
; %bb.3840:                             ;   in Loop: Header=BB6_3059 Depth=2
	s_delay_alu instid0(VALU_DEP_1)
	v_bfe_u32 v25, v42, 23, 1
; %bb.3841:                             ;   in Loop: Header=BB6_3059 Depth=2
	s_or_b32 exec_lo, exec_lo, s7
	v_lshrrev_b32_e32 v42, 21, v42
	s_delay_alu instid0(VALU_DEP_2) | instskip(SKIP_2) | instid1(VALU_DEP_2)
	v_cmp_gt_i32_e32 vcc_lo, 32, v25
	v_lshrrev_b32_e32 v41, 24, v41
	v_min_i32_e32 v43, 31, v25
	v_dual_cndmask_b32 v42, 3, v42 :: v_dual_and_b32 v41, 0x80, v41
	s_delay_alu instid0(VALU_DEP_2) | instskip(NEXT) | instid1(VALU_DEP_2)
	v_lshlrev_b32_e32 v43, 2, v43
	v_or_b32_e32 v25, v25, v42
	s_delay_alu instid0(VALU_DEP_1) | instskip(SKIP_1) | instid1(VALU_DEP_1)
	v_cmp_ne_u32_e32 vcc_lo, 0, v25
	v_and_b32_e32 v44, 3, v42
	v_or3_b32 v41, v43, v41, v44
	s_delay_alu instid0(VALU_DEP_1)
	v_cndmask_b32_e32 v25, 0, v41, vcc_lo
.LBB6_3842:                             ;   in Loop: Header=BB6_3059 Depth=2
	s_or_b32 exec_lo, exec_lo, s23
.LBB6_3843:                             ;   in Loop: Header=BB6_3059 Depth=2
	s_delay_alu instid0(SALU_CYCLE_1) | instskip(SKIP_3) | instid1(VALU_DEP_1)
	s_or_b32 exec_lo, exec_lo, s22
	v_lshrrev_b16 v42, 8, v14
	s_mov_b32 s7, 0
	s_mov_b32 s23, exec_lo
                                        ; implicit-def: $sgpr22
	v_cmpx_lt_i16_e32 0x7f, v42
	s_xor_b32 s23, exec_lo, s23
	s_cbranch_execnz .LBB6_4473
; %bb.3844:                             ;   in Loop: Header=BB6_3059 Depth=2
	s_or_saveexec_b32 s23, s23
	v_mov_b32_e32 v41, s22
	s_xor_b32 exec_lo, exec_lo, s23
	s_cbranch_execnz .LBB6_4476
.LBB6_3845:                             ;   in Loop: Header=BB6_3059 Depth=2
	s_or_b32 exec_lo, exec_lo, s23
	s_and_saveexec_b32 s22, s7
	s_cbranch_execz .LBB6_3847
.LBB6_3846:                             ;   in Loop: Header=BB6_3059 Depth=2
	v_and_b32_e32 v41, 0xffff, v42
	s_delay_alu instid0(VALU_DEP_1) | instskip(NEXT) | instid1(VALU_DEP_1)
	v_and_b32_e32 v43, 3, v41
	v_clz_i32_u32_e32 v44, v43
	s_delay_alu instid0(VALU_DEP_1) | instskip(NEXT) | instid1(VALU_DEP_1)
	v_min_u32_e32 v44, 32, v44
	v_subrev_nc_u32_e32 v45, 29, v44
	v_sub_nc_u32_e32 v44, 30, v44
	s_delay_alu instid0(VALU_DEP_2) | instskip(SKIP_1) | instid1(VALU_DEP_2)
	v_lshlrev_b32_e32 v45, v45, v41
	v_bfe_u32 v41, v41, 2, 5
	v_and_b32_e32 v45, 3, v45
	s_delay_alu instid0(VALU_DEP_2) | instskip(SKIP_1) | instid1(VALU_DEP_1)
	v_cmp_eq_u32_e32 vcc_lo, 0, v41
	v_dual_cndmask_b32 v41, v41, v44 :: v_dual_lshlrev_b32 v42, 24, v42
	v_dual_cndmask_b32 v43, v43, v45 :: v_dual_and_b32 v42, 0x80000000, v42
	s_delay_alu instid0(VALU_DEP_2) | instskip(NEXT) | instid1(VALU_DEP_2)
	v_lshl_add_u32 v41, v41, 23, 0x37800000
	v_lshlrev_b32_e32 v43, 21, v43
	s_delay_alu instid0(VALU_DEP_1)
	v_or3_b32 v41, v42, v41, v43
.LBB6_3847:                             ;   in Loop: Header=BB6_3059 Depth=2
	s_or_b32 exec_lo, exec_lo, s22
	v_lshrrev_b16 v42, 8, v10
	s_mov_b32 s7, 0
	s_mov_b32 s23, exec_lo
                                        ; implicit-def: $sgpr22
	s_delay_alu instid0(VALU_DEP_1)
	v_cmpx_lt_i16_e32 0x7f, v42
	s_xor_b32 s23, exec_lo, s23
	s_cbranch_execnz .LBB6_4477
; %bb.3848:                             ;   in Loop: Header=BB6_3059 Depth=2
	s_or_saveexec_b32 s23, s23
	v_mov_b32_e32 v43, s22
	s_xor_b32 exec_lo, exec_lo, s23
	s_cbranch_execnz .LBB6_4480
.LBB6_3849:                             ;   in Loop: Header=BB6_3059 Depth=2
	s_or_b32 exec_lo, exec_lo, s23
	s_and_saveexec_b32 s22, s7
	s_cbranch_execz .LBB6_3851
.LBB6_3850:                             ;   in Loop: Header=BB6_3059 Depth=2
	v_and_b32_e32 v43, 0xffff, v42
	v_lshlrev_b32_e32 v42, 24, v42
	s_delay_alu instid0(VALU_DEP_2) | instskip(NEXT) | instid1(VALU_DEP_2)
	v_and_b32_e32 v44, 3, v43
	v_and_b32_e32 v42, 0x80000000, v42
	s_delay_alu instid0(VALU_DEP_2) | instskip(NEXT) | instid1(VALU_DEP_1)
	v_clz_i32_u32_e32 v45, v44
	v_min_u32_e32 v45, 32, v45
	s_delay_alu instid0(VALU_DEP_1) | instskip(SKIP_1) | instid1(VALU_DEP_2)
	v_subrev_nc_u32_e32 v46, 29, v45
	v_sub_nc_u32_e32 v45, 30, v45
	v_lshlrev_b32_e32 v46, v46, v43
	v_bfe_u32 v43, v43, 2, 5
	s_delay_alu instid0(VALU_DEP_2) | instskip(NEXT) | instid1(VALU_DEP_2)
	v_and_b32_e32 v46, 3, v46
	v_cmp_eq_u32_e32 vcc_lo, 0, v43
	s_delay_alu instid0(VALU_DEP_2) | instskip(NEXT) | instid1(VALU_DEP_1)
	v_dual_cndmask_b32 v43, v43, v45 :: v_dual_cndmask_b32 v44, v44, v46
	v_lshl_add_u32 v43, v43, 23, 0x37800000
	s_delay_alu instid0(VALU_DEP_2) | instskip(NEXT) | instid1(VALU_DEP_1)
	v_lshlrev_b32_e32 v44, 21, v44
	v_or3_b32 v43, v42, v43, v44
.LBB6_3851:                             ;   in Loop: Header=BB6_3059 Depth=2
	s_or_b32 exec_lo, exec_lo, s22
	s_delay_alu instid0(VALU_DEP_1) | instskip(NEXT) | instid1(VALU_DEP_1)
	v_mul_f32_e32 v42, v41, v43
	v_and_b32_e32 v41, 0x7f800000, v42
	s_delay_alu instid0(VALU_DEP_1)
	v_cmp_ne_u32_e32 vcc_lo, 0x7f800000, v41
	v_mov_b32_e32 v41, 0x80
	s_and_saveexec_b32 s22, vcc_lo
	s_cbranch_execz .LBB6_3859
; %bb.3852:                             ;   in Loop: Header=BB6_3059 Depth=2
	v_mov_b32_e32 v41, 0
	s_mov_b32 s23, exec_lo
	v_cmpx_ne_u32_e32 0, v42
	s_cbranch_execz .LBB6_3858
; %bb.3853:                             ;   in Loop: Header=BB6_3059 Depth=2
	v_bfe_u32 v41, v42, 23, 8
	s_delay_alu instid0(VALU_DEP_1) | instskip(SKIP_1) | instid1(VALU_DEP_2)
	v_sub_nc_u32_e32 v44, 0x70, v41
	v_cmp_gt_u32_e32 vcc_lo, 0x71, v41
	v_dual_cndmask_b32 v44, 0, v44 :: v_dual_and_b32 v43, 0x7fffff, v42
	s_delay_alu instid0(VALU_DEP_1) | instskip(SKIP_2) | instid1(VALU_DEP_4)
	v_or_b32_e32 v45, 0x800000, v43
	v_cmp_eq_u32_e32 vcc_lo, 0, v41
	v_add_nc_u32_e32 v41, 0xffffff91, v41
	v_cndmask_b32_e64 v44, v44, 0x6f, vcc_lo
	s_delay_alu instid0(VALU_DEP_2) | instskip(SKIP_1) | instid1(VALU_DEP_3)
	v_cndmask_b32_e64 v41, v41, 0xffffff92, vcc_lo
	v_cndmask_b32_e32 v43, v45, v43, vcc_lo
	v_lshl_add_u32 v45, 0x200000, v44, -1
	v_lshlrev_b32_e64 v56, v44, 0x100000
	s_delay_alu instid0(VALU_DEP_3) | instskip(SKIP_1) | instid1(VALU_DEP_4)
	v_lshrrev_b32_e32 v46, v44, v43
	v_add_nc_u32_e32 v44, v44, v41
	v_and_b32_e32 v43, v45, v43
	s_delay_alu instid0(VALU_DEP_3) | instskip(NEXT) | instid1(VALU_DEP_2)
	v_bfe_u32 v47, v46, 21, 1
	v_cmp_eq_u32_e64 s7, v43, v56
	s_delay_alu instid0(VALU_DEP_2) | instskip(NEXT) | instid1(VALU_DEP_1)
	v_add_nc_u32_e32 v45, -1, v47
	v_cndmask_b32_e64 v43, 0, v45, s7
	v_lshrrev_b32_e32 v45, 23, v46
	s_mov_b32 s7, exec_lo
	s_delay_alu instid0(VALU_DEP_2) | instskip(NEXT) | instid1(VALU_DEP_2)
	v_add_nc_u32_e32 v43, v43, v46
	v_xor_b32_e32 v45, 1, v45
	s_delay_alu instid0(VALU_DEP_2) | instskip(NEXT) | instid1(VALU_DEP_1)
	v_and_b32_e32 v41, 0x1fffff, v43
	v_add_nc_u32_e32 v43, v41, v46
                                        ; implicit-def: $vgpr41
	s_delay_alu instid0(VALU_DEP_3)
	v_cmpx_ne_u32_e64 v44, v45
	s_xor_b32 s7, exec_lo, s7
; %bb.3854:                             ;   in Loop: Header=BB6_3059 Depth=2
	s_delay_alu instid0(VALU_DEP_2) | instskip(SKIP_2) | instid1(VALU_DEP_2)
	v_cmp_lt_u32_e32 vcc_lo, 0xffffff, v43
	v_sub_nc_u32_e32 v41, v44, v45
	v_cndmask_b32_e64 v44, 0, 1, vcc_lo
	v_add_co_ci_u32_e32 v41, vcc_lo, 0, v41, vcc_lo
	s_delay_alu instid0(VALU_DEP_2)
	v_lshrrev_b32_e32 v43, v44, v43
; %bb.3855:                             ;   in Loop: Header=BB6_3059 Depth=2
	s_and_not1_saveexec_b32 s7, s7
; %bb.3856:                             ;   in Loop: Header=BB6_3059 Depth=2
	s_delay_alu instid0(VALU_DEP_1)
	v_bfe_u32 v41, v43, 23, 1
; %bb.3857:                             ;   in Loop: Header=BB6_3059 Depth=2
	s_or_b32 exec_lo, exec_lo, s7
	v_lshrrev_b32_e32 v43, 21, v43
	s_delay_alu instid0(VALU_DEP_2) | instskip(SKIP_2) | instid1(VALU_DEP_2)
	v_cmp_gt_i32_e32 vcc_lo, 32, v41
	v_lshrrev_b32_e32 v42, 24, v42
	v_min_i32_e32 v44, 31, v41
	v_dual_cndmask_b32 v43, 3, v43 :: v_dual_and_b32 v42, 0x80, v42
	s_delay_alu instid0(VALU_DEP_1) | instskip(SKIP_1) | instid1(VALU_DEP_2)
	v_or_b32_e32 v41, v41, v43
	v_and_b32_e32 v45, 3, v43
	v_cmp_ne_u32_e32 vcc_lo, 0, v41
	v_lshlrev_b32_e32 v44, 2, v44
	s_delay_alu instid0(VALU_DEP_1) | instskip(NEXT) | instid1(VALU_DEP_1)
	v_or3_b32 v42, v44, v42, v45
	v_cndmask_b32_e32 v41, 0, v42, vcc_lo
.LBB6_3858:                             ;   in Loop: Header=BB6_3059 Depth=2
	s_or_b32 exec_lo, exec_lo, s23
.LBB6_3859:                             ;   in Loop: Header=BB6_3059 Depth=2
	s_delay_alu instid0(SALU_CYCLE_1) | instskip(SKIP_3) | instid1(VALU_DEP_1)
	s_or_b32 exec_lo, exec_lo, s22
	v_lshrrev_b32_e32 v43, 16, v14
	s_mov_b32 s7, 0
	s_mov_b32 s23, exec_lo
                                        ; implicit-def: $sgpr22
	v_and_b32_e32 v44, 0xff, v43
	s_delay_alu instid0(VALU_DEP_1)
	v_cmpx_lt_i16_e32 0x7f, v44
	s_xor_b32 s23, exec_lo, s23
	s_cbranch_execnz .LBB6_4481
; %bb.3860:                             ;   in Loop: Header=BB6_3059 Depth=2
	s_or_saveexec_b32 s23, s23
	v_mov_b32_e32 v42, s22
	s_xor_b32 exec_lo, exec_lo, s23
	s_cbranch_execnz .LBB6_4484
.LBB6_3861:                             ;   in Loop: Header=BB6_3059 Depth=2
	s_or_b32 exec_lo, exec_lo, s23
	s_and_saveexec_b32 s22, s7
	s_cbranch_execz .LBB6_3863
.LBB6_3862:                             ;   in Loop: Header=BB6_3059 Depth=2
	v_bfe_u32 v42, v14, 16, 2
	v_lshlrev_b32_e32 v46, 8, v14
	s_delay_alu instid0(VALU_DEP_2) | instskip(NEXT) | instid1(VALU_DEP_1)
	v_clz_i32_u32_e32 v44, v42
	v_min_u32_e32 v44, 32, v44
	s_delay_alu instid0(VALU_DEP_1) | instskip(SKIP_1) | instid1(VALU_DEP_2)
	v_subrev_nc_u32_e32 v45, 29, v44
	v_sub_nc_u32_e32 v44, 30, v44
	v_lshlrev_b32_e32 v43, v45, v43
	v_bfe_u32 v45, v14, 18, 5
	s_delay_alu instid0(VALU_DEP_1) | instskip(NEXT) | instid1(VALU_DEP_3)
	v_cmp_eq_u32_e32 vcc_lo, 0, v45
	v_dual_cndmask_b32 v44, v45, v44 :: v_dual_and_b32 v43, 3, v43
	s_delay_alu instid0(VALU_DEP_1) | instskip(NEXT) | instid1(VALU_DEP_2)
	v_dual_cndmask_b32 v42, v42, v43 :: v_dual_and_b32 v43, 0x80000000, v46
	v_lshl_add_u32 v44, v44, 23, 0x37800000
	s_delay_alu instid0(VALU_DEP_2) | instskip(NEXT) | instid1(VALU_DEP_1)
	v_lshlrev_b32_e32 v42, 21, v42
	v_or3_b32 v42, v43, v44, v42
.LBB6_3863:                             ;   in Loop: Header=BB6_3059 Depth=2
	s_or_b32 exec_lo, exec_lo, s22
	v_lshrrev_b32_e32 v43, 16, v10
	s_mov_b32 s7, 0
	s_mov_b32 s23, exec_lo
                                        ; implicit-def: $sgpr22
	s_delay_alu instid0(VALU_DEP_1) | instskip(NEXT) | instid1(VALU_DEP_1)
	v_and_b32_e32 v45, 0xff, v43
	v_cmpx_lt_i16_e32 0x7f, v45
	s_xor_b32 s23, exec_lo, s23
	s_cbranch_execnz .LBB6_4485
; %bb.3864:                             ;   in Loop: Header=BB6_3059 Depth=2
	s_or_saveexec_b32 s23, s23
	v_mov_b32_e32 v44, s22
	s_xor_b32 exec_lo, exec_lo, s23
	s_cbranch_execnz .LBB6_4488
.LBB6_3865:                             ;   in Loop: Header=BB6_3059 Depth=2
	s_or_b32 exec_lo, exec_lo, s23
	s_and_saveexec_b32 s22, s7
	s_cbranch_execz .LBB6_3867
.LBB6_3866:                             ;   in Loop: Header=BB6_3059 Depth=2
	v_bfe_u32 v44, v10, 16, 2
	v_lshlrev_b32_e32 v47, 8, v10
	s_delay_alu instid0(VALU_DEP_2) | instskip(NEXT) | instid1(VALU_DEP_1)
	v_clz_i32_u32_e32 v45, v44
	v_min_u32_e32 v45, 32, v45
	s_delay_alu instid0(VALU_DEP_1) | instskip(SKIP_1) | instid1(VALU_DEP_2)
	v_subrev_nc_u32_e32 v46, 29, v45
	v_sub_nc_u32_e32 v45, 30, v45
	v_lshlrev_b32_e32 v43, v46, v43
	v_bfe_u32 v46, v10, 18, 5
	s_delay_alu instid0(VALU_DEP_2) | instskip(NEXT) | instid1(VALU_DEP_2)
	v_and_b32_e32 v43, 3, v43
	v_cmp_eq_u32_e32 vcc_lo, 0, v46
	v_cndmask_b32_e32 v45, v46, v45, vcc_lo
	s_delay_alu instid0(VALU_DEP_3) | instskip(SKIP_1) | instid1(VALU_DEP_3)
	v_cndmask_b32_e32 v43, v44, v43, vcc_lo
	v_and_b32_e32 v44, 0x80000000, v47
	v_lshl_add_u32 v45, v45, 23, 0x37800000
	s_delay_alu instid0(VALU_DEP_3) | instskip(NEXT) | instid1(VALU_DEP_1)
	v_lshlrev_b32_e32 v43, 21, v43
	v_or3_b32 v44, v44, v45, v43
.LBB6_3867:                             ;   in Loop: Header=BB6_3059 Depth=2
	s_or_b32 exec_lo, exec_lo, s22
	s_delay_alu instid0(VALU_DEP_1) | instskip(NEXT) | instid1(VALU_DEP_1)
	v_mul_f32_e32 v43, v42, v44
	v_and_b32_e32 v42, 0x7f800000, v43
	s_delay_alu instid0(VALU_DEP_1)
	v_cmp_ne_u32_e32 vcc_lo, 0x7f800000, v42
	v_mov_b32_e32 v42, 0x80
	s_and_saveexec_b32 s22, vcc_lo
	s_cbranch_execz .LBB6_3875
; %bb.3868:                             ;   in Loop: Header=BB6_3059 Depth=2
	v_mov_b32_e32 v42, 0
	s_mov_b32 s23, exec_lo
	v_cmpx_ne_u32_e32 0, v43
	s_cbranch_execz .LBB6_3874
; %bb.3869:                             ;   in Loop: Header=BB6_3059 Depth=2
	v_bfe_u32 v42, v43, 23, 8
	s_delay_alu instid0(VALU_DEP_1) | instskip(SKIP_1) | instid1(VALU_DEP_2)
	v_sub_nc_u32_e32 v45, 0x70, v42
	v_cmp_gt_u32_e32 vcc_lo, 0x71, v42
	v_dual_cndmask_b32 v45, 0, v45 :: v_dual_and_b32 v44, 0x7fffff, v43
	s_delay_alu instid0(VALU_DEP_1) | instskip(SKIP_2) | instid1(VALU_DEP_4)
	v_or_b32_e32 v46, 0x800000, v44
	v_cmp_eq_u32_e32 vcc_lo, 0, v42
	v_add_nc_u32_e32 v42, 0xffffff91, v42
	v_cndmask_b32_e64 v45, v45, 0x6f, vcc_lo
	s_delay_alu instid0(VALU_DEP_2) | instskip(SKIP_1) | instid1(VALU_DEP_3)
	v_cndmask_b32_e64 v42, v42, 0xffffff92, vcc_lo
	v_cndmask_b32_e32 v44, v46, v44, vcc_lo
	v_lshl_add_u32 v46, 0x200000, v45, -1
	v_lshlrev_b32_e64 v57, v45, 0x100000
	s_delay_alu instid0(VALU_DEP_3) | instskip(SKIP_1) | instid1(VALU_DEP_4)
	v_lshrrev_b32_e32 v47, v45, v44
	v_add_nc_u32_e32 v45, v45, v42
	v_and_b32_e32 v44, v46, v44
	s_delay_alu instid0(VALU_DEP_3) | instskip(NEXT) | instid1(VALU_DEP_2)
	v_bfe_u32 v56, v47, 21, 1
	v_cmp_eq_u32_e64 s7, v44, v57
	s_delay_alu instid0(VALU_DEP_2) | instskip(NEXT) | instid1(VALU_DEP_1)
	v_add_nc_u32_e32 v46, -1, v56
	v_cndmask_b32_e64 v44, 0, v46, s7
	v_lshrrev_b32_e32 v46, 23, v47
	s_mov_b32 s7, exec_lo
	s_delay_alu instid0(VALU_DEP_2) | instskip(NEXT) | instid1(VALU_DEP_2)
	v_add_nc_u32_e32 v44, v44, v47
	v_xor_b32_e32 v46, 1, v46
	s_delay_alu instid0(VALU_DEP_2) | instskip(NEXT) | instid1(VALU_DEP_1)
	v_and_b32_e32 v42, 0x1fffff, v44
	v_add_nc_u32_e32 v44, v42, v47
                                        ; implicit-def: $vgpr42
	s_delay_alu instid0(VALU_DEP_3)
	v_cmpx_ne_u32_e64 v45, v46
	s_xor_b32 s7, exec_lo, s7
; %bb.3870:                             ;   in Loop: Header=BB6_3059 Depth=2
	s_delay_alu instid0(VALU_DEP_2) | instskip(SKIP_2) | instid1(VALU_DEP_2)
	v_cmp_lt_u32_e32 vcc_lo, 0xffffff, v44
	v_sub_nc_u32_e32 v42, v45, v46
	v_cndmask_b32_e64 v45, 0, 1, vcc_lo
	v_add_co_ci_u32_e32 v42, vcc_lo, 0, v42, vcc_lo
	s_delay_alu instid0(VALU_DEP_2)
	v_lshrrev_b32_e32 v44, v45, v44
; %bb.3871:                             ;   in Loop: Header=BB6_3059 Depth=2
	s_and_not1_saveexec_b32 s7, s7
; %bb.3872:                             ;   in Loop: Header=BB6_3059 Depth=2
	s_delay_alu instid0(VALU_DEP_1)
	v_bfe_u32 v42, v44, 23, 1
; %bb.3873:                             ;   in Loop: Header=BB6_3059 Depth=2
	s_or_b32 exec_lo, exec_lo, s7
	v_lshrrev_b32_e32 v44, 21, v44
	s_delay_alu instid0(VALU_DEP_2) | instskip(SKIP_2) | instid1(VALU_DEP_2)
	v_cmp_gt_i32_e32 vcc_lo, 32, v42
	v_lshrrev_b32_e32 v43, 24, v43
	v_min_i32_e32 v45, 31, v42
	v_dual_cndmask_b32 v44, 3, v44 :: v_dual_and_b32 v43, 0x80, v43
	s_delay_alu instid0(VALU_DEP_1) | instskip(SKIP_1) | instid1(VALU_DEP_2)
	v_or_b32_e32 v42, v42, v44
	v_and_b32_e32 v46, 3, v44
	v_cmp_ne_u32_e32 vcc_lo, 0, v42
	v_lshlrev_b32_e32 v45, 2, v45
	s_delay_alu instid0(VALU_DEP_1) | instskip(NEXT) | instid1(VALU_DEP_1)
	v_or3_b32 v43, v45, v43, v46
	v_cndmask_b32_e32 v42, 0, v43, vcc_lo
.LBB6_3874:                             ;   in Loop: Header=BB6_3059 Depth=2
	s_or_b32 exec_lo, exec_lo, s23
.LBB6_3875:                             ;   in Loop: Header=BB6_3059 Depth=2
	s_delay_alu instid0(SALU_CYCLE_1) | instskip(SKIP_3) | instid1(VALU_DEP_1)
	s_or_b32 exec_lo, exec_lo, s22
	v_lshrrev_b32_e32 v44, 24, v14
	s_mov_b32 s7, 0
	s_mov_b32 s23, exec_lo
                                        ; implicit-def: $sgpr22
	v_cmpx_lt_i16_e32 0x7f, v44
	s_xor_b32 s23, exec_lo, s23
	s_cbranch_execnz .LBB6_4489
; %bb.3876:                             ;   in Loop: Header=BB6_3059 Depth=2
	s_or_saveexec_b32 s23, s23
	v_mov_b32_e32 v43, s22
	s_xor_b32 exec_lo, exec_lo, s23
	s_cbranch_execnz .LBB6_4492
.LBB6_3877:                             ;   in Loop: Header=BB6_3059 Depth=2
	s_or_b32 exec_lo, exec_lo, s23
	s_and_saveexec_b32 s22, s7
	s_cbranch_execz .LBB6_3879
.LBB6_3878:                             ;   in Loop: Header=BB6_3059 Depth=2
	v_bfe_u32 v43, v14, 24, 2
	s_delay_alu instid0(VALU_DEP_1) | instskip(NEXT) | instid1(VALU_DEP_1)
	v_clz_i32_u32_e32 v45, v43
	v_min_u32_e32 v45, 32, v45
	s_delay_alu instid0(VALU_DEP_1) | instskip(SKIP_1) | instid1(VALU_DEP_2)
	v_subrev_nc_u32_e32 v46, 29, v45
	v_sub_nc_u32_e32 v45, 30, v45
	v_lshlrev_b32_e32 v44, v46, v44
	v_bfe_u32 v46, v14, 26, 5
	v_and_b32_e32 v14, 0x80000000, v14
	s_delay_alu instid0(VALU_DEP_2) | instskip(NEXT) | instid1(VALU_DEP_4)
	v_cmp_eq_u32_e32 vcc_lo, 0, v46
	v_dual_cndmask_b32 v45, v46, v45 :: v_dual_and_b32 v44, 3, v44
	s_delay_alu instid0(VALU_DEP_1) | instskip(NEXT) | instid1(VALU_DEP_2)
	v_cndmask_b32_e32 v43, v43, v44, vcc_lo
	v_lshl_add_u32 v44, v45, 23, 0x37800000
	s_delay_alu instid0(VALU_DEP_2) | instskip(NEXT) | instid1(VALU_DEP_1)
	v_lshlrev_b32_e32 v43, 21, v43
	v_or3_b32 v43, v14, v44, v43
.LBB6_3879:                             ;   in Loop: Header=BB6_3059 Depth=2
	s_or_b32 exec_lo, exec_lo, s22
	v_lshrrev_b32_e32 v14, 24, v10
	s_mov_b32 s7, 0
	s_mov_b32 s23, exec_lo
                                        ; implicit-def: $sgpr22
	s_delay_alu instid0(VALU_DEP_1)
	v_cmpx_lt_i16_e32 0x7f, v14
	s_xor_b32 s23, exec_lo, s23
	s_cbranch_execnz .LBB6_4493
; %bb.3880:                             ;   in Loop: Header=BB6_3059 Depth=2
	s_or_saveexec_b32 s23, s23
	v_mov_b32_e32 v44, s22
	s_xor_b32 exec_lo, exec_lo, s23
	s_cbranch_execnz .LBB6_4496
.LBB6_3881:                             ;   in Loop: Header=BB6_3059 Depth=2
	s_or_b32 exec_lo, exec_lo, s23
	s_and_saveexec_b32 s22, s7
	s_cbranch_execz .LBB6_3883
.LBB6_3882:                             ;   in Loop: Header=BB6_3059 Depth=2
	v_bfe_u32 v44, v10, 24, 2
	s_delay_alu instid0(VALU_DEP_1) | instskip(NEXT) | instid1(VALU_DEP_1)
	v_clz_i32_u32_e32 v45, v44
	v_min_u32_e32 v45, 32, v45
	s_delay_alu instid0(VALU_DEP_1) | instskip(SKIP_1) | instid1(VALU_DEP_2)
	v_subrev_nc_u32_e32 v46, 29, v45
	v_sub_nc_u32_e32 v45, 30, v45
	v_lshlrev_b32_e32 v14, v46, v14
	v_bfe_u32 v46, v10, 26, 5
	v_and_b32_e32 v10, 0x80000000, v10
	s_delay_alu instid0(VALU_DEP_2) | instskip(NEXT) | instid1(VALU_DEP_4)
	v_cmp_eq_u32_e32 vcc_lo, 0, v46
	v_dual_cndmask_b32 v45, v46, v45 :: v_dual_and_b32 v14, 3, v14
	s_delay_alu instid0(VALU_DEP_1) | instskip(NEXT) | instid1(VALU_DEP_2)
	v_cndmask_b32_e32 v14, v44, v14, vcc_lo
	v_lshl_add_u32 v44, v45, 23, 0x37800000
	s_delay_alu instid0(VALU_DEP_2) | instskip(NEXT) | instid1(VALU_DEP_1)
	v_lshlrev_b32_e32 v14, 21, v14
	v_or3_b32 v44, v10, v44, v14
.LBB6_3883:                             ;   in Loop: Header=BB6_3059 Depth=2
	s_or_b32 exec_lo, exec_lo, s22
	s_delay_alu instid0(VALU_DEP_1) | instskip(NEXT) | instid1(VALU_DEP_1)
	v_mul_f32_e32 v14, v43, v44
	v_and_b32_e32 v10, 0x7f800000, v14
	s_delay_alu instid0(VALU_DEP_1)
	v_cmp_ne_u32_e32 vcc_lo, 0x7f800000, v10
	v_mov_b32_e32 v10, 0x80
	s_and_saveexec_b32 s22, vcc_lo
	s_cbranch_execz .LBB6_3891
; %bb.3884:                             ;   in Loop: Header=BB6_3059 Depth=2
	v_mov_b32_e32 v10, 0
	s_mov_b32 s23, exec_lo
	v_cmpx_ne_u32_e32 0, v14
	s_cbranch_execz .LBB6_3890
; %bb.3885:                             ;   in Loop: Header=BB6_3059 Depth=2
	v_bfe_u32 v10, v14, 23, 8
	s_delay_alu instid0(VALU_DEP_1) | instskip(SKIP_1) | instid1(VALU_DEP_2)
	v_sub_nc_u32_e32 v44, 0x70, v10
	v_cmp_gt_u32_e32 vcc_lo, 0x71, v10
	v_dual_cndmask_b32 v44, 0, v44 :: v_dual_and_b32 v43, 0x7fffff, v14
	s_delay_alu instid0(VALU_DEP_1) | instskip(SKIP_2) | instid1(VALU_DEP_4)
	v_or_b32_e32 v45, 0x800000, v43
	v_cmp_eq_u32_e32 vcc_lo, 0, v10
	v_add_nc_u32_e32 v10, 0xffffff91, v10
	v_cndmask_b32_e64 v44, v44, 0x6f, vcc_lo
	s_delay_alu instid0(VALU_DEP_4) | instskip(NEXT) | instid1(VALU_DEP_3)
	v_cndmask_b32_e32 v43, v45, v43, vcc_lo
	v_cndmask_b32_e64 v10, v10, 0xffffff92, vcc_lo
	s_delay_alu instid0(VALU_DEP_3) | instskip(NEXT) | instid1(VALU_DEP_3)
	v_lshl_add_u32 v45, 0x200000, v44, -1
	v_lshrrev_b32_e32 v46, v44, v43
	v_lshlrev_b32_e64 v56, v44, 0x100000
	s_delay_alu instid0(VALU_DEP_4) | instskip(NEXT) | instid1(VALU_DEP_4)
	v_add_nc_u32_e32 v44, v44, v10
	v_and_b32_e32 v43, v45, v43
	s_delay_alu instid0(VALU_DEP_4) | instskip(NEXT) | instid1(VALU_DEP_2)
	v_bfe_u32 v47, v46, 21, 1
	v_cmp_eq_u32_e64 s7, v43, v56
	s_delay_alu instid0(VALU_DEP_2) | instskip(NEXT) | instid1(VALU_DEP_1)
	v_add_nc_u32_e32 v45, -1, v47
	v_cndmask_b32_e64 v43, 0, v45, s7
	v_lshrrev_b32_e32 v45, 23, v46
	s_mov_b32 s7, exec_lo
	s_delay_alu instid0(VALU_DEP_2) | instskip(NEXT) | instid1(VALU_DEP_2)
	v_add_nc_u32_e32 v43, v43, v46
	v_xor_b32_e32 v45, 1, v45
	s_delay_alu instid0(VALU_DEP_2) | instskip(NEXT) | instid1(VALU_DEP_1)
	v_and_b32_e32 v10, 0x1fffff, v43
	v_add_nc_u32_e32 v43, v10, v46
                                        ; implicit-def: $vgpr10
	s_delay_alu instid0(VALU_DEP_3)
	v_cmpx_ne_u32_e64 v44, v45
	s_xor_b32 s7, exec_lo, s7
; %bb.3886:                             ;   in Loop: Header=BB6_3059 Depth=2
	s_delay_alu instid0(VALU_DEP_2) | instskip(SKIP_2) | instid1(VALU_DEP_2)
	v_cmp_lt_u32_e32 vcc_lo, 0xffffff, v43
	v_sub_nc_u32_e32 v10, v44, v45
	v_cndmask_b32_e64 v44, 0, 1, vcc_lo
	v_add_co_ci_u32_e32 v10, vcc_lo, 0, v10, vcc_lo
	s_delay_alu instid0(VALU_DEP_2)
	v_lshrrev_b32_e32 v43, v44, v43
; %bb.3887:                             ;   in Loop: Header=BB6_3059 Depth=2
	s_and_not1_saveexec_b32 s7, s7
; %bb.3888:                             ;   in Loop: Header=BB6_3059 Depth=2
	s_delay_alu instid0(VALU_DEP_1)
	v_bfe_u32 v10, v43, 23, 1
; %bb.3889:                             ;   in Loop: Header=BB6_3059 Depth=2
	s_or_b32 exec_lo, exec_lo, s7
	v_lshrrev_b32_e32 v43, 21, v43
	s_delay_alu instid0(VALU_DEP_2) | instskip(SKIP_2) | instid1(VALU_DEP_2)
	v_cmp_gt_i32_e32 vcc_lo, 32, v10
	v_lshrrev_b32_e32 v14, 24, v14
	v_min_i32_e32 v44, 31, v10
	v_dual_cndmask_b32 v43, 3, v43 :: v_dual_and_b32 v14, 0x80, v14
	s_delay_alu instid0(VALU_DEP_2) | instskip(NEXT) | instid1(VALU_DEP_2)
	v_lshlrev_b32_e32 v44, 2, v44
	v_or_b32_e32 v10, v10, v43
	s_delay_alu instid0(VALU_DEP_1) | instskip(SKIP_1) | instid1(VALU_DEP_1)
	v_cmp_ne_u32_e32 vcc_lo, 0, v10
	v_and_b32_e32 v45, 3, v43
	v_or3_b32 v14, v44, v14, v45
	s_delay_alu instid0(VALU_DEP_1)
	v_cndmask_b32_e32 v10, 0, v14, vcc_lo
.LBB6_3890:                             ;   in Loop: Header=BB6_3059 Depth=2
	s_or_b32 exec_lo, exec_lo, s23
.LBB6_3891:                             ;   in Loop: Header=BB6_3059 Depth=2
	s_delay_alu instid0(SALU_CYCLE_1) | instskip(SKIP_3) | instid1(VALU_DEP_1)
	s_or_b32 exec_lo, exec_lo, s22
	v_and_b32_e32 v43, 0xff, v15
	s_mov_b32 s7, 0
	s_mov_b32 s23, exec_lo
                                        ; implicit-def: $sgpr22
	v_cmpx_lt_i16_e32 0x7f, v43
	s_xor_b32 s23, exec_lo, s23
	s_cbranch_execnz .LBB6_4497
; %bb.3892:                             ;   in Loop: Header=BB6_3059 Depth=2
	s_or_saveexec_b32 s23, s23
	v_mov_b32_e32 v14, s22
	s_xor_b32 exec_lo, exec_lo, s23
	s_cbranch_execnz .LBB6_4500
.LBB6_3893:                             ;   in Loop: Header=BB6_3059 Depth=2
	s_or_b32 exec_lo, exec_lo, s23
	s_and_saveexec_b32 s22, s7
	s_cbranch_execz .LBB6_3895
.LBB6_3894:                             ;   in Loop: Header=BB6_3059 Depth=2
	v_and_b32_e32 v14, 3, v15
	v_bfe_u32 v45, v15, 2, 5
	v_lshlrev_b32_e32 v46, 24, v15
	s_delay_alu instid0(VALU_DEP_3) | instskip(NEXT) | instid1(VALU_DEP_3)
	v_clz_i32_u32_e32 v43, v14
	v_cmp_eq_u32_e32 vcc_lo, 0, v45
	s_delay_alu instid0(VALU_DEP_2) | instskip(NEXT) | instid1(VALU_DEP_1)
	v_min_u32_e32 v43, 32, v43
	v_subrev_nc_u32_e32 v44, 29, v43
	v_sub_nc_u32_e32 v43, 30, v43
	s_delay_alu instid0(VALU_DEP_2) | instskip(NEXT) | instid1(VALU_DEP_1)
	v_lshlrev_b32_e32 v44, v44, v15
	v_dual_cndmask_b32 v43, v45, v43 :: v_dual_and_b32 v44, 3, v44
	s_delay_alu instid0(VALU_DEP_1) | instskip(NEXT) | instid1(VALU_DEP_2)
	v_lshl_add_u32 v43, v43, 23, 0x37800000
	v_cndmask_b32_e32 v14, v14, v44, vcc_lo
	v_and_b32_e32 v44, 0x80000000, v46
	s_delay_alu instid0(VALU_DEP_2) | instskip(NEXT) | instid1(VALU_DEP_1)
	v_lshlrev_b32_e32 v14, 21, v14
	v_or3_b32 v14, v44, v43, v14
.LBB6_3895:                             ;   in Loop: Header=BB6_3059 Depth=2
	s_or_b32 exec_lo, exec_lo, s22
	v_and_b32_e32 v44, 0xff, v11
	s_mov_b32 s7, 0
	s_mov_b32 s23, exec_lo
                                        ; implicit-def: $sgpr22
	s_delay_alu instid0(VALU_DEP_1)
	v_cmpx_lt_i16_e32 0x7f, v44
	s_xor_b32 s23, exec_lo, s23
	s_cbranch_execnz .LBB6_4501
; %bb.3896:                             ;   in Loop: Header=BB6_3059 Depth=2
	s_or_saveexec_b32 s23, s23
	v_mov_b32_e32 v43, s22
	s_xor_b32 exec_lo, exec_lo, s23
	s_cbranch_execnz .LBB6_4504
.LBB6_3897:                             ;   in Loop: Header=BB6_3059 Depth=2
	s_or_b32 exec_lo, exec_lo, s23
	s_and_saveexec_b32 s22, s7
	s_cbranch_execz .LBB6_3899
.LBB6_3898:                             ;   in Loop: Header=BB6_3059 Depth=2
	v_bfe_u32 v46, v11, 2, 5
	v_lshlrev_b32_e32 v47, 24, v11
	s_delay_alu instid0(VALU_DEP_2) | instskip(SKIP_1) | instid1(VALU_DEP_1)
	v_cmp_eq_u32_e32 vcc_lo, 0, v46
	v_and_b32_e32 v43, 3, v11
	v_clz_i32_u32_e32 v44, v43
	s_delay_alu instid0(VALU_DEP_1) | instskip(NEXT) | instid1(VALU_DEP_1)
	v_min_u32_e32 v44, 32, v44
	v_subrev_nc_u32_e32 v45, 29, v44
	v_sub_nc_u32_e32 v44, 30, v44
	s_delay_alu instid0(VALU_DEP_1) | instskip(NEXT) | instid1(VALU_DEP_1)
	v_dual_cndmask_b32 v44, v46, v44 :: v_dual_lshlrev_b32 v45, v45, v11
	v_and_b32_e32 v45, 3, v45
	s_delay_alu instid0(VALU_DEP_2) | instskip(NEXT) | instid1(VALU_DEP_2)
	v_lshl_add_u32 v44, v44, 23, 0x37800000
	v_cndmask_b32_e32 v43, v43, v45, vcc_lo
	v_and_b32_e32 v45, 0x80000000, v47
	s_delay_alu instid0(VALU_DEP_2) | instskip(NEXT) | instid1(VALU_DEP_1)
	v_lshlrev_b32_e32 v43, 21, v43
	v_or3_b32 v43, v45, v44, v43
.LBB6_3899:                             ;   in Loop: Header=BB6_3059 Depth=2
	s_or_b32 exec_lo, exec_lo, s22
	s_delay_alu instid0(VALU_DEP_1) | instskip(NEXT) | instid1(VALU_DEP_1)
	v_mul_f32_e32 v43, v14, v43
	v_and_b32_e32 v14, 0x7f800000, v43
	s_delay_alu instid0(VALU_DEP_1)
	v_cmp_ne_u32_e32 vcc_lo, 0x7f800000, v14
	v_mov_b32_e32 v14, 0x80
	s_and_saveexec_b32 s22, vcc_lo
	s_cbranch_execz .LBB6_3907
; %bb.3900:                             ;   in Loop: Header=BB6_3059 Depth=2
	v_mov_b32_e32 v14, 0
	s_mov_b32 s23, exec_lo
	v_cmpx_ne_u32_e32 0, v43
	s_cbranch_execz .LBB6_3906
; %bb.3901:                             ;   in Loop: Header=BB6_3059 Depth=2
	v_bfe_u32 v14, v43, 23, 8
	s_delay_alu instid0(VALU_DEP_1) | instskip(SKIP_1) | instid1(VALU_DEP_2)
	v_sub_nc_u32_e32 v45, 0x70, v14
	v_cmp_gt_u32_e32 vcc_lo, 0x71, v14
	v_dual_cndmask_b32 v45, 0, v45 :: v_dual_and_b32 v44, 0x7fffff, v43
	s_delay_alu instid0(VALU_DEP_1) | instskip(SKIP_2) | instid1(VALU_DEP_4)
	v_or_b32_e32 v46, 0x800000, v44
	v_cmp_eq_u32_e32 vcc_lo, 0, v14
	v_add_nc_u32_e32 v14, 0xffffff91, v14
	v_cndmask_b32_e64 v45, v45, 0x6f, vcc_lo
	s_delay_alu instid0(VALU_DEP_2) | instskip(SKIP_1) | instid1(VALU_DEP_3)
	v_cndmask_b32_e64 v14, v14, 0xffffff92, vcc_lo
	v_cndmask_b32_e32 v44, v46, v44, vcc_lo
	v_lshl_add_u32 v46, 0x200000, v45, -1
	v_lshlrev_b32_e64 v57, v45, 0x100000
	s_delay_alu instid0(VALU_DEP_3) | instskip(SKIP_1) | instid1(VALU_DEP_4)
	v_lshrrev_b32_e32 v47, v45, v44
	v_add_nc_u32_e32 v45, v45, v14
	v_and_b32_e32 v44, v46, v44
	s_delay_alu instid0(VALU_DEP_3) | instskip(NEXT) | instid1(VALU_DEP_2)
	v_bfe_u32 v56, v47, 21, 1
	v_cmp_eq_u32_e64 s7, v44, v57
	s_delay_alu instid0(VALU_DEP_2) | instskip(NEXT) | instid1(VALU_DEP_1)
	v_add_nc_u32_e32 v46, -1, v56
	v_cndmask_b32_e64 v44, 0, v46, s7
	v_lshrrev_b32_e32 v46, 23, v47
	s_mov_b32 s7, exec_lo
	s_delay_alu instid0(VALU_DEP_2) | instskip(NEXT) | instid1(VALU_DEP_2)
	v_add_nc_u32_e32 v44, v44, v47
	v_xor_b32_e32 v46, 1, v46
	s_delay_alu instid0(VALU_DEP_2) | instskip(NEXT) | instid1(VALU_DEP_1)
	v_and_b32_e32 v14, 0x1fffff, v44
	v_add_nc_u32_e32 v44, v14, v47
                                        ; implicit-def: $vgpr14
	s_delay_alu instid0(VALU_DEP_3)
	v_cmpx_ne_u32_e64 v45, v46
	s_xor_b32 s7, exec_lo, s7
; %bb.3902:                             ;   in Loop: Header=BB6_3059 Depth=2
	s_delay_alu instid0(VALU_DEP_2) | instskip(SKIP_2) | instid1(VALU_DEP_2)
	v_cmp_lt_u32_e32 vcc_lo, 0xffffff, v44
	v_sub_nc_u32_e32 v14, v45, v46
	v_cndmask_b32_e64 v45, 0, 1, vcc_lo
	v_add_co_ci_u32_e32 v14, vcc_lo, 0, v14, vcc_lo
	s_delay_alu instid0(VALU_DEP_2)
	v_lshrrev_b32_e32 v44, v45, v44
; %bb.3903:                             ;   in Loop: Header=BB6_3059 Depth=2
	s_and_not1_saveexec_b32 s7, s7
; %bb.3904:                             ;   in Loop: Header=BB6_3059 Depth=2
	s_delay_alu instid0(VALU_DEP_1)
	v_bfe_u32 v14, v44, 23, 1
; %bb.3905:                             ;   in Loop: Header=BB6_3059 Depth=2
	s_or_b32 exec_lo, exec_lo, s7
	v_lshrrev_b32_e32 v44, 21, v44
	s_delay_alu instid0(VALU_DEP_2) | instskip(SKIP_2) | instid1(VALU_DEP_2)
	v_cmp_gt_i32_e32 vcc_lo, 32, v14
	v_lshrrev_b32_e32 v43, 24, v43
	v_min_i32_e32 v45, 31, v14
	v_dual_cndmask_b32 v44, 3, v44 :: v_dual_and_b32 v43, 0x80, v43
	s_delay_alu instid0(VALU_DEP_1) | instskip(SKIP_1) | instid1(VALU_DEP_2)
	v_or_b32_e32 v14, v14, v44
	v_and_b32_e32 v46, 3, v44
	v_cmp_ne_u32_e32 vcc_lo, 0, v14
	v_lshlrev_b32_e32 v45, 2, v45
	s_delay_alu instid0(VALU_DEP_1) | instskip(NEXT) | instid1(VALU_DEP_1)
	v_or3_b32 v43, v45, v43, v46
	v_cndmask_b32_e32 v14, 0, v43, vcc_lo
.LBB6_3906:                             ;   in Loop: Header=BB6_3059 Depth=2
	s_or_b32 exec_lo, exec_lo, s23
.LBB6_3907:                             ;   in Loop: Header=BB6_3059 Depth=2
	s_delay_alu instid0(SALU_CYCLE_1) | instskip(SKIP_3) | instid1(VALU_DEP_1)
	s_or_b32 exec_lo, exec_lo, s22
	v_lshrrev_b16 v44, 8, v15
	s_mov_b32 s7, 0
	s_mov_b32 s23, exec_lo
                                        ; implicit-def: $sgpr22
	v_cmpx_lt_i16_e32 0x7f, v44
	s_xor_b32 s23, exec_lo, s23
	s_cbranch_execnz .LBB6_4505
; %bb.3908:                             ;   in Loop: Header=BB6_3059 Depth=2
	s_or_saveexec_b32 s23, s23
	v_mov_b32_e32 v43, s22
	s_xor_b32 exec_lo, exec_lo, s23
	s_cbranch_execnz .LBB6_4508
.LBB6_3909:                             ;   in Loop: Header=BB6_3059 Depth=2
	s_or_b32 exec_lo, exec_lo, s23
	s_and_saveexec_b32 s22, s7
	s_cbranch_execz .LBB6_3911
.LBB6_3910:                             ;   in Loop: Header=BB6_3059 Depth=2
	v_and_b32_e32 v43, 0xffff, v44
	s_delay_alu instid0(VALU_DEP_1) | instskip(NEXT) | instid1(VALU_DEP_1)
	v_and_b32_e32 v45, 3, v43
	v_clz_i32_u32_e32 v46, v45
	s_delay_alu instid0(VALU_DEP_1) | instskip(NEXT) | instid1(VALU_DEP_1)
	v_min_u32_e32 v46, 32, v46
	v_subrev_nc_u32_e32 v47, 29, v46
	v_sub_nc_u32_e32 v46, 30, v46
	s_delay_alu instid0(VALU_DEP_2) | instskip(SKIP_1) | instid1(VALU_DEP_2)
	v_lshlrev_b32_e32 v47, v47, v43
	v_bfe_u32 v43, v43, 2, 5
	v_and_b32_e32 v47, 3, v47
	s_delay_alu instid0(VALU_DEP_2) | instskip(SKIP_1) | instid1(VALU_DEP_1)
	v_cmp_eq_u32_e32 vcc_lo, 0, v43
	v_dual_cndmask_b32 v43, v43, v46 :: v_dual_lshlrev_b32 v44, 24, v44
	v_dual_cndmask_b32 v45, v45, v47 :: v_dual_and_b32 v44, 0x80000000, v44
	s_delay_alu instid0(VALU_DEP_2) | instskip(NEXT) | instid1(VALU_DEP_2)
	v_lshl_add_u32 v43, v43, 23, 0x37800000
	v_lshlrev_b32_e32 v45, 21, v45
	s_delay_alu instid0(VALU_DEP_1)
	v_or3_b32 v43, v44, v43, v45
.LBB6_3911:                             ;   in Loop: Header=BB6_3059 Depth=2
	s_or_b32 exec_lo, exec_lo, s22
	v_lshrrev_b16 v44, 8, v11
	s_mov_b32 s7, 0
	s_mov_b32 s23, exec_lo
                                        ; implicit-def: $sgpr22
	s_delay_alu instid0(VALU_DEP_1)
	v_cmpx_lt_i16_e32 0x7f, v44
	s_xor_b32 s23, exec_lo, s23
	s_cbranch_execnz .LBB6_4509
; %bb.3912:                             ;   in Loop: Header=BB6_3059 Depth=2
	s_or_saveexec_b32 s23, s23
	v_mov_b32_e32 v45, s22
	s_xor_b32 exec_lo, exec_lo, s23
	s_cbranch_execnz .LBB6_4512
.LBB6_3913:                             ;   in Loop: Header=BB6_3059 Depth=2
	s_or_b32 exec_lo, exec_lo, s23
	s_and_saveexec_b32 s22, s7
	s_cbranch_execz .LBB6_3915
.LBB6_3914:                             ;   in Loop: Header=BB6_3059 Depth=2
	v_and_b32_e32 v45, 0xffff, v44
	v_lshlrev_b32_e32 v44, 24, v44
	s_delay_alu instid0(VALU_DEP_2) | instskip(NEXT) | instid1(VALU_DEP_2)
	v_and_b32_e32 v46, 3, v45
	v_and_b32_e32 v44, 0x80000000, v44
	s_delay_alu instid0(VALU_DEP_2) | instskip(NEXT) | instid1(VALU_DEP_1)
	v_clz_i32_u32_e32 v47, v46
	v_min_u32_e32 v47, 32, v47
	s_delay_alu instid0(VALU_DEP_1) | instskip(SKIP_1) | instid1(VALU_DEP_2)
	v_subrev_nc_u32_e32 v56, 29, v47
	v_sub_nc_u32_e32 v47, 30, v47
	v_lshlrev_b32_e32 v56, v56, v45
	v_bfe_u32 v45, v45, 2, 5
	s_delay_alu instid0(VALU_DEP_2) | instskip(NEXT) | instid1(VALU_DEP_2)
	v_and_b32_e32 v56, 3, v56
	v_cmp_eq_u32_e32 vcc_lo, 0, v45
	s_delay_alu instid0(VALU_DEP_2) | instskip(NEXT) | instid1(VALU_DEP_1)
	v_dual_cndmask_b32 v45, v45, v47 :: v_dual_cndmask_b32 v46, v46, v56
	v_lshl_add_u32 v45, v45, 23, 0x37800000
	s_delay_alu instid0(VALU_DEP_2) | instskip(NEXT) | instid1(VALU_DEP_1)
	v_lshlrev_b32_e32 v46, 21, v46
	v_or3_b32 v45, v44, v45, v46
.LBB6_3915:                             ;   in Loop: Header=BB6_3059 Depth=2
	s_or_b32 exec_lo, exec_lo, s22
	s_delay_alu instid0(VALU_DEP_1) | instskip(NEXT) | instid1(VALU_DEP_1)
	v_mul_f32_e32 v44, v43, v45
	v_and_b32_e32 v43, 0x7f800000, v44
	s_delay_alu instid0(VALU_DEP_1)
	v_cmp_ne_u32_e32 vcc_lo, 0x7f800000, v43
	v_mov_b32_e32 v43, 0x8000
	s_and_saveexec_b32 s22, vcc_lo
	s_cbranch_execz .LBB6_3923
; %bb.3916:                             ;   in Loop: Header=BB6_3059 Depth=2
	v_mov_b32_e32 v43, 0
	s_mov_b32 s23, exec_lo
	v_cmpx_ne_u32_e32 0, v44
	s_cbranch_execz .LBB6_3922
; %bb.3917:                             ;   in Loop: Header=BB6_3059 Depth=2
	v_bfe_u32 v43, v44, 23, 8
	s_delay_alu instid0(VALU_DEP_1) | instskip(SKIP_1) | instid1(VALU_DEP_2)
	v_sub_nc_u32_e32 v46, 0x70, v43
	v_cmp_gt_u32_e32 vcc_lo, 0x71, v43
	v_dual_cndmask_b32 v46, 0, v46 :: v_dual_and_b32 v45, 0x7fffff, v44
	s_delay_alu instid0(VALU_DEP_1) | instskip(SKIP_2) | instid1(VALU_DEP_4)
	v_or_b32_e32 v47, 0x800000, v45
	v_cmp_eq_u32_e32 vcc_lo, 0, v43
	v_add_nc_u32_e32 v43, 0xffffff91, v43
	v_cndmask_b32_e64 v46, v46, 0x6f, vcc_lo
	s_delay_alu instid0(VALU_DEP_2) | instskip(SKIP_1) | instid1(VALU_DEP_3)
	v_cndmask_b32_e64 v43, v43, 0xffffff92, vcc_lo
	v_cndmask_b32_e32 v45, v47, v45, vcc_lo
	v_lshl_add_u32 v47, 0x200000, v46, -1
	v_lshlrev_b32_e64 v58, v46, 0x100000
	s_delay_alu instid0(VALU_DEP_3) | instskip(SKIP_1) | instid1(VALU_DEP_4)
	v_lshrrev_b32_e32 v56, v46, v45
	v_add_nc_u32_e32 v46, v46, v43
	v_and_b32_e32 v45, v47, v45
	s_delay_alu instid0(VALU_DEP_3) | instskip(NEXT) | instid1(VALU_DEP_2)
	v_bfe_u32 v57, v56, 21, 1
	v_cmp_eq_u32_e64 s7, v45, v58
	s_delay_alu instid0(VALU_DEP_2) | instskip(NEXT) | instid1(VALU_DEP_1)
	v_add_nc_u32_e32 v47, -1, v57
	v_cndmask_b32_e64 v45, 0, v47, s7
	v_lshrrev_b32_e32 v47, 23, v56
	s_mov_b32 s7, exec_lo
	s_delay_alu instid0(VALU_DEP_2) | instskip(NEXT) | instid1(VALU_DEP_2)
	v_add_nc_u32_e32 v45, v45, v56
	v_xor_b32_e32 v47, 1, v47
	s_delay_alu instid0(VALU_DEP_2) | instskip(NEXT) | instid1(VALU_DEP_1)
	v_and_b32_e32 v43, 0x1fffff, v45
	v_add_nc_u32_e32 v45, v43, v56
                                        ; implicit-def: $vgpr43
	s_delay_alu instid0(VALU_DEP_3)
	v_cmpx_ne_u32_e64 v46, v47
	s_xor_b32 s7, exec_lo, s7
; %bb.3918:                             ;   in Loop: Header=BB6_3059 Depth=2
	s_delay_alu instid0(VALU_DEP_2) | instskip(SKIP_2) | instid1(VALU_DEP_2)
	v_cmp_lt_u32_e32 vcc_lo, 0xffffff, v45
	v_sub_nc_u32_e32 v43, v46, v47
	v_cndmask_b32_e64 v46, 0, 1, vcc_lo
	v_add_co_ci_u32_e32 v43, vcc_lo, 0, v43, vcc_lo
	s_delay_alu instid0(VALU_DEP_2)
	v_lshrrev_b32_e32 v45, v46, v45
; %bb.3919:                             ;   in Loop: Header=BB6_3059 Depth=2
	s_and_not1_saveexec_b32 s7, s7
; %bb.3920:                             ;   in Loop: Header=BB6_3059 Depth=2
	s_delay_alu instid0(VALU_DEP_1)
	v_bfe_u32 v43, v45, 23, 1
; %bb.3921:                             ;   in Loop: Header=BB6_3059 Depth=2
	s_or_b32 exec_lo, exec_lo, s7
	v_lshrrev_b32_e32 v45, 21, v45
	s_delay_alu instid0(VALU_DEP_2) | instskip(SKIP_2) | instid1(VALU_DEP_2)
	v_cmp_gt_i32_e32 vcc_lo, 32, v43
	v_min_i32_e32 v46, 31, v43
	v_lshrrev_b32_e32 v44, 24, v44
	v_dual_cndmask_b32 v45, 3, v45 :: v_dual_lshlrev_b32 v46, 2, v46
	s_delay_alu instid0(VALU_DEP_2) | instskip(NEXT) | instid1(VALU_DEP_2)
	v_and_b32_e32 v44, 0x80, v44
	v_or_b32_e32 v43, v43, v45
	v_and_b32_e32 v47, 3, v45
	s_delay_alu instid0(VALU_DEP_2) | instskip(SKIP_1) | instid1(VALU_DEP_1)
	v_cmp_ne_u32_e32 vcc_lo, 0, v43
	v_and_b32_e32 v46, 0xfc, v46
	v_or3_b32 v44, v44, v46, v47
	s_delay_alu instid0(VALU_DEP_1) | instskip(NEXT) | instid1(VALU_DEP_1)
	v_lshlrev_b32_e32 v44, 8, v44
	v_cndmask_b32_e32 v43, 0, v44, vcc_lo
.LBB6_3922:                             ;   in Loop: Header=BB6_3059 Depth=2
	s_or_b32 exec_lo, exec_lo, s23
.LBB6_3923:                             ;   in Loop: Header=BB6_3059 Depth=2
	s_delay_alu instid0(SALU_CYCLE_1) | instskip(SKIP_3) | instid1(VALU_DEP_1)
	s_or_b32 exec_lo, exec_lo, s22
	v_lshrrev_b32_e32 v45, 16, v15
	s_mov_b32 s7, 0
	s_mov_b32 s23, exec_lo
                                        ; implicit-def: $sgpr22
	v_and_b32_e32 v46, 0xff, v45
	s_delay_alu instid0(VALU_DEP_1)
	v_cmpx_lt_i16_e32 0x7f, v46
	s_xor_b32 s23, exec_lo, s23
	s_cbranch_execnz .LBB6_4513
; %bb.3924:                             ;   in Loop: Header=BB6_3059 Depth=2
	s_or_saveexec_b32 s23, s23
	v_mov_b32_e32 v44, s22
	s_xor_b32 exec_lo, exec_lo, s23
	s_cbranch_execnz .LBB6_4516
.LBB6_3925:                             ;   in Loop: Header=BB6_3059 Depth=2
	s_or_b32 exec_lo, exec_lo, s23
	s_and_saveexec_b32 s22, s7
	s_cbranch_execz .LBB6_3927
.LBB6_3926:                             ;   in Loop: Header=BB6_3059 Depth=2
	v_bfe_u32 v44, v15, 16, 2
	v_lshlrev_b32_e32 v56, 8, v15
	s_delay_alu instid0(VALU_DEP_2) | instskip(NEXT) | instid1(VALU_DEP_1)
	v_clz_i32_u32_e32 v46, v44
	v_min_u32_e32 v46, 32, v46
	s_delay_alu instid0(VALU_DEP_1) | instskip(SKIP_1) | instid1(VALU_DEP_2)
	v_subrev_nc_u32_e32 v47, 29, v46
	v_sub_nc_u32_e32 v46, 30, v46
	v_lshlrev_b32_e32 v45, v47, v45
	v_bfe_u32 v47, v15, 18, 5
	s_delay_alu instid0(VALU_DEP_1) | instskip(NEXT) | instid1(VALU_DEP_3)
	v_cmp_eq_u32_e32 vcc_lo, 0, v47
	v_dual_cndmask_b32 v46, v47, v46 :: v_dual_and_b32 v45, 3, v45
	s_delay_alu instid0(VALU_DEP_1) | instskip(NEXT) | instid1(VALU_DEP_2)
	v_dual_cndmask_b32 v44, v44, v45 :: v_dual_and_b32 v45, 0x80000000, v56
	v_lshl_add_u32 v46, v46, 23, 0x37800000
	s_delay_alu instid0(VALU_DEP_2) | instskip(NEXT) | instid1(VALU_DEP_1)
	v_lshlrev_b32_e32 v44, 21, v44
	v_or3_b32 v44, v45, v46, v44
.LBB6_3927:                             ;   in Loop: Header=BB6_3059 Depth=2
	s_or_b32 exec_lo, exec_lo, s22
	v_lshrrev_b32_e32 v45, 16, v11
	s_mov_b32 s7, 0
	s_mov_b32 s23, exec_lo
                                        ; implicit-def: $sgpr22
	s_delay_alu instid0(VALU_DEP_1) | instskip(NEXT) | instid1(VALU_DEP_1)
	v_and_b32_e32 v47, 0xff, v45
	v_cmpx_lt_i16_e32 0x7f, v47
	s_xor_b32 s23, exec_lo, s23
	s_cbranch_execnz .LBB6_4517
; %bb.3928:                             ;   in Loop: Header=BB6_3059 Depth=2
	s_or_saveexec_b32 s23, s23
	v_mov_b32_e32 v46, s22
	s_xor_b32 exec_lo, exec_lo, s23
	s_cbranch_execnz .LBB6_4520
.LBB6_3929:                             ;   in Loop: Header=BB6_3059 Depth=2
	s_or_b32 exec_lo, exec_lo, s23
	s_and_saveexec_b32 s22, s7
	s_cbranch_execz .LBB6_3931
.LBB6_3930:                             ;   in Loop: Header=BB6_3059 Depth=2
	v_bfe_u32 v46, v11, 16, 2
	v_lshlrev_b32_e32 v57, 8, v11
	s_delay_alu instid0(VALU_DEP_2) | instskip(NEXT) | instid1(VALU_DEP_1)
	v_clz_i32_u32_e32 v47, v46
	v_min_u32_e32 v47, 32, v47
	s_delay_alu instid0(VALU_DEP_1) | instskip(SKIP_1) | instid1(VALU_DEP_2)
	v_subrev_nc_u32_e32 v56, 29, v47
	v_sub_nc_u32_e32 v47, 30, v47
	v_lshlrev_b32_e32 v45, v56, v45
	v_bfe_u32 v56, v11, 18, 5
	s_delay_alu instid0(VALU_DEP_2) | instskip(NEXT) | instid1(VALU_DEP_2)
	v_and_b32_e32 v45, 3, v45
	v_cmp_eq_u32_e32 vcc_lo, 0, v56
	v_cndmask_b32_e32 v47, v56, v47, vcc_lo
	s_delay_alu instid0(VALU_DEP_3) | instskip(SKIP_1) | instid1(VALU_DEP_3)
	v_cndmask_b32_e32 v45, v46, v45, vcc_lo
	v_and_b32_e32 v46, 0x80000000, v57
	v_lshl_add_u32 v47, v47, 23, 0x37800000
	s_delay_alu instid0(VALU_DEP_3) | instskip(NEXT) | instid1(VALU_DEP_1)
	v_lshlrev_b32_e32 v45, 21, v45
	v_or3_b32 v46, v46, v47, v45
.LBB6_3931:                             ;   in Loop: Header=BB6_3059 Depth=2
	s_or_b32 exec_lo, exec_lo, s22
	s_delay_alu instid0(VALU_DEP_1) | instskip(NEXT) | instid1(VALU_DEP_1)
	v_mul_f32_e32 v45, v44, v46
	v_and_b32_e32 v44, 0x7f800000, v45
	s_delay_alu instid0(VALU_DEP_1)
	v_cmp_ne_u32_e32 vcc_lo, 0x7f800000, v44
	v_mov_b32_e32 v44, 0x80
	s_and_saveexec_b32 s22, vcc_lo
	s_cbranch_execz .LBB6_3939
; %bb.3932:                             ;   in Loop: Header=BB6_3059 Depth=2
	v_mov_b32_e32 v44, 0
	s_mov_b32 s23, exec_lo
	v_cmpx_ne_u32_e32 0, v45
	s_cbranch_execz .LBB6_3938
; %bb.3933:                             ;   in Loop: Header=BB6_3059 Depth=2
	v_bfe_u32 v44, v45, 23, 8
	s_delay_alu instid0(VALU_DEP_1) | instskip(SKIP_1) | instid1(VALU_DEP_2)
	v_sub_nc_u32_e32 v47, 0x70, v44
	v_cmp_gt_u32_e32 vcc_lo, 0x71, v44
	v_dual_cndmask_b32 v47, 0, v47 :: v_dual_and_b32 v46, 0x7fffff, v45
	s_delay_alu instid0(VALU_DEP_1) | instskip(SKIP_2) | instid1(VALU_DEP_4)
	v_or_b32_e32 v56, 0x800000, v46
	v_cmp_eq_u32_e32 vcc_lo, 0, v44
	v_add_nc_u32_e32 v44, 0xffffff91, v44
	v_cndmask_b32_e64 v47, v47, 0x6f, vcc_lo
	s_delay_alu instid0(VALU_DEP_2) | instskip(SKIP_1) | instid1(VALU_DEP_3)
	v_cndmask_b32_e64 v44, v44, 0xffffff92, vcc_lo
	v_cndmask_b32_e32 v46, v56, v46, vcc_lo
	v_lshl_add_u32 v56, 0x200000, v47, -1
	v_lshlrev_b32_e64 v59, v47, 0x100000
	s_delay_alu instid0(VALU_DEP_3) | instskip(SKIP_1) | instid1(VALU_DEP_4)
	v_lshrrev_b32_e32 v57, v47, v46
	v_add_nc_u32_e32 v47, v47, v44
	v_and_b32_e32 v46, v56, v46
	s_delay_alu instid0(VALU_DEP_3) | instskip(NEXT) | instid1(VALU_DEP_2)
	v_bfe_u32 v58, v57, 21, 1
	v_cmp_eq_u32_e64 s7, v46, v59
	s_delay_alu instid0(VALU_DEP_2) | instskip(NEXT) | instid1(VALU_DEP_1)
	v_add_nc_u32_e32 v56, -1, v58
	v_cndmask_b32_e64 v46, 0, v56, s7
	v_lshrrev_b32_e32 v56, 23, v57
	s_mov_b32 s7, exec_lo
	s_delay_alu instid0(VALU_DEP_2) | instskip(NEXT) | instid1(VALU_DEP_2)
	v_add_nc_u32_e32 v46, v46, v57
	v_xor_b32_e32 v56, 1, v56
	s_delay_alu instid0(VALU_DEP_2) | instskip(NEXT) | instid1(VALU_DEP_1)
	v_and_b32_e32 v44, 0x1fffff, v46
	v_add_nc_u32_e32 v46, v44, v57
                                        ; implicit-def: $vgpr44
	s_delay_alu instid0(VALU_DEP_3)
	v_cmpx_ne_u32_e64 v47, v56
	s_xor_b32 s7, exec_lo, s7
; %bb.3934:                             ;   in Loop: Header=BB6_3059 Depth=2
	s_delay_alu instid0(VALU_DEP_2) | instskip(SKIP_2) | instid1(VALU_DEP_2)
	v_cmp_lt_u32_e32 vcc_lo, 0xffffff, v46
	v_sub_nc_u32_e32 v44, v47, v56
	v_cndmask_b32_e64 v47, 0, 1, vcc_lo
	v_add_co_ci_u32_e32 v44, vcc_lo, 0, v44, vcc_lo
	s_delay_alu instid0(VALU_DEP_2)
	v_lshrrev_b32_e32 v46, v47, v46
; %bb.3935:                             ;   in Loop: Header=BB6_3059 Depth=2
	s_and_not1_saveexec_b32 s7, s7
; %bb.3936:                             ;   in Loop: Header=BB6_3059 Depth=2
	s_delay_alu instid0(VALU_DEP_1)
	v_bfe_u32 v44, v46, 23, 1
; %bb.3937:                             ;   in Loop: Header=BB6_3059 Depth=2
	s_or_b32 exec_lo, exec_lo, s7
	v_lshrrev_b32_e32 v46, 21, v46
	s_delay_alu instid0(VALU_DEP_2) | instskip(SKIP_2) | instid1(VALU_DEP_2)
	v_cmp_gt_i32_e32 vcc_lo, 32, v44
	v_min_i32_e32 v47, 31, v44
	v_lshrrev_b32_e32 v45, 24, v45
	v_dual_cndmask_b32 v46, 3, v46 :: v_dual_lshlrev_b32 v47, 2, v47
	s_delay_alu instid0(VALU_DEP_2) | instskip(NEXT) | instid1(VALU_DEP_2)
	v_and_b32_e32 v45, 0x80, v45
	v_or_b32_e32 v44, v44, v46
	v_and_b32_e32 v56, 3, v46
	s_delay_alu instid0(VALU_DEP_2) | instskip(SKIP_1) | instid1(VALU_DEP_1)
	v_cmp_ne_u32_e32 vcc_lo, 0, v44
	v_and_b32_e32 v47, 0xfc, v47
	v_or3_b32 v45, v47, v45, v56
	s_delay_alu instid0(VALU_DEP_1)
	v_cndmask_b32_e32 v44, 0, v45, vcc_lo
.LBB6_3938:                             ;   in Loop: Header=BB6_3059 Depth=2
	s_or_b32 exec_lo, exec_lo, s23
.LBB6_3939:                             ;   in Loop: Header=BB6_3059 Depth=2
	s_delay_alu instid0(SALU_CYCLE_1) | instskip(SKIP_3) | instid1(VALU_DEP_1)
	s_or_b32 exec_lo, exec_lo, s22
	v_lshrrev_b32_e32 v46, 24, v15
	s_mov_b32 s7, 0
	s_mov_b32 s23, exec_lo
                                        ; implicit-def: $sgpr22
	v_cmpx_lt_i16_e32 0x7f, v46
	s_xor_b32 s23, exec_lo, s23
	s_cbranch_execnz .LBB6_4521
; %bb.3940:                             ;   in Loop: Header=BB6_3059 Depth=2
	s_or_saveexec_b32 s23, s23
	v_mov_b32_e32 v45, s22
	s_xor_b32 exec_lo, exec_lo, s23
	s_cbranch_execnz .LBB6_4524
.LBB6_3941:                             ;   in Loop: Header=BB6_3059 Depth=2
	s_or_b32 exec_lo, exec_lo, s23
	s_and_saveexec_b32 s22, s7
	s_cbranch_execz .LBB6_3943
.LBB6_3942:                             ;   in Loop: Header=BB6_3059 Depth=2
	v_bfe_u32 v45, v15, 24, 2
	s_delay_alu instid0(VALU_DEP_1) | instskip(NEXT) | instid1(VALU_DEP_1)
	v_clz_i32_u32_e32 v47, v45
	v_min_u32_e32 v47, 32, v47
	s_delay_alu instid0(VALU_DEP_1) | instskip(SKIP_1) | instid1(VALU_DEP_2)
	v_subrev_nc_u32_e32 v56, 29, v47
	v_sub_nc_u32_e32 v47, 30, v47
	v_lshlrev_b32_e32 v46, v56, v46
	v_bfe_u32 v56, v15, 26, 5
	v_and_b32_e32 v15, 0x80000000, v15
	s_delay_alu instid0(VALU_DEP_2) | instskip(NEXT) | instid1(VALU_DEP_4)
	v_cmp_eq_u32_e32 vcc_lo, 0, v56
	v_dual_cndmask_b32 v47, v56, v47 :: v_dual_and_b32 v46, 3, v46
	s_delay_alu instid0(VALU_DEP_1) | instskip(NEXT) | instid1(VALU_DEP_2)
	v_cndmask_b32_e32 v45, v45, v46, vcc_lo
	v_lshl_add_u32 v46, v47, 23, 0x37800000
	s_delay_alu instid0(VALU_DEP_2) | instskip(NEXT) | instid1(VALU_DEP_1)
	v_lshlrev_b32_e32 v45, 21, v45
	v_or3_b32 v45, v15, v46, v45
.LBB6_3943:                             ;   in Loop: Header=BB6_3059 Depth=2
	s_or_b32 exec_lo, exec_lo, s22
	v_lshrrev_b32_e32 v15, 24, v11
	s_mov_b32 s7, 0
	s_mov_b32 s23, exec_lo
                                        ; implicit-def: $sgpr22
	s_delay_alu instid0(VALU_DEP_1)
	v_cmpx_lt_i16_e32 0x7f, v15
	s_xor_b32 s23, exec_lo, s23
	s_cbranch_execnz .LBB6_4525
; %bb.3944:                             ;   in Loop: Header=BB6_3059 Depth=2
	s_or_saveexec_b32 s23, s23
	v_mov_b32_e32 v46, s22
	s_xor_b32 exec_lo, exec_lo, s23
	s_cbranch_execnz .LBB6_4528
.LBB6_3945:                             ;   in Loop: Header=BB6_3059 Depth=2
	s_or_b32 exec_lo, exec_lo, s23
	s_and_saveexec_b32 s22, s7
	s_cbranch_execz .LBB6_3947
.LBB6_3946:                             ;   in Loop: Header=BB6_3059 Depth=2
	v_bfe_u32 v46, v11, 24, 2
	s_delay_alu instid0(VALU_DEP_1) | instskip(NEXT) | instid1(VALU_DEP_1)
	v_clz_i32_u32_e32 v47, v46
	v_min_u32_e32 v47, 32, v47
	s_delay_alu instid0(VALU_DEP_1) | instskip(SKIP_1) | instid1(VALU_DEP_2)
	v_subrev_nc_u32_e32 v56, 29, v47
	v_sub_nc_u32_e32 v47, 30, v47
	v_lshlrev_b32_e32 v15, v56, v15
	v_bfe_u32 v56, v11, 26, 5
	v_and_b32_e32 v11, 0x80000000, v11
	s_delay_alu instid0(VALU_DEP_3) | instskip(NEXT) | instid1(VALU_DEP_3)
	v_and_b32_e32 v15, 3, v15
	v_cmp_eq_u32_e32 vcc_lo, 0, v56
	v_cndmask_b32_e32 v47, v56, v47, vcc_lo
	s_delay_alu instid0(VALU_DEP_3) | instskip(NEXT) | instid1(VALU_DEP_2)
	v_cndmask_b32_e32 v15, v46, v15, vcc_lo
	v_lshl_add_u32 v46, v47, 23, 0x37800000
	s_delay_alu instid0(VALU_DEP_2) | instskip(NEXT) | instid1(VALU_DEP_1)
	v_lshlrev_b32_e32 v15, 21, v15
	v_or3_b32 v46, v11, v46, v15
.LBB6_3947:                             ;   in Loop: Header=BB6_3059 Depth=2
	s_or_b32 exec_lo, exec_lo, s22
	s_delay_alu instid0(VALU_DEP_1) | instskip(NEXT) | instid1(VALU_DEP_1)
	v_mul_f32_e32 v15, v45, v46
	v_and_b32_e32 v11, 0x7f800000, v15
	s_delay_alu instid0(VALU_DEP_1)
	v_cmp_ne_u32_e32 vcc_lo, 0x7f800000, v11
	v_mov_b32_e32 v11, 0x8000
	s_and_saveexec_b32 s22, vcc_lo
	s_cbranch_execz .LBB6_3955
; %bb.3948:                             ;   in Loop: Header=BB6_3059 Depth=2
	v_mov_b32_e32 v11, 0
	s_mov_b32 s23, exec_lo
	v_cmpx_ne_u32_e32 0, v15
	s_cbranch_execz .LBB6_3954
; %bb.3949:                             ;   in Loop: Header=BB6_3059 Depth=2
	v_bfe_u32 v11, v15, 23, 8
	s_delay_alu instid0(VALU_DEP_1) | instskip(SKIP_1) | instid1(VALU_DEP_2)
	v_sub_nc_u32_e32 v46, 0x70, v11
	v_cmp_gt_u32_e32 vcc_lo, 0x71, v11
	v_dual_cndmask_b32 v46, 0, v46 :: v_dual_and_b32 v45, 0x7fffff, v15
	s_delay_alu instid0(VALU_DEP_1) | instskip(SKIP_2) | instid1(VALU_DEP_4)
	v_or_b32_e32 v47, 0x800000, v45
	v_cmp_eq_u32_e32 vcc_lo, 0, v11
	v_add_nc_u32_e32 v11, 0xffffff91, v11
	v_cndmask_b32_e64 v46, v46, 0x6f, vcc_lo
	s_delay_alu instid0(VALU_DEP_2) | instskip(SKIP_1) | instid1(VALU_DEP_3)
	v_cndmask_b32_e64 v11, v11, 0xffffff92, vcc_lo
	v_cndmask_b32_e32 v45, v47, v45, vcc_lo
	v_lshl_add_u32 v47, 0x200000, v46, -1
	v_lshlrev_b32_e64 v58, v46, 0x100000
	s_delay_alu instid0(VALU_DEP_3) | instskip(SKIP_1) | instid1(VALU_DEP_4)
	v_lshrrev_b32_e32 v56, v46, v45
	v_add_nc_u32_e32 v46, v46, v11
	v_and_b32_e32 v45, v47, v45
	s_delay_alu instid0(VALU_DEP_3) | instskip(NEXT) | instid1(VALU_DEP_2)
	v_bfe_u32 v57, v56, 21, 1
	v_cmp_eq_u32_e64 s7, v45, v58
	s_delay_alu instid0(VALU_DEP_2) | instskip(NEXT) | instid1(VALU_DEP_1)
	v_add_nc_u32_e32 v47, -1, v57
	v_cndmask_b32_e64 v45, 0, v47, s7
	v_lshrrev_b32_e32 v47, 23, v56
	s_mov_b32 s7, exec_lo
	s_delay_alu instid0(VALU_DEP_2) | instskip(NEXT) | instid1(VALU_DEP_2)
	v_add_nc_u32_e32 v45, v45, v56
	v_xor_b32_e32 v47, 1, v47
	s_delay_alu instid0(VALU_DEP_2) | instskip(NEXT) | instid1(VALU_DEP_1)
	v_and_b32_e32 v11, 0x1fffff, v45
	v_add_nc_u32_e32 v45, v11, v56
                                        ; implicit-def: $vgpr11
	s_delay_alu instid0(VALU_DEP_3)
	v_cmpx_ne_u32_e64 v46, v47
	s_xor_b32 s7, exec_lo, s7
; %bb.3950:                             ;   in Loop: Header=BB6_3059 Depth=2
	s_delay_alu instid0(VALU_DEP_2) | instskip(SKIP_2) | instid1(VALU_DEP_2)
	v_cmp_lt_u32_e32 vcc_lo, 0xffffff, v45
	v_sub_nc_u32_e32 v11, v46, v47
	v_cndmask_b32_e64 v46, 0, 1, vcc_lo
	v_add_co_ci_u32_e32 v11, vcc_lo, 0, v11, vcc_lo
	s_delay_alu instid0(VALU_DEP_2)
	v_lshrrev_b32_e32 v45, v46, v45
; %bb.3951:                             ;   in Loop: Header=BB6_3059 Depth=2
	s_and_not1_saveexec_b32 s7, s7
; %bb.3952:                             ;   in Loop: Header=BB6_3059 Depth=2
	s_delay_alu instid0(VALU_DEP_1)
	v_bfe_u32 v11, v45, 23, 1
; %bb.3953:                             ;   in Loop: Header=BB6_3059 Depth=2
	s_or_b32 exec_lo, exec_lo, s7
	v_lshrrev_b32_e32 v45, 21, v45
	s_delay_alu instid0(VALU_DEP_2) | instskip(SKIP_2) | instid1(VALU_DEP_2)
	v_cmp_gt_i32_e32 vcc_lo, 32, v11
	v_min_i32_e32 v46, 31, v11
	v_lshrrev_b32_e32 v15, 24, v15
	v_dual_cndmask_b32 v45, 3, v45 :: v_dual_lshlrev_b32 v46, 2, v46
	s_delay_alu instid0(VALU_DEP_2) | instskip(NEXT) | instid1(VALU_DEP_2)
	v_and_b32_e32 v15, 0x80, v15
	v_or_b32_e32 v11, v11, v45
	v_and_b32_e32 v47, 3, v45
	s_delay_alu instid0(VALU_DEP_2) | instskip(SKIP_1) | instid1(VALU_DEP_1)
	v_cmp_ne_u32_e32 vcc_lo, 0, v11
	v_and_b32_e32 v46, 0xfc, v46
	v_or3_b32 v15, v15, v46, v47
	s_delay_alu instid0(VALU_DEP_1) | instskip(NEXT) | instid1(VALU_DEP_1)
	v_lshlrev_b32_e32 v15, 8, v15
	v_cndmask_b32_e32 v11, 0, v15, vcc_lo
.LBB6_3954:                             ;   in Loop: Header=BB6_3059 Depth=2
	s_or_b32 exec_lo, exec_lo, s23
.LBB6_3955:                             ;   in Loop: Header=BB6_3059 Depth=2
	s_delay_alu instid0(SALU_CYCLE_1) | instskip(SKIP_3) | instid1(VALU_DEP_1)
	s_or_b32 exec_lo, exec_lo, s22
	v_and_b32_e32 v45, 0xff, v16
	s_mov_b32 s7, 0
	s_mov_b32 s23, exec_lo
                                        ; implicit-def: $sgpr22
	v_cmpx_lt_i16_e32 0x7f, v45
	s_xor_b32 s23, exec_lo, s23
	s_cbranch_execnz .LBB6_4529
; %bb.3956:                             ;   in Loop: Header=BB6_3059 Depth=2
	s_or_saveexec_b32 s23, s23
	v_mov_b32_e32 v15, s22
	s_xor_b32 exec_lo, exec_lo, s23
	s_cbranch_execnz .LBB6_4532
.LBB6_3957:                             ;   in Loop: Header=BB6_3059 Depth=2
	s_or_b32 exec_lo, exec_lo, s23
	s_and_saveexec_b32 s22, s7
	s_cbranch_execz .LBB6_3959
.LBB6_3958:                             ;   in Loop: Header=BB6_3059 Depth=2
	v_and_b32_e32 v15, 3, v16
	v_bfe_u32 v47, v16, 2, 5
	s_delay_alu instid0(VALU_DEP_2) | instskip(NEXT) | instid1(VALU_DEP_2)
	v_clz_i32_u32_e32 v45, v15
	v_cmp_eq_u32_e32 vcc_lo, 0, v47
	s_delay_alu instid0(VALU_DEP_2) | instskip(NEXT) | instid1(VALU_DEP_1)
	v_min_u32_e32 v45, 32, v45
	v_subrev_nc_u32_e32 v46, 29, v45
	v_sub_nc_u32_e32 v45, 30, v45
	s_delay_alu instid0(VALU_DEP_1) | instskip(NEXT) | instid1(VALU_DEP_1)
	v_dual_cndmask_b32 v45, v47, v45 :: v_dual_lshlrev_b32 v46, v46, v16
	v_and_b32_e32 v46, 3, v46
	v_lshlrev_b32_e32 v56, 24, v16
	s_delay_alu instid0(VALU_DEP_3) | instskip(NEXT) | instid1(VALU_DEP_2)
	v_lshl_add_u32 v45, v45, 23, 0x37800000
	v_dual_cndmask_b32 v15, v15, v46 :: v_dual_and_b32 v46, 0x80000000, v56
	s_delay_alu instid0(VALU_DEP_1) | instskip(NEXT) | instid1(VALU_DEP_1)
	v_lshlrev_b32_e32 v15, 21, v15
	v_or3_b32 v15, v46, v45, v15
.LBB6_3959:                             ;   in Loop: Header=BB6_3059 Depth=2
	s_or_b32 exec_lo, exec_lo, s22
	v_and_b32_e32 v46, 0xff, v12
	s_mov_b32 s7, 0
	s_mov_b32 s23, exec_lo
                                        ; implicit-def: $sgpr22
	s_delay_alu instid0(VALU_DEP_1)
	v_cmpx_lt_i16_e32 0x7f, v46
	s_xor_b32 s23, exec_lo, s23
	s_cbranch_execnz .LBB6_4533
; %bb.3960:                             ;   in Loop: Header=BB6_3059 Depth=2
	s_or_saveexec_b32 s23, s23
	v_mov_b32_e32 v45, s22
	s_xor_b32 exec_lo, exec_lo, s23
	s_cbranch_execnz .LBB6_4536
.LBB6_3961:                             ;   in Loop: Header=BB6_3059 Depth=2
	s_or_b32 exec_lo, exec_lo, s23
	s_and_saveexec_b32 s22, s7
	s_cbranch_execz .LBB6_3963
.LBB6_3962:                             ;   in Loop: Header=BB6_3059 Depth=2
	v_bfe_u32 v56, v12, 2, 5
	v_lshlrev_b32_e32 v57, 24, v12
	s_delay_alu instid0(VALU_DEP_2) | instskip(SKIP_1) | instid1(VALU_DEP_1)
	v_cmp_eq_u32_e32 vcc_lo, 0, v56
	v_and_b32_e32 v45, 3, v12
	v_clz_i32_u32_e32 v46, v45
	s_delay_alu instid0(VALU_DEP_1) | instskip(NEXT) | instid1(VALU_DEP_1)
	v_min_u32_e32 v46, 32, v46
	v_subrev_nc_u32_e32 v47, 29, v46
	v_sub_nc_u32_e32 v46, 30, v46
	s_delay_alu instid0(VALU_DEP_1) | instskip(NEXT) | instid1(VALU_DEP_1)
	v_dual_cndmask_b32 v46, v56, v46 :: v_dual_lshlrev_b32 v47, v47, v12
	v_and_b32_e32 v47, 3, v47
	s_delay_alu instid0(VALU_DEP_2) | instskip(NEXT) | instid1(VALU_DEP_2)
	v_lshl_add_u32 v46, v46, 23, 0x37800000
	v_cndmask_b32_e32 v45, v45, v47, vcc_lo
	v_and_b32_e32 v47, 0x80000000, v57
	s_delay_alu instid0(VALU_DEP_2) | instskip(NEXT) | instid1(VALU_DEP_1)
	v_lshlrev_b32_e32 v45, 21, v45
	v_or3_b32 v45, v47, v46, v45
.LBB6_3963:                             ;   in Loop: Header=BB6_3059 Depth=2
	s_or_b32 exec_lo, exec_lo, s22
	s_delay_alu instid0(VALU_DEP_1) | instskip(NEXT) | instid1(VALU_DEP_1)
	v_mul_f32_e32 v45, v15, v45
	v_and_b32_e32 v15, 0x7f800000, v45
	s_delay_alu instid0(VALU_DEP_1)
	v_cmp_ne_u32_e32 vcc_lo, 0x7f800000, v15
	v_mov_b32_e32 v15, 0x80
	s_and_saveexec_b32 s22, vcc_lo
	s_cbranch_execz .LBB6_3971
; %bb.3964:                             ;   in Loop: Header=BB6_3059 Depth=2
	v_mov_b32_e32 v15, 0
	s_mov_b32 s23, exec_lo
	v_cmpx_ne_u32_e32 0, v45
	s_cbranch_execz .LBB6_3970
; %bb.3965:                             ;   in Loop: Header=BB6_3059 Depth=2
	v_bfe_u32 v15, v45, 23, 8
	s_delay_alu instid0(VALU_DEP_1) | instskip(SKIP_1) | instid1(VALU_DEP_2)
	v_sub_nc_u32_e32 v47, 0x70, v15
	v_cmp_gt_u32_e32 vcc_lo, 0x71, v15
	v_dual_cndmask_b32 v47, 0, v47 :: v_dual_and_b32 v46, 0x7fffff, v45
	s_delay_alu instid0(VALU_DEP_1) | instskip(SKIP_2) | instid1(VALU_DEP_4)
	v_or_b32_e32 v56, 0x800000, v46
	v_cmp_eq_u32_e32 vcc_lo, 0, v15
	v_add_nc_u32_e32 v15, 0xffffff91, v15
	v_cndmask_b32_e64 v47, v47, 0x6f, vcc_lo
	s_delay_alu instid0(VALU_DEP_4) | instskip(NEXT) | instid1(VALU_DEP_3)
	v_cndmask_b32_e32 v46, v56, v46, vcc_lo
	v_cndmask_b32_e64 v15, v15, 0xffffff92, vcc_lo
	s_delay_alu instid0(VALU_DEP_3) | instskip(NEXT) | instid1(VALU_DEP_3)
	v_lshl_add_u32 v56, 0x200000, v47, -1
	v_lshrrev_b32_e32 v57, v47, v46
	v_lshlrev_b32_e64 v59, v47, 0x100000
	s_delay_alu instid0(VALU_DEP_4) | instskip(NEXT) | instid1(VALU_DEP_4)
	v_add_nc_u32_e32 v47, v47, v15
	v_and_b32_e32 v46, v56, v46
	s_delay_alu instid0(VALU_DEP_4) | instskip(NEXT) | instid1(VALU_DEP_2)
	v_bfe_u32 v58, v57, 21, 1
	v_cmp_eq_u32_e64 s7, v46, v59
	s_delay_alu instid0(VALU_DEP_2) | instskip(NEXT) | instid1(VALU_DEP_1)
	v_add_nc_u32_e32 v56, -1, v58
	v_cndmask_b32_e64 v46, 0, v56, s7
	v_lshrrev_b32_e32 v56, 23, v57
	s_mov_b32 s7, exec_lo
	s_delay_alu instid0(VALU_DEP_2) | instskip(NEXT) | instid1(VALU_DEP_2)
	v_add_nc_u32_e32 v46, v46, v57
	v_xor_b32_e32 v56, 1, v56
	s_delay_alu instid0(VALU_DEP_2) | instskip(NEXT) | instid1(VALU_DEP_1)
	v_and_b32_e32 v15, 0x1fffff, v46
	v_add_nc_u32_e32 v46, v15, v57
                                        ; implicit-def: $vgpr15
	s_delay_alu instid0(VALU_DEP_3)
	v_cmpx_ne_u32_e64 v47, v56
	s_xor_b32 s7, exec_lo, s7
; %bb.3966:                             ;   in Loop: Header=BB6_3059 Depth=2
	s_delay_alu instid0(VALU_DEP_2) | instskip(SKIP_2) | instid1(VALU_DEP_2)
	v_cmp_lt_u32_e32 vcc_lo, 0xffffff, v46
	v_sub_nc_u32_e32 v15, v47, v56
	v_cndmask_b32_e64 v47, 0, 1, vcc_lo
	v_add_co_ci_u32_e32 v15, vcc_lo, 0, v15, vcc_lo
	s_delay_alu instid0(VALU_DEP_2)
	v_lshrrev_b32_e32 v46, v47, v46
; %bb.3967:                             ;   in Loop: Header=BB6_3059 Depth=2
	s_and_not1_saveexec_b32 s7, s7
; %bb.3968:                             ;   in Loop: Header=BB6_3059 Depth=2
	s_delay_alu instid0(VALU_DEP_1)
	v_bfe_u32 v15, v46, 23, 1
; %bb.3969:                             ;   in Loop: Header=BB6_3059 Depth=2
	s_or_b32 exec_lo, exec_lo, s7
	v_lshrrev_b32_e32 v46, 21, v46
	s_delay_alu instid0(VALU_DEP_2) | instskip(SKIP_2) | instid1(VALU_DEP_2)
	v_cmp_gt_i32_e32 vcc_lo, 32, v15
	v_lshrrev_b32_e32 v45, 24, v45
	v_min_i32_e32 v47, 31, v15
	v_dual_cndmask_b32 v46, 3, v46 :: v_dual_and_b32 v45, 0x80, v45
	s_delay_alu instid0(VALU_DEP_2) | instskip(NEXT) | instid1(VALU_DEP_2)
	v_lshlrev_b32_e32 v47, 2, v47
	v_or_b32_e32 v15, v15, v46
	s_delay_alu instid0(VALU_DEP_1) | instskip(SKIP_1) | instid1(VALU_DEP_1)
	v_cmp_ne_u32_e32 vcc_lo, 0, v15
	v_and_b32_e32 v56, 3, v46
	v_or3_b32 v45, v47, v45, v56
	s_delay_alu instid0(VALU_DEP_1)
	v_cndmask_b32_e32 v15, 0, v45, vcc_lo
.LBB6_3970:                             ;   in Loop: Header=BB6_3059 Depth=2
	s_or_b32 exec_lo, exec_lo, s23
.LBB6_3971:                             ;   in Loop: Header=BB6_3059 Depth=2
	s_delay_alu instid0(SALU_CYCLE_1) | instskip(SKIP_3) | instid1(VALU_DEP_1)
	s_or_b32 exec_lo, exec_lo, s22
	v_lshrrev_b16 v46, 8, v16
	s_mov_b32 s7, 0
	s_mov_b32 s23, exec_lo
                                        ; implicit-def: $sgpr22
	v_cmpx_lt_i16_e32 0x7f, v46
	s_xor_b32 s23, exec_lo, s23
	s_cbranch_execnz .LBB6_4537
; %bb.3972:                             ;   in Loop: Header=BB6_3059 Depth=2
	s_or_saveexec_b32 s23, s23
	v_mov_b32_e32 v45, s22
	s_xor_b32 exec_lo, exec_lo, s23
	s_cbranch_execnz .LBB6_4540
.LBB6_3973:                             ;   in Loop: Header=BB6_3059 Depth=2
	s_or_b32 exec_lo, exec_lo, s23
	s_and_saveexec_b32 s22, s7
	s_cbranch_execz .LBB6_3975
.LBB6_3974:                             ;   in Loop: Header=BB6_3059 Depth=2
	v_and_b32_e32 v45, 0xffff, v46
	s_delay_alu instid0(VALU_DEP_1) | instskip(NEXT) | instid1(VALU_DEP_1)
	v_and_b32_e32 v47, 3, v45
	v_clz_i32_u32_e32 v56, v47
	s_delay_alu instid0(VALU_DEP_1) | instskip(NEXT) | instid1(VALU_DEP_1)
	v_min_u32_e32 v56, 32, v56
	v_subrev_nc_u32_e32 v57, 29, v56
	v_sub_nc_u32_e32 v56, 30, v56
	s_delay_alu instid0(VALU_DEP_2) | instskip(SKIP_1) | instid1(VALU_DEP_2)
	v_lshlrev_b32_e32 v57, v57, v45
	v_bfe_u32 v45, v45, 2, 5
	v_and_b32_e32 v57, 3, v57
	s_delay_alu instid0(VALU_DEP_2) | instskip(SKIP_1) | instid1(VALU_DEP_1)
	v_cmp_eq_u32_e32 vcc_lo, 0, v45
	v_dual_cndmask_b32 v45, v45, v56 :: v_dual_lshlrev_b32 v46, 24, v46
	v_dual_cndmask_b32 v47, v47, v57 :: v_dual_and_b32 v46, 0x80000000, v46
	s_delay_alu instid0(VALU_DEP_2) | instskip(NEXT) | instid1(VALU_DEP_2)
	v_lshl_add_u32 v45, v45, 23, 0x37800000
	v_lshlrev_b32_e32 v47, 21, v47
	s_delay_alu instid0(VALU_DEP_1)
	v_or3_b32 v45, v46, v45, v47
.LBB6_3975:                             ;   in Loop: Header=BB6_3059 Depth=2
	s_or_b32 exec_lo, exec_lo, s22
	v_lshrrev_b16 v46, 8, v12
	s_mov_b32 s7, 0
	s_mov_b32 s23, exec_lo
                                        ; implicit-def: $sgpr22
	s_delay_alu instid0(VALU_DEP_1)
	v_cmpx_lt_i16_e32 0x7f, v46
	s_xor_b32 s23, exec_lo, s23
	s_cbranch_execnz .LBB6_4541
; %bb.3976:                             ;   in Loop: Header=BB6_3059 Depth=2
	s_or_saveexec_b32 s23, s23
	v_mov_b32_e32 v47, s22
	s_xor_b32 exec_lo, exec_lo, s23
	s_cbranch_execnz .LBB6_4544
.LBB6_3977:                             ;   in Loop: Header=BB6_3059 Depth=2
	s_or_b32 exec_lo, exec_lo, s23
	s_and_saveexec_b32 s22, s7
	s_cbranch_execz .LBB6_3979
.LBB6_3978:                             ;   in Loop: Header=BB6_3059 Depth=2
	v_and_b32_e32 v47, 0xffff, v46
	v_lshlrev_b32_e32 v46, 24, v46
	s_delay_alu instid0(VALU_DEP_2) | instskip(NEXT) | instid1(VALU_DEP_2)
	v_and_b32_e32 v56, 3, v47
	v_and_b32_e32 v46, 0x80000000, v46
	s_delay_alu instid0(VALU_DEP_2) | instskip(NEXT) | instid1(VALU_DEP_1)
	v_clz_i32_u32_e32 v57, v56
	v_min_u32_e32 v57, 32, v57
	s_delay_alu instid0(VALU_DEP_1) | instskip(SKIP_1) | instid1(VALU_DEP_2)
	v_subrev_nc_u32_e32 v58, 29, v57
	v_sub_nc_u32_e32 v57, 30, v57
	v_lshlrev_b32_e32 v58, v58, v47
	v_bfe_u32 v47, v47, 2, 5
	s_delay_alu instid0(VALU_DEP_2) | instskip(NEXT) | instid1(VALU_DEP_2)
	v_and_b32_e32 v58, 3, v58
	v_cmp_eq_u32_e32 vcc_lo, 0, v47
	s_delay_alu instid0(VALU_DEP_2) | instskip(NEXT) | instid1(VALU_DEP_1)
	v_dual_cndmask_b32 v47, v47, v57 :: v_dual_cndmask_b32 v56, v56, v58
	v_lshl_add_u32 v47, v47, 23, 0x37800000
	s_delay_alu instid0(VALU_DEP_2) | instskip(NEXT) | instid1(VALU_DEP_1)
	v_lshlrev_b32_e32 v56, 21, v56
	v_or3_b32 v47, v46, v47, v56
.LBB6_3979:                             ;   in Loop: Header=BB6_3059 Depth=2
	s_or_b32 exec_lo, exec_lo, s22
	s_delay_alu instid0(VALU_DEP_1) | instskip(NEXT) | instid1(VALU_DEP_1)
	v_mul_f32_e32 v46, v45, v47
	v_and_b32_e32 v45, 0x7f800000, v46
	s_delay_alu instid0(VALU_DEP_1)
	v_cmp_ne_u32_e32 vcc_lo, 0x7f800000, v45
	v_mov_b32_e32 v45, 0x80
	s_and_saveexec_b32 s22, vcc_lo
	s_cbranch_execz .LBB6_3987
; %bb.3980:                             ;   in Loop: Header=BB6_3059 Depth=2
	v_mov_b32_e32 v45, 0
	s_mov_b32 s23, exec_lo
	v_cmpx_ne_u32_e32 0, v46
	s_cbranch_execz .LBB6_3986
; %bb.3981:                             ;   in Loop: Header=BB6_3059 Depth=2
	v_bfe_u32 v45, v46, 23, 8
	s_delay_alu instid0(VALU_DEP_1) | instskip(SKIP_1) | instid1(VALU_DEP_2)
	v_sub_nc_u32_e32 v56, 0x70, v45
	v_cmp_gt_u32_e32 vcc_lo, 0x71, v45
	v_dual_cndmask_b32 v56, 0, v56 :: v_dual_and_b32 v47, 0x7fffff, v46
	s_delay_alu instid0(VALU_DEP_1) | instskip(SKIP_2) | instid1(VALU_DEP_4)
	v_or_b32_e32 v57, 0x800000, v47
	v_cmp_eq_u32_e32 vcc_lo, 0, v45
	v_add_nc_u32_e32 v45, 0xffffff91, v45
	v_cndmask_b32_e64 v56, v56, 0x6f, vcc_lo
	s_delay_alu instid0(VALU_DEP_2) | instskip(SKIP_1) | instid1(VALU_DEP_3)
	v_cndmask_b32_e64 v45, v45, 0xffffff92, vcc_lo
	v_cndmask_b32_e32 v47, v57, v47, vcc_lo
	v_lshl_add_u32 v57, 0x200000, v56, -1
	v_lshlrev_b32_e64 v60, v56, 0x100000
	s_delay_alu instid0(VALU_DEP_3) | instskip(SKIP_1) | instid1(VALU_DEP_4)
	v_lshrrev_b32_e32 v58, v56, v47
	v_add_nc_u32_e32 v56, v56, v45
	v_and_b32_e32 v47, v57, v47
	s_delay_alu instid0(VALU_DEP_3) | instskip(NEXT) | instid1(VALU_DEP_2)
	v_bfe_u32 v59, v58, 21, 1
	v_cmp_eq_u32_e64 s7, v47, v60
	s_delay_alu instid0(VALU_DEP_2) | instskip(NEXT) | instid1(VALU_DEP_1)
	v_add_nc_u32_e32 v57, -1, v59
	v_cndmask_b32_e64 v47, 0, v57, s7
	v_lshrrev_b32_e32 v57, 23, v58
	s_mov_b32 s7, exec_lo
	s_delay_alu instid0(VALU_DEP_2) | instskip(NEXT) | instid1(VALU_DEP_2)
	v_add_nc_u32_e32 v47, v47, v58
	v_xor_b32_e32 v57, 1, v57
	s_delay_alu instid0(VALU_DEP_2) | instskip(NEXT) | instid1(VALU_DEP_1)
	v_and_b32_e32 v45, 0x1fffff, v47
	v_add_nc_u32_e32 v47, v45, v58
                                        ; implicit-def: $vgpr45
	s_delay_alu instid0(VALU_DEP_3)
	v_cmpx_ne_u32_e64 v56, v57
	s_xor_b32 s7, exec_lo, s7
; %bb.3982:                             ;   in Loop: Header=BB6_3059 Depth=2
	s_delay_alu instid0(VALU_DEP_2) | instskip(SKIP_2) | instid1(VALU_DEP_2)
	v_cmp_lt_u32_e32 vcc_lo, 0xffffff, v47
	v_sub_nc_u32_e32 v45, v56, v57
	v_cndmask_b32_e64 v56, 0, 1, vcc_lo
	v_add_co_ci_u32_e32 v45, vcc_lo, 0, v45, vcc_lo
	s_delay_alu instid0(VALU_DEP_2)
	v_lshrrev_b32_e32 v47, v56, v47
; %bb.3983:                             ;   in Loop: Header=BB6_3059 Depth=2
	s_and_not1_saveexec_b32 s7, s7
; %bb.3984:                             ;   in Loop: Header=BB6_3059 Depth=2
	s_delay_alu instid0(VALU_DEP_1)
	v_bfe_u32 v45, v47, 23, 1
; %bb.3985:                             ;   in Loop: Header=BB6_3059 Depth=2
	s_or_b32 exec_lo, exec_lo, s7
	v_lshrrev_b32_e32 v47, 21, v47
	s_delay_alu instid0(VALU_DEP_2) | instskip(SKIP_2) | instid1(VALU_DEP_2)
	v_cmp_gt_i32_e32 vcc_lo, 32, v45
	v_lshrrev_b32_e32 v46, 24, v46
	v_min_i32_e32 v56, 31, v45
	v_dual_cndmask_b32 v47, 3, v47 :: v_dual_and_b32 v46, 0x80, v46
	s_delay_alu instid0(VALU_DEP_1) | instskip(SKIP_1) | instid1(VALU_DEP_2)
	v_or_b32_e32 v45, v45, v47
	v_and_b32_e32 v57, 3, v47
	v_cmp_ne_u32_e32 vcc_lo, 0, v45
	v_lshlrev_b32_e32 v56, 2, v56
	s_delay_alu instid0(VALU_DEP_1) | instskip(NEXT) | instid1(VALU_DEP_1)
	v_or3_b32 v46, v56, v46, v57
	v_cndmask_b32_e32 v45, 0, v46, vcc_lo
.LBB6_3986:                             ;   in Loop: Header=BB6_3059 Depth=2
	s_or_b32 exec_lo, exec_lo, s23
.LBB6_3987:                             ;   in Loop: Header=BB6_3059 Depth=2
	s_delay_alu instid0(SALU_CYCLE_1) | instskip(SKIP_3) | instid1(VALU_DEP_1)
	s_or_b32 exec_lo, exec_lo, s22
	v_lshrrev_b32_e32 v47, 16, v16
	s_mov_b32 s7, 0
	s_mov_b32 s23, exec_lo
                                        ; implicit-def: $sgpr22
	v_and_b32_e32 v56, 0xff, v47
	s_delay_alu instid0(VALU_DEP_1)
	v_cmpx_lt_i16_e32 0x7f, v56
	s_xor_b32 s23, exec_lo, s23
	s_cbranch_execnz .LBB6_4545
; %bb.3988:                             ;   in Loop: Header=BB6_3059 Depth=2
	s_or_saveexec_b32 s23, s23
	v_mov_b32_e32 v46, s22
	s_xor_b32 exec_lo, exec_lo, s23
	s_cbranch_execnz .LBB6_4548
.LBB6_3989:                             ;   in Loop: Header=BB6_3059 Depth=2
	s_or_b32 exec_lo, exec_lo, s23
	s_and_saveexec_b32 s22, s7
	s_cbranch_execz .LBB6_3991
.LBB6_3990:                             ;   in Loop: Header=BB6_3059 Depth=2
	v_bfe_u32 v46, v16, 16, 2
	v_lshlrev_b32_e32 v58, 8, v16
	s_delay_alu instid0(VALU_DEP_2) | instskip(NEXT) | instid1(VALU_DEP_1)
	v_clz_i32_u32_e32 v56, v46
	v_min_u32_e32 v56, 32, v56
	s_delay_alu instid0(VALU_DEP_1) | instskip(SKIP_1) | instid1(VALU_DEP_2)
	v_subrev_nc_u32_e32 v57, 29, v56
	v_sub_nc_u32_e32 v56, 30, v56
	v_lshlrev_b32_e32 v47, v57, v47
	v_bfe_u32 v57, v16, 18, 5
	s_delay_alu instid0(VALU_DEP_1) | instskip(NEXT) | instid1(VALU_DEP_3)
	v_cmp_eq_u32_e32 vcc_lo, 0, v57
	v_dual_cndmask_b32 v56, v57, v56 :: v_dual_and_b32 v47, 3, v47
	s_delay_alu instid0(VALU_DEP_1) | instskip(NEXT) | instid1(VALU_DEP_2)
	v_dual_cndmask_b32 v46, v46, v47 :: v_dual_and_b32 v47, 0x80000000, v58
	v_lshl_add_u32 v56, v56, 23, 0x37800000
	s_delay_alu instid0(VALU_DEP_2) | instskip(NEXT) | instid1(VALU_DEP_1)
	v_lshlrev_b32_e32 v46, 21, v46
	v_or3_b32 v46, v47, v56, v46
.LBB6_3991:                             ;   in Loop: Header=BB6_3059 Depth=2
	s_or_b32 exec_lo, exec_lo, s22
	v_lshrrev_b32_e32 v47, 16, v12
	s_mov_b32 s7, 0
	s_mov_b32 s23, exec_lo
                                        ; implicit-def: $sgpr22
	s_delay_alu instid0(VALU_DEP_1) | instskip(NEXT) | instid1(VALU_DEP_1)
	v_and_b32_e32 v57, 0xff, v47
	v_cmpx_lt_i16_e32 0x7f, v57
	s_xor_b32 s23, exec_lo, s23
	s_cbranch_execnz .LBB6_4549
; %bb.3992:                             ;   in Loop: Header=BB6_3059 Depth=2
	s_or_saveexec_b32 s23, s23
	v_mov_b32_e32 v56, s22
	s_xor_b32 exec_lo, exec_lo, s23
	s_cbranch_execnz .LBB6_4552
.LBB6_3993:                             ;   in Loop: Header=BB6_3059 Depth=2
	s_or_b32 exec_lo, exec_lo, s23
	s_and_saveexec_b32 s22, s7
	s_cbranch_execz .LBB6_3995
.LBB6_3994:                             ;   in Loop: Header=BB6_3059 Depth=2
	v_bfe_u32 v56, v12, 16, 2
	v_lshlrev_b32_e32 v59, 8, v12
	s_delay_alu instid0(VALU_DEP_2) | instskip(NEXT) | instid1(VALU_DEP_1)
	v_clz_i32_u32_e32 v57, v56
	v_min_u32_e32 v57, 32, v57
	s_delay_alu instid0(VALU_DEP_1) | instskip(SKIP_1) | instid1(VALU_DEP_2)
	v_subrev_nc_u32_e32 v58, 29, v57
	v_sub_nc_u32_e32 v57, 30, v57
	v_lshlrev_b32_e32 v47, v58, v47
	v_bfe_u32 v58, v12, 18, 5
	s_delay_alu instid0(VALU_DEP_2) | instskip(NEXT) | instid1(VALU_DEP_2)
	v_and_b32_e32 v47, 3, v47
	v_cmp_eq_u32_e32 vcc_lo, 0, v58
	v_cndmask_b32_e32 v57, v58, v57, vcc_lo
	s_delay_alu instid0(VALU_DEP_3) | instskip(SKIP_1) | instid1(VALU_DEP_3)
	v_cndmask_b32_e32 v47, v56, v47, vcc_lo
	v_and_b32_e32 v56, 0x80000000, v59
	v_lshl_add_u32 v57, v57, 23, 0x37800000
	s_delay_alu instid0(VALU_DEP_3) | instskip(NEXT) | instid1(VALU_DEP_1)
	v_lshlrev_b32_e32 v47, 21, v47
	v_or3_b32 v56, v56, v57, v47
.LBB6_3995:                             ;   in Loop: Header=BB6_3059 Depth=2
	s_or_b32 exec_lo, exec_lo, s22
	s_delay_alu instid0(VALU_DEP_1) | instskip(NEXT) | instid1(VALU_DEP_1)
	v_mul_f32_e32 v47, v46, v56
	v_and_b32_e32 v46, 0x7f800000, v47
	s_delay_alu instid0(VALU_DEP_1)
	v_cmp_ne_u32_e32 vcc_lo, 0x7f800000, v46
	v_mov_b32_e32 v46, 0x80
	s_and_saveexec_b32 s22, vcc_lo
	s_cbranch_execz .LBB6_4003
; %bb.3996:                             ;   in Loop: Header=BB6_3059 Depth=2
	v_mov_b32_e32 v46, 0
	s_mov_b32 s23, exec_lo
	v_cmpx_ne_u32_e32 0, v47
	s_cbranch_execz .LBB6_4002
; %bb.3997:                             ;   in Loop: Header=BB6_3059 Depth=2
	v_bfe_u32 v46, v47, 23, 8
	s_delay_alu instid0(VALU_DEP_1) | instskip(SKIP_1) | instid1(VALU_DEP_2)
	v_sub_nc_u32_e32 v57, 0x70, v46
	v_cmp_gt_u32_e32 vcc_lo, 0x71, v46
	v_dual_cndmask_b32 v57, 0, v57 :: v_dual_and_b32 v56, 0x7fffff, v47
	s_delay_alu instid0(VALU_DEP_1) | instskip(SKIP_2) | instid1(VALU_DEP_4)
	v_or_b32_e32 v58, 0x800000, v56
	v_cmp_eq_u32_e32 vcc_lo, 0, v46
	v_add_nc_u32_e32 v46, 0xffffff91, v46
	v_cndmask_b32_e64 v57, v57, 0x6f, vcc_lo
	s_delay_alu instid0(VALU_DEP_2) | instskip(SKIP_1) | instid1(VALU_DEP_3)
	v_cndmask_b32_e64 v46, v46, 0xffffff92, vcc_lo
	v_cndmask_b32_e32 v56, v58, v56, vcc_lo
	v_lshl_add_u32 v58, 0x200000, v57, -1
	v_lshlrev_b32_e64 v61, v57, 0x100000
	s_delay_alu instid0(VALU_DEP_3) | instskip(SKIP_1) | instid1(VALU_DEP_4)
	v_lshrrev_b32_e32 v59, v57, v56
	v_add_nc_u32_e32 v57, v57, v46
	v_and_b32_e32 v56, v58, v56
	s_delay_alu instid0(VALU_DEP_3) | instskip(NEXT) | instid1(VALU_DEP_2)
	v_bfe_u32 v60, v59, 21, 1
	v_cmp_eq_u32_e64 s7, v56, v61
	s_delay_alu instid0(VALU_DEP_2) | instskip(NEXT) | instid1(VALU_DEP_1)
	v_add_nc_u32_e32 v58, -1, v60
	v_cndmask_b32_e64 v56, 0, v58, s7
	v_lshrrev_b32_e32 v58, 23, v59
	s_mov_b32 s7, exec_lo
	s_delay_alu instid0(VALU_DEP_2) | instskip(NEXT) | instid1(VALU_DEP_2)
	v_add_nc_u32_e32 v56, v56, v59
	v_xor_b32_e32 v58, 1, v58
	s_delay_alu instid0(VALU_DEP_2) | instskip(NEXT) | instid1(VALU_DEP_1)
	v_and_b32_e32 v46, 0x1fffff, v56
	v_add_nc_u32_e32 v56, v46, v59
                                        ; implicit-def: $vgpr46
	s_delay_alu instid0(VALU_DEP_3)
	v_cmpx_ne_u32_e64 v57, v58
	s_xor_b32 s7, exec_lo, s7
; %bb.3998:                             ;   in Loop: Header=BB6_3059 Depth=2
	s_delay_alu instid0(VALU_DEP_2) | instskip(SKIP_2) | instid1(VALU_DEP_2)
	v_cmp_lt_u32_e32 vcc_lo, 0xffffff, v56
	v_sub_nc_u32_e32 v46, v57, v58
	v_cndmask_b32_e64 v57, 0, 1, vcc_lo
	v_add_co_ci_u32_e32 v46, vcc_lo, 0, v46, vcc_lo
	s_delay_alu instid0(VALU_DEP_2)
	v_lshrrev_b32_e32 v56, v57, v56
; %bb.3999:                             ;   in Loop: Header=BB6_3059 Depth=2
	s_and_not1_saveexec_b32 s7, s7
; %bb.4000:                             ;   in Loop: Header=BB6_3059 Depth=2
	s_delay_alu instid0(VALU_DEP_1)
	v_bfe_u32 v46, v56, 23, 1
; %bb.4001:                             ;   in Loop: Header=BB6_3059 Depth=2
	s_or_b32 exec_lo, exec_lo, s7
	v_lshrrev_b32_e32 v56, 21, v56
	s_delay_alu instid0(VALU_DEP_2) | instskip(SKIP_2) | instid1(VALU_DEP_2)
	v_cmp_gt_i32_e32 vcc_lo, 32, v46
	v_lshrrev_b32_e32 v47, 24, v47
	v_min_i32_e32 v57, 31, v46
	v_dual_cndmask_b32 v56, 3, v56 :: v_dual_and_b32 v47, 0x80, v47
	s_delay_alu instid0(VALU_DEP_1) | instskip(SKIP_1) | instid1(VALU_DEP_2)
	v_or_b32_e32 v46, v46, v56
	v_and_b32_e32 v58, 3, v56
	v_cmp_ne_u32_e32 vcc_lo, 0, v46
	v_lshlrev_b32_e32 v57, 2, v57
	s_delay_alu instid0(VALU_DEP_1) | instskip(NEXT) | instid1(VALU_DEP_1)
	v_or3_b32 v47, v57, v47, v58
	v_cndmask_b32_e32 v46, 0, v47, vcc_lo
.LBB6_4002:                             ;   in Loop: Header=BB6_3059 Depth=2
	s_or_b32 exec_lo, exec_lo, s23
.LBB6_4003:                             ;   in Loop: Header=BB6_3059 Depth=2
	s_delay_alu instid0(SALU_CYCLE_1) | instskip(SKIP_3) | instid1(VALU_DEP_1)
	s_or_b32 exec_lo, exec_lo, s22
	v_lshrrev_b32_e32 v56, 24, v16
	s_mov_b32 s7, 0
	s_mov_b32 s23, exec_lo
                                        ; implicit-def: $sgpr22
	v_cmpx_lt_i16_e32 0x7f, v56
	s_xor_b32 s23, exec_lo, s23
	s_cbranch_execnz .LBB6_4553
; %bb.4004:                             ;   in Loop: Header=BB6_3059 Depth=2
	s_or_saveexec_b32 s23, s23
	v_mov_b32_e32 v47, s22
	s_xor_b32 exec_lo, exec_lo, s23
	s_cbranch_execnz .LBB6_4556
.LBB6_4005:                             ;   in Loop: Header=BB6_3059 Depth=2
	s_or_b32 exec_lo, exec_lo, s23
	s_and_saveexec_b32 s22, s7
	s_cbranch_execz .LBB6_4007
.LBB6_4006:                             ;   in Loop: Header=BB6_3059 Depth=2
	v_bfe_u32 v47, v16, 24, 2
	s_delay_alu instid0(VALU_DEP_1) | instskip(NEXT) | instid1(VALU_DEP_1)
	v_clz_i32_u32_e32 v57, v47
	v_min_u32_e32 v57, 32, v57
	s_delay_alu instid0(VALU_DEP_1) | instskip(SKIP_1) | instid1(VALU_DEP_2)
	v_subrev_nc_u32_e32 v58, 29, v57
	v_sub_nc_u32_e32 v57, 30, v57
	v_lshlrev_b32_e32 v56, v58, v56
	v_bfe_u32 v58, v16, 26, 5
	v_and_b32_e32 v16, 0x80000000, v16
	s_delay_alu instid0(VALU_DEP_2) | instskip(NEXT) | instid1(VALU_DEP_4)
	v_cmp_eq_u32_e32 vcc_lo, 0, v58
	v_dual_cndmask_b32 v57, v58, v57 :: v_dual_and_b32 v56, 3, v56
	s_delay_alu instid0(VALU_DEP_1) | instskip(NEXT) | instid1(VALU_DEP_2)
	v_cndmask_b32_e32 v47, v47, v56, vcc_lo
	v_lshl_add_u32 v56, v57, 23, 0x37800000
	s_delay_alu instid0(VALU_DEP_2) | instskip(NEXT) | instid1(VALU_DEP_1)
	v_lshlrev_b32_e32 v47, 21, v47
	v_or3_b32 v47, v16, v56, v47
.LBB6_4007:                             ;   in Loop: Header=BB6_3059 Depth=2
	s_or_b32 exec_lo, exec_lo, s22
	v_lshrrev_b32_e32 v16, 24, v12
	s_mov_b32 s7, 0
	s_mov_b32 s23, exec_lo
                                        ; implicit-def: $sgpr22
	s_delay_alu instid0(VALU_DEP_1)
	v_cmpx_lt_i16_e32 0x7f, v16
	s_xor_b32 s23, exec_lo, s23
	s_cbranch_execnz .LBB6_4557
; %bb.4008:                             ;   in Loop: Header=BB6_3059 Depth=2
	s_or_saveexec_b32 s23, s23
	v_mov_b32_e32 v56, s22
	s_xor_b32 exec_lo, exec_lo, s23
	s_cbranch_execnz .LBB6_4560
.LBB6_4009:                             ;   in Loop: Header=BB6_3059 Depth=2
	s_or_b32 exec_lo, exec_lo, s23
	s_and_saveexec_b32 s22, s7
	s_cbranch_execz .LBB6_4011
.LBB6_4010:                             ;   in Loop: Header=BB6_3059 Depth=2
	v_bfe_u32 v56, v12, 24, 2
	s_delay_alu instid0(VALU_DEP_1) | instskip(NEXT) | instid1(VALU_DEP_1)
	v_clz_i32_u32_e32 v57, v56
	v_min_u32_e32 v57, 32, v57
	s_delay_alu instid0(VALU_DEP_1) | instskip(SKIP_1) | instid1(VALU_DEP_2)
	v_subrev_nc_u32_e32 v58, 29, v57
	v_sub_nc_u32_e32 v57, 30, v57
	v_lshlrev_b32_e32 v16, v58, v16
	v_bfe_u32 v58, v12, 26, 5
	v_and_b32_e32 v12, 0x80000000, v12
	s_delay_alu instid0(VALU_DEP_2) | instskip(NEXT) | instid1(VALU_DEP_4)
	v_cmp_eq_u32_e32 vcc_lo, 0, v58
	v_dual_cndmask_b32 v57, v58, v57 :: v_dual_and_b32 v16, 3, v16
	s_delay_alu instid0(VALU_DEP_1) | instskip(NEXT) | instid1(VALU_DEP_2)
	v_cndmask_b32_e32 v16, v56, v16, vcc_lo
	v_lshl_add_u32 v56, v57, 23, 0x37800000
	s_delay_alu instid0(VALU_DEP_2) | instskip(NEXT) | instid1(VALU_DEP_1)
	v_lshlrev_b32_e32 v16, 21, v16
	v_or3_b32 v56, v12, v56, v16
.LBB6_4011:                             ;   in Loop: Header=BB6_3059 Depth=2
	s_or_b32 exec_lo, exec_lo, s22
	s_delay_alu instid0(VALU_DEP_1) | instskip(NEXT) | instid1(VALU_DEP_1)
	v_mul_f32_e32 v16, v47, v56
	v_and_b32_e32 v12, 0x7f800000, v16
	s_delay_alu instid0(VALU_DEP_1)
	v_cmp_ne_u32_e32 vcc_lo, 0x7f800000, v12
	v_mov_b32_e32 v12, 0x80
	s_and_saveexec_b32 s22, vcc_lo
	s_cbranch_execz .LBB6_4019
; %bb.4012:                             ;   in Loop: Header=BB6_3059 Depth=2
	v_mov_b32_e32 v12, 0
	s_mov_b32 s23, exec_lo
	v_cmpx_ne_u32_e32 0, v16
	s_cbranch_execz .LBB6_4018
; %bb.4013:                             ;   in Loop: Header=BB6_3059 Depth=2
	v_bfe_u32 v12, v16, 23, 8
	v_and_b32_e32 v47, 0x7fffff, v16
	s_delay_alu instid0(VALU_DEP_2) | instskip(SKIP_1) | instid1(VALU_DEP_3)
	v_sub_nc_u32_e32 v56, 0x70, v12
	v_cmp_gt_u32_e32 vcc_lo, 0x71, v12
	v_or_b32_e32 v57, 0x800000, v47
	s_delay_alu instid0(VALU_DEP_3) | instskip(SKIP_1) | instid1(VALU_DEP_3)
	v_cndmask_b32_e32 v56, 0, v56, vcc_lo
	v_cmp_eq_u32_e32 vcc_lo, 0, v12
	v_dual_cndmask_b32 v47, v57, v47 :: v_dual_add_nc_u32 v12, 0xffffff91, v12
	s_delay_alu instid0(VALU_DEP_3) | instskip(NEXT) | instid1(VALU_DEP_2)
	v_cndmask_b32_e64 v56, v56, 0x6f, vcc_lo
	v_cndmask_b32_e64 v12, v12, 0xffffff92, vcc_lo
	s_delay_alu instid0(VALU_DEP_2) | instskip(SKIP_2) | instid1(VALU_DEP_4)
	v_lshrrev_b32_e32 v58, v56, v47
	v_lshl_add_u32 v57, 0x200000, v56, -1
	v_lshlrev_b32_e64 v60, v56, 0x100000
	v_add_nc_u32_e32 v56, v56, v12
	s_delay_alu instid0(VALU_DEP_4) | instskip(NEXT) | instid1(VALU_DEP_4)
	v_bfe_u32 v59, v58, 21, 1
	v_and_b32_e32 v47, v57, v47
	s_delay_alu instid0(VALU_DEP_2) | instskip(NEXT) | instid1(VALU_DEP_2)
	v_add_nc_u32_e32 v57, -1, v59
	v_cmp_eq_u32_e64 s7, v47, v60
	s_delay_alu instid0(VALU_DEP_1) | instskip(SKIP_2) | instid1(VALU_DEP_2)
	v_cndmask_b32_e64 v47, 0, v57, s7
	v_lshrrev_b32_e32 v57, 23, v58
	s_mov_b32 s7, exec_lo
	v_add_nc_u32_e32 v47, v47, v58
	s_delay_alu instid0(VALU_DEP_2) | instskip(NEXT) | instid1(VALU_DEP_2)
	v_xor_b32_e32 v57, 1, v57
	v_and_b32_e32 v12, 0x1fffff, v47
	s_delay_alu instid0(VALU_DEP_1) | instskip(NEXT) | instid1(VALU_DEP_3)
	v_add_nc_u32_e32 v47, v12, v58
                                        ; implicit-def: $vgpr12
	v_cmpx_ne_u32_e64 v56, v57
	s_xor_b32 s7, exec_lo, s7
; %bb.4014:                             ;   in Loop: Header=BB6_3059 Depth=2
	s_delay_alu instid0(VALU_DEP_2) | instskip(SKIP_2) | instid1(VALU_DEP_2)
	v_cmp_lt_u32_e32 vcc_lo, 0xffffff, v47
	v_sub_nc_u32_e32 v12, v56, v57
	v_cndmask_b32_e64 v56, 0, 1, vcc_lo
	v_add_co_ci_u32_e32 v12, vcc_lo, 0, v12, vcc_lo
	s_delay_alu instid0(VALU_DEP_2)
	v_lshrrev_b32_e32 v47, v56, v47
; %bb.4015:                             ;   in Loop: Header=BB6_3059 Depth=2
	s_and_not1_saveexec_b32 s7, s7
; %bb.4016:                             ;   in Loop: Header=BB6_3059 Depth=2
	s_delay_alu instid0(VALU_DEP_1)
	v_bfe_u32 v12, v47, 23, 1
; %bb.4017:                             ;   in Loop: Header=BB6_3059 Depth=2
	s_or_b32 exec_lo, exec_lo, s7
	v_lshrrev_b32_e32 v47, 21, v47
	s_delay_alu instid0(VALU_DEP_2) | instskip(SKIP_2) | instid1(VALU_DEP_2)
	v_cmp_gt_i32_e32 vcc_lo, 32, v12
	v_lshrrev_b32_e32 v16, 24, v16
	v_min_i32_e32 v56, 31, v12
	v_dual_cndmask_b32 v47, 3, v47 :: v_dual_and_b32 v16, 0x80, v16
	s_delay_alu instid0(VALU_DEP_2) | instskip(NEXT) | instid1(VALU_DEP_2)
	v_lshlrev_b32_e32 v56, 2, v56
	v_or_b32_e32 v12, v12, v47
	s_delay_alu instid0(VALU_DEP_1) | instskip(SKIP_1) | instid1(VALU_DEP_1)
	v_cmp_ne_u32_e32 vcc_lo, 0, v12
	v_and_b32_e32 v57, 3, v47
	v_or3_b32 v16, v56, v16, v57
	s_delay_alu instid0(VALU_DEP_1)
	v_cndmask_b32_e32 v12, 0, v16, vcc_lo
.LBB6_4018:                             ;   in Loop: Header=BB6_3059 Depth=2
	s_or_b32 exec_lo, exec_lo, s23
.LBB6_4019:                             ;   in Loop: Header=BB6_3059 Depth=2
	s_delay_alu instid0(SALU_CYCLE_1) | instskip(SKIP_3) | instid1(VALU_DEP_1)
	s_or_b32 exec_lo, exec_lo, s22
	v_and_b32_e32 v47, 0xff, v17
	s_mov_b32 s7, 0
	s_mov_b32 s23, exec_lo
                                        ; implicit-def: $sgpr22
	v_cmpx_lt_i16_e32 0x7f, v47
	s_xor_b32 s23, exec_lo, s23
	s_cbranch_execnz .LBB6_4561
; %bb.4020:                             ;   in Loop: Header=BB6_3059 Depth=2
	s_or_saveexec_b32 s23, s23
	v_mov_b32_e32 v16, s22
	s_xor_b32 exec_lo, exec_lo, s23
	s_cbranch_execnz .LBB6_4564
.LBB6_4021:                             ;   in Loop: Header=BB6_3059 Depth=2
	s_or_b32 exec_lo, exec_lo, s23
	s_and_saveexec_b32 s22, s7
	s_cbranch_execz .LBB6_4023
.LBB6_4022:                             ;   in Loop: Header=BB6_3059 Depth=2
	v_bfe_u32 v57, v17, 2, 5
	v_lshlrev_b32_e32 v58, 24, v17
	s_delay_alu instid0(VALU_DEP_2) | instskip(SKIP_1) | instid1(VALU_DEP_1)
	v_cmp_eq_u32_e32 vcc_lo, 0, v57
	v_and_b32_e32 v16, 3, v17
	v_clz_i32_u32_e32 v47, v16
	s_delay_alu instid0(VALU_DEP_1) | instskip(NEXT) | instid1(VALU_DEP_1)
	v_min_u32_e32 v47, 32, v47
	v_subrev_nc_u32_e32 v56, 29, v47
	v_sub_nc_u32_e32 v47, 30, v47
	s_delay_alu instid0(VALU_DEP_1) | instskip(NEXT) | instid1(VALU_DEP_1)
	v_dual_cndmask_b32 v47, v57, v47 :: v_dual_lshlrev_b32 v56, v56, v17
	v_and_b32_e32 v56, 3, v56
	s_delay_alu instid0(VALU_DEP_2) | instskip(NEXT) | instid1(VALU_DEP_2)
	v_lshl_add_u32 v47, v47, 23, 0x37800000
	v_cndmask_b32_e32 v16, v16, v56, vcc_lo
	v_and_b32_e32 v56, 0x80000000, v58
	s_delay_alu instid0(VALU_DEP_2) | instskip(NEXT) | instid1(VALU_DEP_1)
	v_lshlrev_b32_e32 v16, 21, v16
	v_or3_b32 v16, v56, v47, v16
.LBB6_4023:                             ;   in Loop: Header=BB6_3059 Depth=2
	s_or_b32 exec_lo, exec_lo, s22
	v_and_b32_e32 v56, 0xff, v13
	s_mov_b32 s7, 0
	s_mov_b32 s23, exec_lo
                                        ; implicit-def: $sgpr22
	s_delay_alu instid0(VALU_DEP_1)
	v_cmpx_lt_i16_e32 0x7f, v56
	s_xor_b32 s23, exec_lo, s23
	s_cbranch_execnz .LBB6_4565
; %bb.4024:                             ;   in Loop: Header=BB6_3059 Depth=2
	s_or_saveexec_b32 s23, s23
	v_mov_b32_e32 v47, s22
	s_xor_b32 exec_lo, exec_lo, s23
	s_cbranch_execnz .LBB6_4568
.LBB6_4025:                             ;   in Loop: Header=BB6_3059 Depth=2
	s_or_b32 exec_lo, exec_lo, s23
	s_and_saveexec_b32 s22, s7
	s_cbranch_execz .LBB6_4027
.LBB6_4026:                             ;   in Loop: Header=BB6_3059 Depth=2
	v_bfe_u32 v58, v13, 2, 5
	v_lshlrev_b32_e32 v59, 24, v13
	s_delay_alu instid0(VALU_DEP_2) | instskip(SKIP_1) | instid1(VALU_DEP_1)
	v_cmp_eq_u32_e32 vcc_lo, 0, v58
	v_and_b32_e32 v47, 3, v13
	v_clz_i32_u32_e32 v56, v47
	s_delay_alu instid0(VALU_DEP_1) | instskip(NEXT) | instid1(VALU_DEP_1)
	v_min_u32_e32 v56, 32, v56
	v_subrev_nc_u32_e32 v57, 29, v56
	v_sub_nc_u32_e32 v56, 30, v56
	s_delay_alu instid0(VALU_DEP_1) | instskip(NEXT) | instid1(VALU_DEP_1)
	v_dual_cndmask_b32 v56, v58, v56 :: v_dual_lshlrev_b32 v57, v57, v13
	v_and_b32_e32 v57, 3, v57
	s_delay_alu instid0(VALU_DEP_2) | instskip(NEXT) | instid1(VALU_DEP_2)
	v_lshl_add_u32 v56, v56, 23, 0x37800000
	v_cndmask_b32_e32 v47, v47, v57, vcc_lo
	v_and_b32_e32 v57, 0x80000000, v59
	s_delay_alu instid0(VALU_DEP_2) | instskip(NEXT) | instid1(VALU_DEP_1)
	v_lshlrev_b32_e32 v47, 21, v47
	v_or3_b32 v47, v57, v56, v47
.LBB6_4027:                             ;   in Loop: Header=BB6_3059 Depth=2
	s_or_b32 exec_lo, exec_lo, s22
	s_delay_alu instid0(VALU_DEP_1) | instskip(NEXT) | instid1(VALU_DEP_1)
	v_mul_f32_e32 v47, v16, v47
	v_and_b32_e32 v16, 0x7f800000, v47
	s_delay_alu instid0(VALU_DEP_1)
	v_cmp_ne_u32_e32 vcc_lo, 0x7f800000, v16
	v_mov_b32_e32 v16, 0x80
	s_and_saveexec_b32 s22, vcc_lo
	s_cbranch_execz .LBB6_4035
; %bb.4028:                             ;   in Loop: Header=BB6_3059 Depth=2
	v_mov_b32_e32 v16, 0
	s_mov_b32 s23, exec_lo
	v_cmpx_ne_u32_e32 0, v47
	s_cbranch_execz .LBB6_4034
; %bb.4029:                             ;   in Loop: Header=BB6_3059 Depth=2
	v_bfe_u32 v16, v47, 23, 8
	s_delay_alu instid0(VALU_DEP_1) | instskip(SKIP_1) | instid1(VALU_DEP_2)
	v_sub_nc_u32_e32 v57, 0x70, v16
	v_cmp_gt_u32_e32 vcc_lo, 0x71, v16
	v_dual_cndmask_b32 v57, 0, v57 :: v_dual_and_b32 v56, 0x7fffff, v47
	s_delay_alu instid0(VALU_DEP_1) | instskip(SKIP_2) | instid1(VALU_DEP_4)
	v_or_b32_e32 v58, 0x800000, v56
	v_cmp_eq_u32_e32 vcc_lo, 0, v16
	v_add_nc_u32_e32 v16, 0xffffff91, v16
	v_cndmask_b32_e64 v57, v57, 0x6f, vcc_lo
	s_delay_alu instid0(VALU_DEP_4) | instskip(NEXT) | instid1(VALU_DEP_3)
	v_cndmask_b32_e32 v56, v58, v56, vcc_lo
	v_cndmask_b32_e64 v16, v16, 0xffffff92, vcc_lo
	s_delay_alu instid0(VALU_DEP_3) | instskip(NEXT) | instid1(VALU_DEP_3)
	v_lshl_add_u32 v58, 0x200000, v57, -1
	v_lshrrev_b32_e32 v59, v57, v56
	v_lshlrev_b32_e64 v61, v57, 0x100000
	s_delay_alu instid0(VALU_DEP_4) | instskip(NEXT) | instid1(VALU_DEP_4)
	v_add_nc_u32_e32 v57, v57, v16
	v_and_b32_e32 v56, v58, v56
	s_delay_alu instid0(VALU_DEP_4) | instskip(NEXT) | instid1(VALU_DEP_2)
	v_bfe_u32 v60, v59, 21, 1
	v_cmp_eq_u32_e64 s7, v56, v61
	s_delay_alu instid0(VALU_DEP_2) | instskip(NEXT) | instid1(VALU_DEP_1)
	v_add_nc_u32_e32 v58, -1, v60
	v_cndmask_b32_e64 v56, 0, v58, s7
	v_lshrrev_b32_e32 v58, 23, v59
	s_mov_b32 s7, exec_lo
	s_delay_alu instid0(VALU_DEP_2) | instskip(NEXT) | instid1(VALU_DEP_2)
	v_add_nc_u32_e32 v56, v56, v59
	v_xor_b32_e32 v58, 1, v58
	s_delay_alu instid0(VALU_DEP_2) | instskip(NEXT) | instid1(VALU_DEP_1)
	v_and_b32_e32 v16, 0x1fffff, v56
	v_add_nc_u32_e32 v56, v16, v59
                                        ; implicit-def: $vgpr16
	s_delay_alu instid0(VALU_DEP_3)
	v_cmpx_ne_u32_e64 v57, v58
	s_xor_b32 s7, exec_lo, s7
; %bb.4030:                             ;   in Loop: Header=BB6_3059 Depth=2
	s_delay_alu instid0(VALU_DEP_2) | instskip(SKIP_2) | instid1(VALU_DEP_2)
	v_cmp_lt_u32_e32 vcc_lo, 0xffffff, v56
	v_sub_nc_u32_e32 v16, v57, v58
	v_cndmask_b32_e64 v57, 0, 1, vcc_lo
	v_add_co_ci_u32_e32 v16, vcc_lo, 0, v16, vcc_lo
	s_delay_alu instid0(VALU_DEP_2)
	v_lshrrev_b32_e32 v56, v57, v56
; %bb.4031:                             ;   in Loop: Header=BB6_3059 Depth=2
	s_and_not1_saveexec_b32 s7, s7
; %bb.4032:                             ;   in Loop: Header=BB6_3059 Depth=2
	s_delay_alu instid0(VALU_DEP_1)
	v_bfe_u32 v16, v56, 23, 1
; %bb.4033:                             ;   in Loop: Header=BB6_3059 Depth=2
	s_or_b32 exec_lo, exec_lo, s7
	v_lshrrev_b32_e32 v56, 21, v56
	s_delay_alu instid0(VALU_DEP_2) | instskip(SKIP_2) | instid1(VALU_DEP_2)
	v_cmp_gt_i32_e32 vcc_lo, 32, v16
	v_lshrrev_b32_e32 v47, 24, v47
	v_min_i32_e32 v57, 31, v16
	v_dual_cndmask_b32 v56, 3, v56 :: v_dual_and_b32 v47, 0x80, v47
	s_delay_alu instid0(VALU_DEP_1) | instskip(SKIP_1) | instid1(VALU_DEP_2)
	v_or_b32_e32 v16, v16, v56
	v_and_b32_e32 v58, 3, v56
	v_cmp_ne_u32_e32 vcc_lo, 0, v16
	v_lshlrev_b32_e32 v57, 2, v57
	s_delay_alu instid0(VALU_DEP_1) | instskip(NEXT) | instid1(VALU_DEP_1)
	v_or3_b32 v47, v57, v47, v58
	v_cndmask_b32_e32 v16, 0, v47, vcc_lo
.LBB6_4034:                             ;   in Loop: Header=BB6_3059 Depth=2
	s_or_b32 exec_lo, exec_lo, s23
.LBB6_4035:                             ;   in Loop: Header=BB6_3059 Depth=2
	s_delay_alu instid0(SALU_CYCLE_1) | instskip(SKIP_3) | instid1(VALU_DEP_1)
	s_or_b32 exec_lo, exec_lo, s22
	v_lshrrev_b16 v56, 8, v17
	s_mov_b32 s7, 0
	s_mov_b32 s23, exec_lo
                                        ; implicit-def: $sgpr22
	v_cmpx_lt_i16_e32 0x7f, v56
	s_xor_b32 s23, exec_lo, s23
	s_cbranch_execnz .LBB6_4569
; %bb.4036:                             ;   in Loop: Header=BB6_3059 Depth=2
	s_or_saveexec_b32 s23, s23
	v_mov_b32_e32 v47, s22
	s_xor_b32 exec_lo, exec_lo, s23
	s_cbranch_execnz .LBB6_4572
.LBB6_4037:                             ;   in Loop: Header=BB6_3059 Depth=2
	s_or_b32 exec_lo, exec_lo, s23
	s_and_saveexec_b32 s22, s7
	s_cbranch_execz .LBB6_4039
.LBB6_4038:                             ;   in Loop: Header=BB6_3059 Depth=2
	v_and_b32_e32 v47, 0xffff, v56
	s_delay_alu instid0(VALU_DEP_1) | instskip(NEXT) | instid1(VALU_DEP_1)
	v_and_b32_e32 v57, 3, v47
	v_clz_i32_u32_e32 v58, v57
	s_delay_alu instid0(VALU_DEP_1) | instskip(NEXT) | instid1(VALU_DEP_1)
	v_min_u32_e32 v58, 32, v58
	v_subrev_nc_u32_e32 v59, 29, v58
	v_sub_nc_u32_e32 v58, 30, v58
	s_delay_alu instid0(VALU_DEP_2) | instskip(SKIP_1) | instid1(VALU_DEP_2)
	v_lshlrev_b32_e32 v59, v59, v47
	v_bfe_u32 v47, v47, 2, 5
	v_and_b32_e32 v59, 3, v59
	s_delay_alu instid0(VALU_DEP_2) | instskip(SKIP_1) | instid1(VALU_DEP_1)
	v_cmp_eq_u32_e32 vcc_lo, 0, v47
	v_dual_cndmask_b32 v47, v47, v58 :: v_dual_lshlrev_b32 v56, 24, v56
	v_dual_cndmask_b32 v57, v57, v59 :: v_dual_and_b32 v56, 0x80000000, v56
	s_delay_alu instid0(VALU_DEP_2) | instskip(NEXT) | instid1(VALU_DEP_2)
	v_lshl_add_u32 v47, v47, 23, 0x37800000
	v_lshlrev_b32_e32 v57, 21, v57
	s_delay_alu instid0(VALU_DEP_1)
	v_or3_b32 v47, v56, v47, v57
.LBB6_4039:                             ;   in Loop: Header=BB6_3059 Depth=2
	s_or_b32 exec_lo, exec_lo, s22
	v_lshrrev_b16 v56, 8, v13
	s_mov_b32 s7, 0
	s_mov_b32 s23, exec_lo
                                        ; implicit-def: $sgpr22
	s_delay_alu instid0(VALU_DEP_1)
	v_cmpx_lt_i16_e32 0x7f, v56
	s_xor_b32 s23, exec_lo, s23
	s_cbranch_execnz .LBB6_4573
; %bb.4040:                             ;   in Loop: Header=BB6_3059 Depth=2
	s_or_saveexec_b32 s23, s23
	v_mov_b32_e32 v57, s22
	s_xor_b32 exec_lo, exec_lo, s23
	s_cbranch_execnz .LBB6_4576
.LBB6_4041:                             ;   in Loop: Header=BB6_3059 Depth=2
	s_or_b32 exec_lo, exec_lo, s23
	s_and_saveexec_b32 s22, s7
	s_cbranch_execz .LBB6_4043
.LBB6_4042:                             ;   in Loop: Header=BB6_3059 Depth=2
	v_and_b32_e32 v57, 0xffff, v56
	v_lshlrev_b32_e32 v56, 24, v56
	s_delay_alu instid0(VALU_DEP_2) | instskip(NEXT) | instid1(VALU_DEP_2)
	v_and_b32_e32 v58, 3, v57
	v_and_b32_e32 v56, 0x80000000, v56
	s_delay_alu instid0(VALU_DEP_2) | instskip(NEXT) | instid1(VALU_DEP_1)
	v_clz_i32_u32_e32 v59, v58
	v_min_u32_e32 v59, 32, v59
	s_delay_alu instid0(VALU_DEP_1) | instskip(SKIP_1) | instid1(VALU_DEP_2)
	v_subrev_nc_u32_e32 v60, 29, v59
	v_sub_nc_u32_e32 v59, 30, v59
	v_lshlrev_b32_e32 v60, v60, v57
	v_bfe_u32 v57, v57, 2, 5
	s_delay_alu instid0(VALU_DEP_2) | instskip(NEXT) | instid1(VALU_DEP_2)
	v_and_b32_e32 v60, 3, v60
	v_cmp_eq_u32_e32 vcc_lo, 0, v57
	s_delay_alu instid0(VALU_DEP_2) | instskip(NEXT) | instid1(VALU_DEP_1)
	v_dual_cndmask_b32 v57, v57, v59 :: v_dual_cndmask_b32 v58, v58, v60
	v_lshl_add_u32 v57, v57, 23, 0x37800000
	s_delay_alu instid0(VALU_DEP_2) | instskip(NEXT) | instid1(VALU_DEP_1)
	v_lshlrev_b32_e32 v58, 21, v58
	v_or3_b32 v57, v56, v57, v58
.LBB6_4043:                             ;   in Loop: Header=BB6_3059 Depth=2
	s_or_b32 exec_lo, exec_lo, s22
	s_delay_alu instid0(VALU_DEP_1) | instskip(NEXT) | instid1(VALU_DEP_1)
	v_mul_f32_e32 v56, v47, v57
	v_and_b32_e32 v47, 0x7f800000, v56
	s_delay_alu instid0(VALU_DEP_1)
	v_cmp_ne_u32_e32 vcc_lo, 0x7f800000, v47
	v_mov_b32_e32 v47, 0x8000
	s_and_saveexec_b32 s22, vcc_lo
	s_cbranch_execz .LBB6_4051
; %bb.4044:                             ;   in Loop: Header=BB6_3059 Depth=2
	v_mov_b32_e32 v47, 0
	s_mov_b32 s23, exec_lo
	v_cmpx_ne_u32_e32 0, v56
	s_cbranch_execz .LBB6_4050
; %bb.4045:                             ;   in Loop: Header=BB6_3059 Depth=2
	v_bfe_u32 v47, v56, 23, 8
	s_delay_alu instid0(VALU_DEP_1) | instskip(SKIP_1) | instid1(VALU_DEP_2)
	v_sub_nc_u32_e32 v58, 0x70, v47
	v_cmp_gt_u32_e32 vcc_lo, 0x71, v47
	v_dual_cndmask_b32 v58, 0, v58 :: v_dual_and_b32 v57, 0x7fffff, v56
	s_delay_alu instid0(VALU_DEP_1) | instskip(SKIP_2) | instid1(VALU_DEP_4)
	v_or_b32_e32 v59, 0x800000, v57
	v_cmp_eq_u32_e32 vcc_lo, 0, v47
	v_add_nc_u32_e32 v47, 0xffffff91, v47
	v_cndmask_b32_e64 v58, v58, 0x6f, vcc_lo
	s_delay_alu instid0(VALU_DEP_2) | instskip(SKIP_1) | instid1(VALU_DEP_3)
	v_cndmask_b32_e64 v47, v47, 0xffffff92, vcc_lo
	v_cndmask_b32_e32 v57, v59, v57, vcc_lo
	v_lshl_add_u32 v59, 0x200000, v58, -1
	v_lshlrev_b32_e64 v62, v58, 0x100000
	s_delay_alu instid0(VALU_DEP_3) | instskip(SKIP_1) | instid1(VALU_DEP_4)
	v_lshrrev_b32_e32 v60, v58, v57
	v_add_nc_u32_e32 v58, v58, v47
	v_and_b32_e32 v57, v59, v57
	s_delay_alu instid0(VALU_DEP_3) | instskip(NEXT) | instid1(VALU_DEP_2)
	v_bfe_u32 v61, v60, 21, 1
	v_cmp_eq_u32_e64 s7, v57, v62
	s_delay_alu instid0(VALU_DEP_2) | instskip(NEXT) | instid1(VALU_DEP_1)
	v_add_nc_u32_e32 v59, -1, v61
	v_cndmask_b32_e64 v57, 0, v59, s7
	v_lshrrev_b32_e32 v59, 23, v60
	s_mov_b32 s7, exec_lo
	s_delay_alu instid0(VALU_DEP_2) | instskip(NEXT) | instid1(VALU_DEP_2)
	v_add_nc_u32_e32 v57, v57, v60
	v_xor_b32_e32 v59, 1, v59
	s_delay_alu instid0(VALU_DEP_2) | instskip(NEXT) | instid1(VALU_DEP_1)
	v_and_b32_e32 v47, 0x1fffff, v57
	v_add_nc_u32_e32 v57, v47, v60
                                        ; implicit-def: $vgpr47
	s_delay_alu instid0(VALU_DEP_3)
	v_cmpx_ne_u32_e64 v58, v59
	s_xor_b32 s7, exec_lo, s7
; %bb.4046:                             ;   in Loop: Header=BB6_3059 Depth=2
	s_delay_alu instid0(VALU_DEP_2) | instskip(SKIP_2) | instid1(VALU_DEP_2)
	v_cmp_lt_u32_e32 vcc_lo, 0xffffff, v57
	v_sub_nc_u32_e32 v47, v58, v59
	v_cndmask_b32_e64 v58, 0, 1, vcc_lo
	v_add_co_ci_u32_e32 v47, vcc_lo, 0, v47, vcc_lo
	s_delay_alu instid0(VALU_DEP_2)
	v_lshrrev_b32_e32 v57, v58, v57
; %bb.4047:                             ;   in Loop: Header=BB6_3059 Depth=2
	s_and_not1_saveexec_b32 s7, s7
; %bb.4048:                             ;   in Loop: Header=BB6_3059 Depth=2
	s_delay_alu instid0(VALU_DEP_1)
	v_bfe_u32 v47, v57, 23, 1
; %bb.4049:                             ;   in Loop: Header=BB6_3059 Depth=2
	s_or_b32 exec_lo, exec_lo, s7
	v_lshrrev_b32_e32 v57, 21, v57
	s_delay_alu instid0(VALU_DEP_2) | instskip(SKIP_2) | instid1(VALU_DEP_2)
	v_cmp_gt_i32_e32 vcc_lo, 32, v47
	v_min_i32_e32 v58, 31, v47
	v_lshrrev_b32_e32 v56, 24, v56
	v_dual_cndmask_b32 v57, 3, v57 :: v_dual_lshlrev_b32 v58, 2, v58
	s_delay_alu instid0(VALU_DEP_2) | instskip(NEXT) | instid1(VALU_DEP_2)
	v_and_b32_e32 v56, 0x80, v56
	v_or_b32_e32 v47, v47, v57
	v_and_b32_e32 v59, 3, v57
	s_delay_alu instid0(VALU_DEP_2) | instskip(SKIP_1) | instid1(VALU_DEP_1)
	v_cmp_ne_u32_e32 vcc_lo, 0, v47
	v_and_b32_e32 v58, 0xfc, v58
	v_or3_b32 v56, v56, v58, v59
	s_delay_alu instid0(VALU_DEP_1) | instskip(NEXT) | instid1(VALU_DEP_1)
	v_lshlrev_b32_e32 v56, 8, v56
	v_cndmask_b32_e32 v47, 0, v56, vcc_lo
.LBB6_4050:                             ;   in Loop: Header=BB6_3059 Depth=2
	s_or_b32 exec_lo, exec_lo, s23
.LBB6_4051:                             ;   in Loop: Header=BB6_3059 Depth=2
	s_delay_alu instid0(SALU_CYCLE_1) | instskip(SKIP_3) | instid1(VALU_DEP_1)
	s_or_b32 exec_lo, exec_lo, s22
	v_lshrrev_b32_e32 v57, 16, v17
	s_mov_b32 s7, 0
	s_mov_b32 s23, exec_lo
                                        ; implicit-def: $sgpr22
	v_and_b32_e32 v58, 0xff, v57
	s_delay_alu instid0(VALU_DEP_1)
	v_cmpx_lt_i16_e32 0x7f, v58
	s_xor_b32 s23, exec_lo, s23
	s_cbranch_execnz .LBB6_4577
; %bb.4052:                             ;   in Loop: Header=BB6_3059 Depth=2
	s_or_saveexec_b32 s23, s23
	v_mov_b32_e32 v56, s22
	s_xor_b32 exec_lo, exec_lo, s23
	s_cbranch_execnz .LBB6_4580
.LBB6_4053:                             ;   in Loop: Header=BB6_3059 Depth=2
	s_or_b32 exec_lo, exec_lo, s23
	s_and_saveexec_b32 s22, s7
	s_cbranch_execz .LBB6_4055
.LBB6_4054:                             ;   in Loop: Header=BB6_3059 Depth=2
	v_bfe_u32 v56, v17, 16, 2
	v_lshlrev_b32_e32 v60, 8, v17
	s_delay_alu instid0(VALU_DEP_2) | instskip(NEXT) | instid1(VALU_DEP_1)
	v_clz_i32_u32_e32 v58, v56
	v_min_u32_e32 v58, 32, v58
	s_delay_alu instid0(VALU_DEP_1) | instskip(SKIP_1) | instid1(VALU_DEP_2)
	v_subrev_nc_u32_e32 v59, 29, v58
	v_sub_nc_u32_e32 v58, 30, v58
	v_lshlrev_b32_e32 v57, v59, v57
	v_bfe_u32 v59, v17, 18, 5
	s_delay_alu instid0(VALU_DEP_1) | instskip(NEXT) | instid1(VALU_DEP_3)
	v_cmp_eq_u32_e32 vcc_lo, 0, v59
	v_dual_cndmask_b32 v58, v59, v58 :: v_dual_and_b32 v57, 3, v57
	s_delay_alu instid0(VALU_DEP_1) | instskip(NEXT) | instid1(VALU_DEP_2)
	v_dual_cndmask_b32 v56, v56, v57 :: v_dual_and_b32 v57, 0x80000000, v60
	v_lshl_add_u32 v58, v58, 23, 0x37800000
	s_delay_alu instid0(VALU_DEP_2) | instskip(NEXT) | instid1(VALU_DEP_1)
	v_lshlrev_b32_e32 v56, 21, v56
	v_or3_b32 v56, v57, v58, v56
.LBB6_4055:                             ;   in Loop: Header=BB6_3059 Depth=2
	s_or_b32 exec_lo, exec_lo, s22
	v_lshrrev_b32_e32 v57, 16, v13
	s_mov_b32 s7, 0
	s_mov_b32 s23, exec_lo
                                        ; implicit-def: $sgpr22
	s_delay_alu instid0(VALU_DEP_1) | instskip(NEXT) | instid1(VALU_DEP_1)
	v_and_b32_e32 v59, 0xff, v57
	v_cmpx_lt_i16_e32 0x7f, v59
	s_xor_b32 s23, exec_lo, s23
	s_cbranch_execnz .LBB6_4581
; %bb.4056:                             ;   in Loop: Header=BB6_3059 Depth=2
	s_or_saveexec_b32 s23, s23
	v_mov_b32_e32 v58, s22
	s_xor_b32 exec_lo, exec_lo, s23
	s_cbranch_execnz .LBB6_4584
.LBB6_4057:                             ;   in Loop: Header=BB6_3059 Depth=2
	s_or_b32 exec_lo, exec_lo, s23
	s_and_saveexec_b32 s22, s7
	s_cbranch_execz .LBB6_4059
.LBB6_4058:                             ;   in Loop: Header=BB6_3059 Depth=2
	v_bfe_u32 v58, v13, 16, 2
	v_lshlrev_b32_e32 v61, 8, v13
	s_delay_alu instid0(VALU_DEP_2) | instskip(NEXT) | instid1(VALU_DEP_1)
	v_clz_i32_u32_e32 v59, v58
	v_min_u32_e32 v59, 32, v59
	s_delay_alu instid0(VALU_DEP_1) | instskip(SKIP_1) | instid1(VALU_DEP_2)
	v_subrev_nc_u32_e32 v60, 29, v59
	v_sub_nc_u32_e32 v59, 30, v59
	v_lshlrev_b32_e32 v57, v60, v57
	v_bfe_u32 v60, v13, 18, 5
	s_delay_alu instid0(VALU_DEP_2) | instskip(NEXT) | instid1(VALU_DEP_2)
	v_and_b32_e32 v57, 3, v57
	v_cmp_eq_u32_e32 vcc_lo, 0, v60
	v_cndmask_b32_e32 v59, v60, v59, vcc_lo
	s_delay_alu instid0(VALU_DEP_3) | instskip(SKIP_1) | instid1(VALU_DEP_3)
	v_cndmask_b32_e32 v57, v58, v57, vcc_lo
	v_and_b32_e32 v58, 0x80000000, v61
	v_lshl_add_u32 v59, v59, 23, 0x37800000
	s_delay_alu instid0(VALU_DEP_3) | instskip(NEXT) | instid1(VALU_DEP_1)
	v_lshlrev_b32_e32 v57, 21, v57
	v_or3_b32 v58, v58, v59, v57
.LBB6_4059:                             ;   in Loop: Header=BB6_3059 Depth=2
	s_or_b32 exec_lo, exec_lo, s22
	s_delay_alu instid0(VALU_DEP_1) | instskip(NEXT) | instid1(VALU_DEP_1)
	v_mul_f32_e32 v57, v56, v58
	v_and_b32_e32 v56, 0x7f800000, v57
	s_delay_alu instid0(VALU_DEP_1)
	v_cmp_ne_u32_e32 vcc_lo, 0x7f800000, v56
	v_mov_b32_e32 v56, 0x80
	s_and_saveexec_b32 s22, vcc_lo
	s_cbranch_execz .LBB6_4067
; %bb.4060:                             ;   in Loop: Header=BB6_3059 Depth=2
	v_mov_b32_e32 v56, 0
	s_mov_b32 s23, exec_lo
	v_cmpx_ne_u32_e32 0, v57
	s_cbranch_execz .LBB6_4066
; %bb.4061:                             ;   in Loop: Header=BB6_3059 Depth=2
	v_bfe_u32 v56, v57, 23, 8
	s_delay_alu instid0(VALU_DEP_1) | instskip(SKIP_1) | instid1(VALU_DEP_2)
	v_sub_nc_u32_e32 v59, 0x70, v56
	v_cmp_gt_u32_e32 vcc_lo, 0x71, v56
	v_dual_cndmask_b32 v59, 0, v59 :: v_dual_and_b32 v58, 0x7fffff, v57
	s_delay_alu instid0(VALU_DEP_1) | instskip(SKIP_2) | instid1(VALU_DEP_4)
	v_or_b32_e32 v60, 0x800000, v58
	v_cmp_eq_u32_e32 vcc_lo, 0, v56
	v_add_nc_u32_e32 v56, 0xffffff91, v56
	v_cndmask_b32_e64 v59, v59, 0x6f, vcc_lo
	s_delay_alu instid0(VALU_DEP_2) | instskip(SKIP_1) | instid1(VALU_DEP_3)
	v_cndmask_b32_e64 v56, v56, 0xffffff92, vcc_lo
	v_cndmask_b32_e32 v58, v60, v58, vcc_lo
	v_lshl_add_u32 v60, 0x200000, v59, -1
	v_lshlrev_b32_e64 v63, v59, 0x100000
	s_delay_alu instid0(VALU_DEP_3) | instskip(SKIP_1) | instid1(VALU_DEP_4)
	v_lshrrev_b32_e32 v61, v59, v58
	v_add_nc_u32_e32 v59, v59, v56
	v_and_b32_e32 v58, v60, v58
	s_delay_alu instid0(VALU_DEP_3) | instskip(NEXT) | instid1(VALU_DEP_2)
	v_bfe_u32 v62, v61, 21, 1
	v_cmp_eq_u32_e64 s7, v58, v63
	s_delay_alu instid0(VALU_DEP_2) | instskip(NEXT) | instid1(VALU_DEP_1)
	v_add_nc_u32_e32 v60, -1, v62
	v_cndmask_b32_e64 v58, 0, v60, s7
	v_lshrrev_b32_e32 v60, 23, v61
	s_mov_b32 s7, exec_lo
	s_delay_alu instid0(VALU_DEP_2) | instskip(NEXT) | instid1(VALU_DEP_2)
	v_add_nc_u32_e32 v58, v58, v61
	v_xor_b32_e32 v60, 1, v60
	s_delay_alu instid0(VALU_DEP_2) | instskip(NEXT) | instid1(VALU_DEP_1)
	v_and_b32_e32 v56, 0x1fffff, v58
	v_add_nc_u32_e32 v58, v56, v61
                                        ; implicit-def: $vgpr56
	s_delay_alu instid0(VALU_DEP_3)
	v_cmpx_ne_u32_e64 v59, v60
	s_xor_b32 s7, exec_lo, s7
; %bb.4062:                             ;   in Loop: Header=BB6_3059 Depth=2
	s_delay_alu instid0(VALU_DEP_2) | instskip(SKIP_2) | instid1(VALU_DEP_2)
	v_cmp_lt_u32_e32 vcc_lo, 0xffffff, v58
	v_sub_nc_u32_e32 v56, v59, v60
	v_cndmask_b32_e64 v59, 0, 1, vcc_lo
	v_add_co_ci_u32_e32 v56, vcc_lo, 0, v56, vcc_lo
	s_delay_alu instid0(VALU_DEP_2)
	v_lshrrev_b32_e32 v58, v59, v58
; %bb.4063:                             ;   in Loop: Header=BB6_3059 Depth=2
	s_and_not1_saveexec_b32 s7, s7
; %bb.4064:                             ;   in Loop: Header=BB6_3059 Depth=2
	s_delay_alu instid0(VALU_DEP_1)
	v_bfe_u32 v56, v58, 23, 1
; %bb.4065:                             ;   in Loop: Header=BB6_3059 Depth=2
	s_or_b32 exec_lo, exec_lo, s7
	v_lshrrev_b32_e32 v58, 21, v58
	s_delay_alu instid0(VALU_DEP_2) | instskip(SKIP_2) | instid1(VALU_DEP_2)
	v_cmp_gt_i32_e32 vcc_lo, 32, v56
	v_min_i32_e32 v59, 31, v56
	v_lshrrev_b32_e32 v57, 24, v57
	v_dual_cndmask_b32 v58, 3, v58 :: v_dual_lshlrev_b32 v59, 2, v59
	s_delay_alu instid0(VALU_DEP_2) | instskip(NEXT) | instid1(VALU_DEP_2)
	v_and_b32_e32 v57, 0x80, v57
	v_or_b32_e32 v56, v56, v58
	v_and_b32_e32 v60, 3, v58
	s_delay_alu instid0(VALU_DEP_2) | instskip(SKIP_1) | instid1(VALU_DEP_1)
	v_cmp_ne_u32_e32 vcc_lo, 0, v56
	v_and_b32_e32 v59, 0xfc, v59
	v_or3_b32 v57, v59, v57, v60
	s_delay_alu instid0(VALU_DEP_1)
	v_cndmask_b32_e32 v56, 0, v57, vcc_lo
.LBB6_4066:                             ;   in Loop: Header=BB6_3059 Depth=2
	s_or_b32 exec_lo, exec_lo, s23
.LBB6_4067:                             ;   in Loop: Header=BB6_3059 Depth=2
	s_delay_alu instid0(SALU_CYCLE_1) | instskip(SKIP_3) | instid1(VALU_DEP_1)
	s_or_b32 exec_lo, exec_lo, s22
	v_lshrrev_b32_e32 v58, 24, v17
	s_mov_b32 s7, 0
	s_mov_b32 s23, exec_lo
                                        ; implicit-def: $sgpr22
	v_cmpx_lt_i16_e32 0x7f, v58
	s_xor_b32 s23, exec_lo, s23
	s_cbranch_execnz .LBB6_4585
; %bb.4068:                             ;   in Loop: Header=BB6_3059 Depth=2
	s_or_saveexec_b32 s23, s23
	v_mov_b32_e32 v57, s22
	s_xor_b32 exec_lo, exec_lo, s23
	s_cbranch_execnz .LBB6_4588
.LBB6_4069:                             ;   in Loop: Header=BB6_3059 Depth=2
	s_or_b32 exec_lo, exec_lo, s23
	s_and_saveexec_b32 s22, s7
	s_cbranch_execz .LBB6_4071
.LBB6_4070:                             ;   in Loop: Header=BB6_3059 Depth=2
	v_bfe_u32 v57, v17, 24, 2
	s_delay_alu instid0(VALU_DEP_1) | instskip(NEXT) | instid1(VALU_DEP_1)
	v_clz_i32_u32_e32 v59, v57
	v_min_u32_e32 v59, 32, v59
	s_delay_alu instid0(VALU_DEP_1) | instskip(SKIP_1) | instid1(VALU_DEP_2)
	v_subrev_nc_u32_e32 v60, 29, v59
	v_sub_nc_u32_e32 v59, 30, v59
	v_lshlrev_b32_e32 v58, v60, v58
	v_bfe_u32 v60, v17, 26, 5
	v_and_b32_e32 v17, 0x80000000, v17
	s_delay_alu instid0(VALU_DEP_2) | instskip(NEXT) | instid1(VALU_DEP_4)
	v_cmp_eq_u32_e32 vcc_lo, 0, v60
	v_dual_cndmask_b32 v59, v60, v59 :: v_dual_and_b32 v58, 3, v58
	s_delay_alu instid0(VALU_DEP_1) | instskip(NEXT) | instid1(VALU_DEP_2)
	v_cndmask_b32_e32 v57, v57, v58, vcc_lo
	v_lshl_add_u32 v58, v59, 23, 0x37800000
	s_delay_alu instid0(VALU_DEP_2) | instskip(NEXT) | instid1(VALU_DEP_1)
	v_lshlrev_b32_e32 v57, 21, v57
	v_or3_b32 v57, v17, v58, v57
.LBB6_4071:                             ;   in Loop: Header=BB6_3059 Depth=2
	s_or_b32 exec_lo, exec_lo, s22
	v_lshrrev_b32_e32 v17, 24, v13
	s_mov_b32 s7, 0
	s_mov_b32 s23, exec_lo
                                        ; implicit-def: $sgpr22
	s_delay_alu instid0(VALU_DEP_1)
	v_cmpx_lt_i16_e32 0x7f, v17
	s_xor_b32 s23, exec_lo, s23
	s_cbranch_execnz .LBB6_4589
; %bb.4072:                             ;   in Loop: Header=BB6_3059 Depth=2
	s_or_saveexec_b32 s23, s23
	v_mov_b32_e32 v58, s22
	s_xor_b32 exec_lo, exec_lo, s23
	s_cbranch_execnz .LBB6_4592
.LBB6_4073:                             ;   in Loop: Header=BB6_3059 Depth=2
	s_or_b32 exec_lo, exec_lo, s23
	s_and_saveexec_b32 s22, s7
	s_cbranch_execz .LBB6_4075
.LBB6_4074:                             ;   in Loop: Header=BB6_3059 Depth=2
	v_bfe_u32 v58, v13, 24, 2
	s_delay_alu instid0(VALU_DEP_1) | instskip(NEXT) | instid1(VALU_DEP_1)
	v_clz_i32_u32_e32 v59, v58
	v_min_u32_e32 v59, 32, v59
	s_delay_alu instid0(VALU_DEP_1) | instskip(SKIP_1) | instid1(VALU_DEP_2)
	v_subrev_nc_u32_e32 v60, 29, v59
	v_sub_nc_u32_e32 v59, 30, v59
	v_lshlrev_b32_e32 v17, v60, v17
	v_bfe_u32 v60, v13, 26, 5
	v_and_b32_e32 v13, 0x80000000, v13
	s_delay_alu instid0(VALU_DEP_3) | instskip(NEXT) | instid1(VALU_DEP_3)
	v_and_b32_e32 v17, 3, v17
	v_cmp_eq_u32_e32 vcc_lo, 0, v60
	v_cndmask_b32_e32 v59, v60, v59, vcc_lo
	s_delay_alu instid0(VALU_DEP_3) | instskip(NEXT) | instid1(VALU_DEP_2)
	v_cndmask_b32_e32 v17, v58, v17, vcc_lo
	v_lshl_add_u32 v58, v59, 23, 0x37800000
	s_delay_alu instid0(VALU_DEP_2) | instskip(NEXT) | instid1(VALU_DEP_1)
	v_lshlrev_b32_e32 v17, 21, v17
	v_or3_b32 v58, v13, v58, v17
.LBB6_4075:                             ;   in Loop: Header=BB6_3059 Depth=2
	s_or_b32 exec_lo, exec_lo, s22
	s_delay_alu instid0(VALU_DEP_1) | instskip(NEXT) | instid1(VALU_DEP_1)
	v_mul_f32_e32 v17, v57, v58
	v_and_b32_e32 v13, 0x7f800000, v17
	s_delay_alu instid0(VALU_DEP_1)
	v_cmp_ne_u32_e32 vcc_lo, 0x7f800000, v13
	v_mov_b32_e32 v13, 0x8000
	s_and_saveexec_b32 s22, vcc_lo
	s_cbranch_execz .LBB6_3058
; %bb.4076:                             ;   in Loop: Header=BB6_3059 Depth=2
	v_mov_b32_e32 v13, 0
	s_mov_b32 s23, exec_lo
	v_cmpx_ne_u32_e32 0, v17
	s_cbranch_execz .LBB6_3057
; %bb.4077:                             ;   in Loop: Header=BB6_3059 Depth=2
	v_bfe_u32 v13, v17, 23, 8
	s_delay_alu instid0(VALU_DEP_1) | instskip(SKIP_1) | instid1(VALU_DEP_2)
	v_sub_nc_u32_e32 v58, 0x70, v13
	v_cmp_gt_u32_e32 vcc_lo, 0x71, v13
	v_dual_cndmask_b32 v58, 0, v58 :: v_dual_and_b32 v57, 0x7fffff, v17
	s_delay_alu instid0(VALU_DEP_1) | instskip(SKIP_2) | instid1(VALU_DEP_4)
	v_or_b32_e32 v59, 0x800000, v57
	v_cmp_eq_u32_e32 vcc_lo, 0, v13
	v_add_nc_u32_e32 v13, 0xffffff91, v13
	v_cndmask_b32_e64 v58, v58, 0x6f, vcc_lo
	s_delay_alu instid0(VALU_DEP_4) | instskip(NEXT) | instid1(VALU_DEP_3)
	v_cndmask_b32_e32 v57, v59, v57, vcc_lo
	v_cndmask_b32_e64 v13, v13, 0xffffff92, vcc_lo
	s_delay_alu instid0(VALU_DEP_3) | instskip(NEXT) | instid1(VALU_DEP_3)
	v_lshl_add_u32 v59, 0x200000, v58, -1
	v_lshrrev_b32_e32 v60, v58, v57
	v_lshlrev_b32_e64 v62, v58, 0x100000
	s_delay_alu instid0(VALU_DEP_4) | instskip(NEXT) | instid1(VALU_DEP_4)
	v_add_nc_u32_e32 v58, v58, v13
	v_and_b32_e32 v57, v59, v57
	s_delay_alu instid0(VALU_DEP_4) | instskip(NEXT) | instid1(VALU_DEP_2)
	v_bfe_u32 v61, v60, 21, 1
	v_cmp_eq_u32_e64 s7, v57, v62
	s_delay_alu instid0(VALU_DEP_2) | instskip(NEXT) | instid1(VALU_DEP_1)
	v_add_nc_u32_e32 v59, -1, v61
	v_cndmask_b32_e64 v57, 0, v59, s7
	v_lshrrev_b32_e32 v59, 23, v60
	s_mov_b32 s7, exec_lo
	s_delay_alu instid0(VALU_DEP_2) | instskip(NEXT) | instid1(VALU_DEP_2)
	v_add_nc_u32_e32 v57, v57, v60
	v_xor_b32_e32 v59, 1, v59
	s_delay_alu instid0(VALU_DEP_2) | instskip(NEXT) | instid1(VALU_DEP_1)
	v_and_b32_e32 v13, 0x1fffff, v57
	v_add_nc_u32_e32 v57, v13, v60
                                        ; implicit-def: $vgpr13
	s_delay_alu instid0(VALU_DEP_3)
	v_cmpx_ne_u32_e64 v58, v59
	s_xor_b32 s7, exec_lo, s7
; %bb.4078:                             ;   in Loop: Header=BB6_3059 Depth=2
	s_delay_alu instid0(VALU_DEP_2) | instskip(SKIP_2) | instid1(VALU_DEP_2)
	v_cmp_lt_u32_e32 vcc_lo, 0xffffff, v57
	v_sub_nc_u32_e32 v13, v58, v59
	v_cndmask_b32_e64 v58, 0, 1, vcc_lo
	v_add_co_ci_u32_e32 v13, vcc_lo, 0, v13, vcc_lo
	s_delay_alu instid0(VALU_DEP_2)
	v_lshrrev_b32_e32 v57, v58, v57
; %bb.4079:                             ;   in Loop: Header=BB6_3059 Depth=2
	s_and_not1_saveexec_b32 s7, s7
	s_cbranch_execz .LBB6_3056
; %bb.4080:                             ;   in Loop: Header=BB6_3059 Depth=2
	s_delay_alu instid0(VALU_DEP_1)
	v_bfe_u32 v13, v57, 23, 1
	s_branch .LBB6_3056
.LBB6_4081:                             ;   in Loop: Header=BB6_3059 Depth=2
	s_mov_b32 s7, -1
	s_mov_b32 s24, exec_lo
                                        ; implicit-def: $sgpr22
	v_cmpx_eq_u16_e64 0x80, v145
; %bb.4082:                             ;   in Loop: Header=BB6_3059 Depth=2
	s_mov_b32 s22, 0x7f800001
	s_xor_b32 s7, exec_lo, -1
; %bb.4083:                             ;   in Loop: Header=BB6_3059 Depth=2
	s_or_b32 exec_lo, exec_lo, s24
	s_delay_alu instid0(SALU_CYCLE_1)
	s_and_b32 s7, s7, exec_lo
                                        ; implicit-def: $vgpr145
	s_or_saveexec_b32 s23, s23
	v_mov_b32_e32 v144, s22
	s_xor_b32 exec_lo, exec_lo, s23
	s_cbranch_execz .LBB6_3061
.LBB6_4084:                             ;   in Loop: Header=BB6_3059 Depth=2
	v_cmp_ne_u16_e64 vcc_lo, 0, v145
	v_mov_b32_e32 v144, 0
	s_and_not1_b32 s7, s7, exec_lo
	s_delay_alu instid0(VALU_DEP_2) | instskip(NEXT) | instid1(SALU_CYCLE_1)
	s_and_b32 s22, vcc_lo, exec_lo
	s_or_b32 s7, s7, s22
	s_or_b32 exec_lo, exec_lo, s23
	s_and_saveexec_b32 s22, s7
	s_cbranch_execnz .LBB6_3062
	s_branch .LBB6_3063
.LBB6_4085:                             ;   in Loop: Header=BB6_3059 Depth=2
	s_mov_b32 s7, -1
	s_mov_b32 s24, exec_lo
                                        ; implicit-def: $sgpr22
	v_cmpx_eq_u16_e64 0x80, v146
; %bb.4086:                             ;   in Loop: Header=BB6_3059 Depth=2
	s_mov_b32 s22, 0x7f800001
	s_xor_b32 s7, exec_lo, -1
; %bb.4087:                             ;   in Loop: Header=BB6_3059 Depth=2
	s_or_b32 exec_lo, exec_lo, s24
	s_delay_alu instid0(SALU_CYCLE_1)
	s_and_b32 s7, s7, exec_lo
                                        ; implicit-def: $vgpr146
	s_or_saveexec_b32 s23, s23
	v_mov_b32_e32 v145, s22
	s_xor_b32 exec_lo, exec_lo, s23
	s_cbranch_execz .LBB6_3065
.LBB6_4088:                             ;   in Loop: Header=BB6_3059 Depth=2
	v_cmp_ne_u16_e64 vcc_lo, 0, v146
	v_mov_b32_e32 v145, 0
	s_and_not1_b32 s7, s7, exec_lo
	s_delay_alu instid0(VALU_DEP_2) | instskip(NEXT) | instid1(SALU_CYCLE_1)
	s_and_b32 s22, vcc_lo, exec_lo
	s_or_b32 s7, s7, s22
	s_or_b32 exec_lo, exec_lo, s23
	s_and_saveexec_b32 s22, s7
	s_cbranch_execnz .LBB6_3066
	s_branch .LBB6_3067
.LBB6_4089:                             ;   in Loop: Header=BB6_3059 Depth=2
	s_mov_b32 s7, -1
	s_mov_b32 s24, exec_lo
                                        ; implicit-def: $sgpr22
	v_cmpx_eq_u16_e64 0x80, v146
; %bb.4090:                             ;   in Loop: Header=BB6_3059 Depth=2
	s_mov_b32 s22, 0x7f800001
	s_xor_b32 s7, exec_lo, -1
; %bb.4091:                             ;   in Loop: Header=BB6_3059 Depth=2
	s_or_b32 exec_lo, exec_lo, s24
	s_delay_alu instid0(SALU_CYCLE_1)
	s_and_b32 s7, s7, exec_lo
	s_or_saveexec_b32 s23, s23
	v_mov_b32_e32 v145, s22
	s_xor_b32 exec_lo, exec_lo, s23
	s_cbranch_execz .LBB6_3077
.LBB6_4092:                             ;   in Loop: Header=BB6_3059 Depth=2
	v_cmp_ne_u16_e64 vcc_lo, 0, v146
	v_mov_b32_e32 v145, 0
	s_and_not1_b32 s7, s7, exec_lo
	s_delay_alu instid0(VALU_DEP_2) | instskip(NEXT) | instid1(SALU_CYCLE_1)
	s_and_b32 s22, vcc_lo, exec_lo
	s_or_b32 s7, s7, s22
	s_or_b32 exec_lo, exec_lo, s23
	s_and_saveexec_b32 s22, s7
	s_cbranch_execnz .LBB6_3078
	s_branch .LBB6_3079
.LBB6_4093:                             ;   in Loop: Header=BB6_3059 Depth=2
	s_mov_b32 s7, -1
	s_mov_b32 s24, exec_lo
                                        ; implicit-def: $sgpr22
	v_cmpx_eq_u16_e64 0x80, v146
; %bb.4094:                             ;   in Loop: Header=BB6_3059 Depth=2
	s_mov_b32 s22, 0x7f800001
	s_xor_b32 s7, exec_lo, -1
; %bb.4095:                             ;   in Loop: Header=BB6_3059 Depth=2
	s_or_b32 exec_lo, exec_lo, s24
	s_delay_alu instid0(SALU_CYCLE_1)
	s_and_b32 s7, s7, exec_lo
	s_or_saveexec_b32 s23, s23
	v_mov_b32_e32 v147, s22
	s_xor_b32 exec_lo, exec_lo, s23
	s_cbranch_execz .LBB6_3081
.LBB6_4096:                             ;   in Loop: Header=BB6_3059 Depth=2
	v_cmp_ne_u16_e64 vcc_lo, 0, v146
	v_mov_b32_e32 v147, 0
	s_and_not1_b32 s7, s7, exec_lo
	s_delay_alu instid0(VALU_DEP_2) | instskip(NEXT) | instid1(SALU_CYCLE_1)
	s_and_b32 s22, vcc_lo, exec_lo
	s_or_b32 s7, s7, s22
	s_or_b32 exec_lo, exec_lo, s23
	s_and_saveexec_b32 s22, s7
	s_cbranch_execnz .LBB6_3082
	s_branch .LBB6_3083
.LBB6_4097:                             ;   in Loop: Header=BB6_3059 Depth=2
	s_mov_b32 s7, -1
	s_mov_b32 s24, exec_lo
                                        ; implicit-def: $sgpr22
	v_cmpx_eq_u16_e64 0x80, v148
; %bb.4098:                             ;   in Loop: Header=BB6_3059 Depth=2
	s_mov_b32 s22, 0x7f800001
	s_xor_b32 s7, exec_lo, -1
; %bb.4099:                             ;   in Loop: Header=BB6_3059 Depth=2
	s_or_b32 exec_lo, exec_lo, s24
	s_delay_alu instid0(SALU_CYCLE_1)
	s_and_b32 s7, s7, exec_lo
                                        ; implicit-def: $vgpr148
	s_or_saveexec_b32 s23, s23
	v_mov_b32_e32 v146, s22
	s_xor_b32 exec_lo, exec_lo, s23
	s_cbranch_execz .LBB6_3093
.LBB6_4100:                             ;   in Loop: Header=BB6_3059 Depth=2
	v_cmp_ne_u16_e64 vcc_lo, 0, v148
	v_mov_b32_e32 v146, 0
	s_and_not1_b32 s7, s7, exec_lo
	s_delay_alu instid0(VALU_DEP_2) | instskip(NEXT) | instid1(SALU_CYCLE_1)
	s_and_b32 s22, vcc_lo, exec_lo
	s_or_b32 s7, s7, s22
	s_or_b32 exec_lo, exec_lo, s23
	s_and_saveexec_b32 s22, s7
	s_cbranch_execnz .LBB6_3094
	s_branch .LBB6_3095
.LBB6_4101:                             ;   in Loop: Header=BB6_3059 Depth=2
	s_mov_b32 s7, -1
	s_mov_b32 s24, exec_lo
                                        ; implicit-def: $sgpr22
	v_cmpx_eq_u16_e64 0x80, v149
; %bb.4102:                             ;   in Loop: Header=BB6_3059 Depth=2
	s_mov_b32 s22, 0x7f800001
	s_xor_b32 s7, exec_lo, -1
; %bb.4103:                             ;   in Loop: Header=BB6_3059 Depth=2
	s_or_b32 exec_lo, exec_lo, s24
	s_delay_alu instid0(SALU_CYCLE_1)
	s_and_b32 s7, s7, exec_lo
                                        ; implicit-def: $vgpr149
	s_or_saveexec_b32 s23, s23
	v_mov_b32_e32 v148, s22
	s_xor_b32 exec_lo, exec_lo, s23
	s_cbranch_execz .LBB6_3097
.LBB6_4104:                             ;   in Loop: Header=BB6_3059 Depth=2
	v_cmp_ne_u16_e64 vcc_lo, 0, v149
	v_mov_b32_e32 v148, 0
	s_and_not1_b32 s7, s7, exec_lo
	s_delay_alu instid0(VALU_DEP_2) | instskip(NEXT) | instid1(SALU_CYCLE_1)
	s_and_b32 s22, vcc_lo, exec_lo
	s_or_b32 s7, s7, s22
	s_or_b32 exec_lo, exec_lo, s23
	s_and_saveexec_b32 s22, s7
	s_cbranch_execnz .LBB6_3098
	s_branch .LBB6_3099
.LBB6_4105:                             ;   in Loop: Header=BB6_3059 Depth=2
	s_mov_b32 s7, -1
	s_mov_b32 s24, exec_lo
                                        ; implicit-def: $sgpr22
	v_cmpx_eq_u16_e64 0x80, v148
; %bb.4106:                             ;   in Loop: Header=BB6_3059 Depth=2
	s_mov_b32 s22, 0x7f800001
	s_xor_b32 s7, exec_lo, -1
; %bb.4107:                             ;   in Loop: Header=BB6_3059 Depth=2
	s_or_b32 exec_lo, exec_lo, s24
	s_delay_alu instid0(SALU_CYCLE_1)
	s_and_b32 s7, s7, exec_lo
	s_or_saveexec_b32 s23, s23
	v_mov_b32_e32 v147, s22
	s_xor_b32 exec_lo, exec_lo, s23
	s_cbranch_execz .LBB6_3109
.LBB6_4108:                             ;   in Loop: Header=BB6_3059 Depth=2
	v_cmp_ne_u16_e64 vcc_lo, 0, v148
	v_mov_b32_e32 v147, 0
	s_and_not1_b32 s7, s7, exec_lo
	s_delay_alu instid0(VALU_DEP_2) | instskip(NEXT) | instid1(SALU_CYCLE_1)
	s_and_b32 s22, vcc_lo, exec_lo
	s_or_b32 s7, s7, s22
	s_or_b32 exec_lo, exec_lo, s23
	s_and_saveexec_b32 s22, s7
	s_cbranch_execnz .LBB6_3110
	s_branch .LBB6_3111
.LBB6_4109:                             ;   in Loop: Header=BB6_3059 Depth=2
	s_mov_b32 s7, -1
	s_mov_b32 s24, exec_lo
                                        ; implicit-def: $sgpr22
	v_cmpx_eq_u16_e32 0x80, v48
; %bb.4110:                             ;   in Loop: Header=BB6_3059 Depth=2
	s_mov_b32 s22, 0x7f800001
	s_xor_b32 s7, exec_lo, -1
; %bb.4111:                             ;   in Loop: Header=BB6_3059 Depth=2
	s_or_b32 exec_lo, exec_lo, s24
	s_delay_alu instid0(SALU_CYCLE_1)
	s_and_b32 s7, s7, exec_lo
	s_or_saveexec_b32 s23, s23
	v_mov_b32_e32 v148, s22
	s_xor_b32 exec_lo, exec_lo, s23
	s_cbranch_execz .LBB6_3113
.LBB6_4112:                             ;   in Loop: Header=BB6_3059 Depth=2
	v_cmp_ne_u16_e32 vcc_lo, 0, v48
	v_mov_b32_e32 v148, 0
	s_and_not1_b32 s7, s7, exec_lo
	s_and_b32 s22, vcc_lo, exec_lo
	s_delay_alu instid0(SALU_CYCLE_1)
	s_or_b32 s7, s7, s22
	s_or_b32 exec_lo, exec_lo, s23
	s_and_saveexec_b32 s22, s7
	s_cbranch_execnz .LBB6_3114
	s_branch .LBB6_3115
.LBB6_4113:                             ;   in Loop: Header=BB6_3059 Depth=2
	s_mov_b32 s7, -1
	s_mov_b32 s24, exec_lo
                                        ; implicit-def: $sgpr22
	v_cmpx_eq_u16_e64 0x80, v147
; %bb.4114:                             ;   in Loop: Header=BB6_3059 Depth=2
	s_mov_b32 s22, 0x7f800001
	s_xor_b32 s7, exec_lo, -1
; %bb.4115:                             ;   in Loop: Header=BB6_3059 Depth=2
	s_or_b32 exec_lo, exec_lo, s24
	s_delay_alu instid0(SALU_CYCLE_1)
	s_and_b32 s7, s7, exec_lo
                                        ; implicit-def: $vgpr147
	s_or_saveexec_b32 s23, s23
	v_mov_b32_e32 v48, s22
	s_xor_b32 exec_lo, exec_lo, s23
	s_cbranch_execz .LBB6_3125
.LBB6_4116:                             ;   in Loop: Header=BB6_3059 Depth=2
	v_cmp_ne_u16_e64 vcc_lo, 0, v147
	v_mov_b32_e32 v48, 0
	s_and_not1_b32 s7, s7, exec_lo
	s_delay_alu instid0(VALU_DEP_2) | instskip(NEXT) | instid1(SALU_CYCLE_1)
	s_and_b32 s22, vcc_lo, exec_lo
	s_or_b32 s7, s7, s22
	s_or_b32 exec_lo, exec_lo, s23
	s_and_saveexec_b32 s22, s7
	s_cbranch_execnz .LBB6_3126
	s_branch .LBB6_3127
.LBB6_4117:                             ;   in Loop: Header=BB6_3059 Depth=2
	s_mov_b32 s7, -1
	s_mov_b32 s24, exec_lo
                                        ; implicit-def: $sgpr22
	v_cmpx_eq_u16_e64 0x80, v148
; %bb.4118:                             ;   in Loop: Header=BB6_3059 Depth=2
	s_mov_b32 s22, 0x7f800001
	s_xor_b32 s7, exec_lo, -1
; %bb.4119:                             ;   in Loop: Header=BB6_3059 Depth=2
	s_or_b32 exec_lo, exec_lo, s24
	s_delay_alu instid0(SALU_CYCLE_1)
	s_and_b32 s7, s7, exec_lo
                                        ; implicit-def: $vgpr148
	s_or_saveexec_b32 s23, s23
	v_mov_b32_e32 v147, s22
	s_xor_b32 exec_lo, exec_lo, s23
	s_cbranch_execz .LBB6_3129
.LBB6_4120:                             ;   in Loop: Header=BB6_3059 Depth=2
	v_cmp_ne_u16_e64 vcc_lo, 0, v148
	v_mov_b32_e32 v147, 0
	s_and_not1_b32 s7, s7, exec_lo
	s_delay_alu instid0(VALU_DEP_2) | instskip(NEXT) | instid1(SALU_CYCLE_1)
	s_and_b32 s22, vcc_lo, exec_lo
	s_or_b32 s7, s7, s22
	s_or_b32 exec_lo, exec_lo, s23
	s_and_saveexec_b32 s22, s7
	s_cbranch_execnz .LBB6_3130
	s_branch .LBB6_3131
.LBB6_4121:                             ;   in Loop: Header=BB6_3059 Depth=2
	s_mov_b32 s7, -1
	s_mov_b32 s24, exec_lo
                                        ; implicit-def: $sgpr22
	v_cmpx_eq_u16_e64 0x80, v148
; %bb.4122:                             ;   in Loop: Header=BB6_3059 Depth=2
	s_mov_b32 s22, 0x7f800001
	s_xor_b32 s7, exec_lo, -1
; %bb.4123:                             ;   in Loop: Header=BB6_3059 Depth=2
	s_or_b32 exec_lo, exec_lo, s24
	s_delay_alu instid0(SALU_CYCLE_1)
	s_and_b32 s7, s7, exec_lo
	s_or_saveexec_b32 s23, s23
	v_mov_b32_e32 v147, s22
	s_xor_b32 exec_lo, exec_lo, s23
	s_cbranch_execz .LBB6_3141
.LBB6_4124:                             ;   in Loop: Header=BB6_3059 Depth=2
	v_cmp_ne_u16_e64 vcc_lo, 0, v148
	v_mov_b32_e32 v147, 0
	s_and_not1_b32 s7, s7, exec_lo
	s_delay_alu instid0(VALU_DEP_2) | instskip(NEXT) | instid1(SALU_CYCLE_1)
	s_and_b32 s22, vcc_lo, exec_lo
	s_or_b32 s7, s7, s22
	s_or_b32 exec_lo, exec_lo, s23
	s_and_saveexec_b32 s22, s7
	s_cbranch_execnz .LBB6_3142
	s_branch .LBB6_3143
.LBB6_4125:                             ;   in Loop: Header=BB6_3059 Depth=2
	s_mov_b32 s7, -1
	s_mov_b32 s24, exec_lo
                                        ; implicit-def: $sgpr22
	v_cmpx_eq_u16_e64 0x80, v148
; %bb.4126:                             ;   in Loop: Header=BB6_3059 Depth=2
	s_mov_b32 s22, 0x7f800001
	s_xor_b32 s7, exec_lo, -1
; %bb.4127:                             ;   in Loop: Header=BB6_3059 Depth=2
	s_or_b32 exec_lo, exec_lo, s24
	s_delay_alu instid0(SALU_CYCLE_1)
	s_and_b32 s7, s7, exec_lo
	s_or_saveexec_b32 s23, s23
	v_mov_b32_e32 v149, s22
	s_xor_b32 exec_lo, exec_lo, s23
	s_cbranch_execz .LBB6_3145
.LBB6_4128:                             ;   in Loop: Header=BB6_3059 Depth=2
	v_cmp_ne_u16_e64 vcc_lo, 0, v148
	v_mov_b32_e32 v149, 0
	s_and_not1_b32 s7, s7, exec_lo
	s_delay_alu instid0(VALU_DEP_2) | instskip(NEXT) | instid1(SALU_CYCLE_1)
	s_and_b32 s22, vcc_lo, exec_lo
	s_or_b32 s7, s7, s22
	s_or_b32 exec_lo, exec_lo, s23
	s_and_saveexec_b32 s22, s7
	s_cbranch_execnz .LBB6_3146
	s_branch .LBB6_3147
.LBB6_4129:                             ;   in Loop: Header=BB6_3059 Depth=2
	s_mov_b32 s7, -1
	s_mov_b32 s24, exec_lo
                                        ; implicit-def: $sgpr22
	v_cmpx_eq_u16_e64 0x80, v150
; %bb.4130:                             ;   in Loop: Header=BB6_3059 Depth=2
	s_mov_b32 s22, 0x7f800001
	s_xor_b32 s7, exec_lo, -1
; %bb.4131:                             ;   in Loop: Header=BB6_3059 Depth=2
	s_or_b32 exec_lo, exec_lo, s24
	s_delay_alu instid0(SALU_CYCLE_1)
	s_and_b32 s7, s7, exec_lo
                                        ; implicit-def: $vgpr150
	s_or_saveexec_b32 s23, s23
	v_mov_b32_e32 v148, s22
	s_xor_b32 exec_lo, exec_lo, s23
	s_cbranch_execz .LBB6_3157
.LBB6_4132:                             ;   in Loop: Header=BB6_3059 Depth=2
	v_cmp_ne_u16_e64 vcc_lo, 0, v150
	v_mov_b32_e32 v148, 0
	s_and_not1_b32 s7, s7, exec_lo
	s_delay_alu instid0(VALU_DEP_2) | instskip(NEXT) | instid1(SALU_CYCLE_1)
	s_and_b32 s22, vcc_lo, exec_lo
	s_or_b32 s7, s7, s22
	s_or_b32 exec_lo, exec_lo, s23
	s_and_saveexec_b32 s22, s7
	s_cbranch_execnz .LBB6_3158
	s_branch .LBB6_3159
.LBB6_4133:                             ;   in Loop: Header=BB6_3059 Depth=2
	s_mov_b32 s7, -1
	s_mov_b32 s24, exec_lo
                                        ; implicit-def: $sgpr22
	v_cmpx_eq_u16_e64 0x80, v151
; %bb.4134:                             ;   in Loop: Header=BB6_3059 Depth=2
	s_mov_b32 s22, 0x7f800001
	s_xor_b32 s7, exec_lo, -1
; %bb.4135:                             ;   in Loop: Header=BB6_3059 Depth=2
	s_or_b32 exec_lo, exec_lo, s24
	s_delay_alu instid0(SALU_CYCLE_1)
	s_and_b32 s7, s7, exec_lo
                                        ; implicit-def: $vgpr151
	s_or_saveexec_b32 s23, s23
	v_mov_b32_e32 v150, s22
	s_xor_b32 exec_lo, exec_lo, s23
	s_cbranch_execz .LBB6_3161
.LBB6_4136:                             ;   in Loop: Header=BB6_3059 Depth=2
	v_cmp_ne_u16_e64 vcc_lo, 0, v151
	v_mov_b32_e32 v150, 0
	s_and_not1_b32 s7, s7, exec_lo
	s_delay_alu instid0(VALU_DEP_2) | instskip(NEXT) | instid1(SALU_CYCLE_1)
	s_and_b32 s22, vcc_lo, exec_lo
	s_or_b32 s7, s7, s22
	s_or_b32 exec_lo, exec_lo, s23
	s_and_saveexec_b32 s22, s7
	s_cbranch_execnz .LBB6_3162
	s_branch .LBB6_3163
.LBB6_4137:                             ;   in Loop: Header=BB6_3059 Depth=2
	s_mov_b32 s7, -1
	s_mov_b32 s24, exec_lo
                                        ; implicit-def: $sgpr22
	v_cmpx_eq_u16_e64 0x80, v150
; %bb.4138:                             ;   in Loop: Header=BB6_3059 Depth=2
	s_mov_b32 s22, 0x7f800001
	s_xor_b32 s7, exec_lo, -1
; %bb.4139:                             ;   in Loop: Header=BB6_3059 Depth=2
	s_or_b32 exec_lo, exec_lo, s24
	s_delay_alu instid0(SALU_CYCLE_1)
	s_and_b32 s7, s7, exec_lo
	s_or_saveexec_b32 s23, s23
	v_mov_b32_e32 v149, s22
	s_xor_b32 exec_lo, exec_lo, s23
	s_cbranch_execz .LBB6_3173
.LBB6_4140:                             ;   in Loop: Header=BB6_3059 Depth=2
	v_cmp_ne_u16_e64 vcc_lo, 0, v150
	v_mov_b32_e32 v149, 0
	s_and_not1_b32 s7, s7, exec_lo
	s_delay_alu instid0(VALU_DEP_2) | instskip(NEXT) | instid1(SALU_CYCLE_1)
	s_and_b32 s22, vcc_lo, exec_lo
	s_or_b32 s7, s7, s22
	s_or_b32 exec_lo, exec_lo, s23
	s_and_saveexec_b32 s22, s7
	s_cbranch_execnz .LBB6_3174
	s_branch .LBB6_3175
.LBB6_4141:                             ;   in Loop: Header=BB6_3059 Depth=2
	s_mov_b32 s7, -1
	s_mov_b32 s24, exec_lo
                                        ; implicit-def: $sgpr22
	v_cmpx_eq_u16_e32 0x80, v49
; %bb.4142:                             ;   in Loop: Header=BB6_3059 Depth=2
	s_mov_b32 s22, 0x7f800001
	s_xor_b32 s7, exec_lo, -1
; %bb.4143:                             ;   in Loop: Header=BB6_3059 Depth=2
	s_or_b32 exec_lo, exec_lo, s24
	s_delay_alu instid0(SALU_CYCLE_1)
	s_and_b32 s7, s7, exec_lo
	s_or_saveexec_b32 s23, s23
	v_mov_b32_e32 v150, s22
	s_xor_b32 exec_lo, exec_lo, s23
	s_cbranch_execz .LBB6_3177
.LBB6_4144:                             ;   in Loop: Header=BB6_3059 Depth=2
	v_cmp_ne_u16_e32 vcc_lo, 0, v49
	v_mov_b32_e32 v150, 0
	s_and_not1_b32 s7, s7, exec_lo
	s_and_b32 s22, vcc_lo, exec_lo
	s_delay_alu instid0(SALU_CYCLE_1)
	s_or_b32 s7, s7, s22
	s_or_b32 exec_lo, exec_lo, s23
	s_and_saveexec_b32 s22, s7
	s_cbranch_execnz .LBB6_3178
	s_branch .LBB6_3179
.LBB6_4145:                             ;   in Loop: Header=BB6_3059 Depth=2
	s_mov_b32 s7, -1
	s_mov_b32 s24, exec_lo
                                        ; implicit-def: $sgpr22
	v_cmpx_eq_u16_e64 0x80, v149
; %bb.4146:                             ;   in Loop: Header=BB6_3059 Depth=2
	s_mov_b32 s22, 0x7f800001
	s_xor_b32 s7, exec_lo, -1
; %bb.4147:                             ;   in Loop: Header=BB6_3059 Depth=2
	s_or_b32 exec_lo, exec_lo, s24
	s_delay_alu instid0(SALU_CYCLE_1)
	s_and_b32 s7, s7, exec_lo
                                        ; implicit-def: $vgpr149
	s_or_saveexec_b32 s23, s23
	v_mov_b32_e32 v49, s22
	s_xor_b32 exec_lo, exec_lo, s23
	s_cbranch_execz .LBB6_3189
.LBB6_4148:                             ;   in Loop: Header=BB6_3059 Depth=2
	v_cmp_ne_u16_e64 vcc_lo, 0, v149
	v_mov_b32_e32 v49, 0
	s_and_not1_b32 s7, s7, exec_lo
	s_delay_alu instid0(VALU_DEP_2) | instskip(NEXT) | instid1(SALU_CYCLE_1)
	s_and_b32 s22, vcc_lo, exec_lo
	s_or_b32 s7, s7, s22
	s_or_b32 exec_lo, exec_lo, s23
	s_and_saveexec_b32 s22, s7
	s_cbranch_execnz .LBB6_3190
	s_branch .LBB6_3191
.LBB6_4149:                             ;   in Loop: Header=BB6_3059 Depth=2
	s_mov_b32 s7, -1
	s_mov_b32 s24, exec_lo
                                        ; implicit-def: $sgpr22
	v_cmpx_eq_u16_e64 0x80, v150
; %bb.4150:                             ;   in Loop: Header=BB6_3059 Depth=2
	s_mov_b32 s22, 0x7f800001
	s_xor_b32 s7, exec_lo, -1
; %bb.4151:                             ;   in Loop: Header=BB6_3059 Depth=2
	s_or_b32 exec_lo, exec_lo, s24
	s_delay_alu instid0(SALU_CYCLE_1)
	s_and_b32 s7, s7, exec_lo
                                        ; implicit-def: $vgpr150
	s_or_saveexec_b32 s23, s23
	v_mov_b32_e32 v149, s22
	s_xor_b32 exec_lo, exec_lo, s23
	s_cbranch_execz .LBB6_3193
.LBB6_4152:                             ;   in Loop: Header=BB6_3059 Depth=2
	v_cmp_ne_u16_e64 vcc_lo, 0, v150
	v_mov_b32_e32 v149, 0
	s_and_not1_b32 s7, s7, exec_lo
	s_delay_alu instid0(VALU_DEP_2) | instskip(NEXT) | instid1(SALU_CYCLE_1)
	s_and_b32 s22, vcc_lo, exec_lo
	s_or_b32 s7, s7, s22
	s_or_b32 exec_lo, exec_lo, s23
	s_and_saveexec_b32 s22, s7
	s_cbranch_execnz .LBB6_3194
	s_branch .LBB6_3195
.LBB6_4153:                             ;   in Loop: Header=BB6_3059 Depth=2
	s_mov_b32 s7, -1
	s_mov_b32 s24, exec_lo
                                        ; implicit-def: $sgpr22
	v_cmpx_eq_u16_e64 0x80, v150
; %bb.4154:                             ;   in Loop: Header=BB6_3059 Depth=2
	s_mov_b32 s22, 0x7f800001
	s_xor_b32 s7, exec_lo, -1
; %bb.4155:                             ;   in Loop: Header=BB6_3059 Depth=2
	s_or_b32 exec_lo, exec_lo, s24
	s_delay_alu instid0(SALU_CYCLE_1)
	s_and_b32 s7, s7, exec_lo
	s_or_saveexec_b32 s23, s23
	v_mov_b32_e32 v149, s22
	s_xor_b32 exec_lo, exec_lo, s23
	s_cbranch_execz .LBB6_3205
.LBB6_4156:                             ;   in Loop: Header=BB6_3059 Depth=2
	v_cmp_ne_u16_e64 vcc_lo, 0, v150
	v_mov_b32_e32 v149, 0
	s_and_not1_b32 s7, s7, exec_lo
	s_delay_alu instid0(VALU_DEP_2) | instskip(NEXT) | instid1(SALU_CYCLE_1)
	s_and_b32 s22, vcc_lo, exec_lo
	s_or_b32 s7, s7, s22
	s_or_b32 exec_lo, exec_lo, s23
	s_and_saveexec_b32 s22, s7
	s_cbranch_execnz .LBB6_3206
	s_branch .LBB6_3207
.LBB6_4157:                             ;   in Loop: Header=BB6_3059 Depth=2
	s_mov_b32 s7, -1
	s_mov_b32 s24, exec_lo
                                        ; implicit-def: $sgpr22
	v_cmpx_eq_u16_e64 0x80, v150
; %bb.4158:                             ;   in Loop: Header=BB6_3059 Depth=2
	s_mov_b32 s22, 0x7f800001
	s_xor_b32 s7, exec_lo, -1
; %bb.4159:                             ;   in Loop: Header=BB6_3059 Depth=2
	s_or_b32 exec_lo, exec_lo, s24
	s_delay_alu instid0(SALU_CYCLE_1)
	s_and_b32 s7, s7, exec_lo
	s_or_saveexec_b32 s23, s23
	v_mov_b32_e32 v151, s22
	s_xor_b32 exec_lo, exec_lo, s23
	s_cbranch_execz .LBB6_3209
.LBB6_4160:                             ;   in Loop: Header=BB6_3059 Depth=2
	v_cmp_ne_u16_e64 vcc_lo, 0, v150
	v_mov_b32_e32 v151, 0
	s_and_not1_b32 s7, s7, exec_lo
	s_delay_alu instid0(VALU_DEP_2) | instskip(NEXT) | instid1(SALU_CYCLE_1)
	s_and_b32 s22, vcc_lo, exec_lo
	s_or_b32 s7, s7, s22
	s_or_b32 exec_lo, exec_lo, s23
	s_and_saveexec_b32 s22, s7
	s_cbranch_execnz .LBB6_3210
	s_branch .LBB6_3211
.LBB6_4161:                             ;   in Loop: Header=BB6_3059 Depth=2
	s_mov_b32 s7, -1
	s_mov_b32 s24, exec_lo
                                        ; implicit-def: $sgpr22
	v_cmpx_eq_u16_e64 0x80, v160
; %bb.4162:                             ;   in Loop: Header=BB6_3059 Depth=2
	s_mov_b32 s22, 0x7f800001
	s_xor_b32 s7, exec_lo, -1
; %bb.4163:                             ;   in Loop: Header=BB6_3059 Depth=2
	s_or_b32 exec_lo, exec_lo, s24
	s_delay_alu instid0(SALU_CYCLE_1)
	s_and_b32 s7, s7, exec_lo
                                        ; implicit-def: $vgpr160
	s_or_saveexec_b32 s23, s23
	v_mov_b32_e32 v150, s22
	s_xor_b32 exec_lo, exec_lo, s23
	s_cbranch_execz .LBB6_3221
.LBB6_4164:                             ;   in Loop: Header=BB6_3059 Depth=2
	v_cmp_ne_u16_e64 vcc_lo, 0, v160
	v_mov_b32_e32 v150, 0
	s_and_not1_b32 s7, s7, exec_lo
	s_delay_alu instid0(VALU_DEP_2) | instskip(NEXT) | instid1(SALU_CYCLE_1)
	s_and_b32 s22, vcc_lo, exec_lo
	s_or_b32 s7, s7, s22
	s_or_b32 exec_lo, exec_lo, s23
	s_and_saveexec_b32 s22, s7
	s_cbranch_execnz .LBB6_3222
	s_branch .LBB6_3223
.LBB6_4165:                             ;   in Loop: Header=BB6_3059 Depth=2
	s_mov_b32 s7, -1
	s_mov_b32 s24, exec_lo
                                        ; implicit-def: $sgpr22
	v_cmpx_eq_u16_e64 0x80, v161
; %bb.4166:                             ;   in Loop: Header=BB6_3059 Depth=2
	s_mov_b32 s22, 0x7f800001
	s_xor_b32 s7, exec_lo, -1
; %bb.4167:                             ;   in Loop: Header=BB6_3059 Depth=2
	s_or_b32 exec_lo, exec_lo, s24
	s_delay_alu instid0(SALU_CYCLE_1)
	s_and_b32 s7, s7, exec_lo
                                        ; implicit-def: $vgpr161
	s_or_saveexec_b32 s23, s23
	v_mov_b32_e32 v160, s22
	s_xor_b32 exec_lo, exec_lo, s23
	s_cbranch_execz .LBB6_3225
.LBB6_4168:                             ;   in Loop: Header=BB6_3059 Depth=2
	v_cmp_ne_u16_e64 vcc_lo, 0, v161
	v_mov_b32_e32 v160, 0
	s_and_not1_b32 s7, s7, exec_lo
	s_delay_alu instid0(VALU_DEP_2) | instskip(NEXT) | instid1(SALU_CYCLE_1)
	s_and_b32 s22, vcc_lo, exec_lo
	s_or_b32 s7, s7, s22
	s_or_b32 exec_lo, exec_lo, s23
	s_and_saveexec_b32 s22, s7
	s_cbranch_execnz .LBB6_3226
	s_branch .LBB6_3227
.LBB6_4169:                             ;   in Loop: Header=BB6_3059 Depth=2
	s_mov_b32 s7, -1
	s_mov_b32 s24, exec_lo
                                        ; implicit-def: $sgpr22
	v_cmpx_eq_u16_e64 0x80, v160
; %bb.4170:                             ;   in Loop: Header=BB6_3059 Depth=2
	s_mov_b32 s22, 0x7f800001
	s_xor_b32 s7, exec_lo, -1
; %bb.4171:                             ;   in Loop: Header=BB6_3059 Depth=2
	s_or_b32 exec_lo, exec_lo, s24
	s_delay_alu instid0(SALU_CYCLE_1)
	s_and_b32 s7, s7, exec_lo
	s_or_saveexec_b32 s23, s23
	v_mov_b32_e32 v151, s22
	s_xor_b32 exec_lo, exec_lo, s23
	s_cbranch_execz .LBB6_3237
.LBB6_4172:                             ;   in Loop: Header=BB6_3059 Depth=2
	v_cmp_ne_u16_e64 vcc_lo, 0, v160
	v_mov_b32_e32 v151, 0
	s_and_not1_b32 s7, s7, exec_lo
	s_delay_alu instid0(VALU_DEP_2) | instskip(NEXT) | instid1(SALU_CYCLE_1)
	s_and_b32 s22, vcc_lo, exec_lo
	s_or_b32 s7, s7, s22
	s_or_b32 exec_lo, exec_lo, s23
	s_and_saveexec_b32 s22, s7
	s_cbranch_execnz .LBB6_3238
	s_branch .LBB6_3239
.LBB6_4173:                             ;   in Loop: Header=BB6_3059 Depth=2
	s_mov_b32 s7, -1
	s_mov_b32 s24, exec_lo
                                        ; implicit-def: $sgpr22
	v_cmpx_eq_u16_e32 0x80, v50
; %bb.4174:                             ;   in Loop: Header=BB6_3059 Depth=2
	s_mov_b32 s22, 0x7f800001
	s_xor_b32 s7, exec_lo, -1
; %bb.4175:                             ;   in Loop: Header=BB6_3059 Depth=2
	s_or_b32 exec_lo, exec_lo, s24
	s_delay_alu instid0(SALU_CYCLE_1)
	s_and_b32 s7, s7, exec_lo
	s_or_saveexec_b32 s23, s23
	v_mov_b32_e32 v160, s22
	s_xor_b32 exec_lo, exec_lo, s23
	s_cbranch_execz .LBB6_3241
.LBB6_4176:                             ;   in Loop: Header=BB6_3059 Depth=2
	v_cmp_ne_u16_e32 vcc_lo, 0, v50
	v_mov_b32_e32 v160, 0
	s_and_not1_b32 s7, s7, exec_lo
	s_and_b32 s22, vcc_lo, exec_lo
	s_delay_alu instid0(SALU_CYCLE_1)
	s_or_b32 s7, s7, s22
	s_or_b32 exec_lo, exec_lo, s23
	s_and_saveexec_b32 s22, s7
	s_cbranch_execnz .LBB6_3242
	s_branch .LBB6_3243
.LBB6_4177:                             ;   in Loop: Header=BB6_3059 Depth=2
	s_mov_b32 s7, -1
	s_mov_b32 s24, exec_lo
                                        ; implicit-def: $sgpr22
	v_cmpx_eq_u16_e64 0x80, v151
; %bb.4178:                             ;   in Loop: Header=BB6_3059 Depth=2
	s_mov_b32 s22, 0x7f800001
	s_xor_b32 s7, exec_lo, -1
; %bb.4179:                             ;   in Loop: Header=BB6_3059 Depth=2
	s_or_b32 exec_lo, exec_lo, s24
	s_delay_alu instid0(SALU_CYCLE_1)
	s_and_b32 s7, s7, exec_lo
                                        ; implicit-def: $vgpr151
	s_or_saveexec_b32 s23, s23
	v_mov_b32_e32 v50, s22
	s_xor_b32 exec_lo, exec_lo, s23
	s_cbranch_execz .LBB6_3253
.LBB6_4180:                             ;   in Loop: Header=BB6_3059 Depth=2
	v_cmp_ne_u16_e64 vcc_lo, 0, v151
	v_mov_b32_e32 v50, 0
	s_and_not1_b32 s7, s7, exec_lo
	s_delay_alu instid0(VALU_DEP_2) | instskip(NEXT) | instid1(SALU_CYCLE_1)
	s_and_b32 s22, vcc_lo, exec_lo
	s_or_b32 s7, s7, s22
	s_or_b32 exec_lo, exec_lo, s23
	s_and_saveexec_b32 s22, s7
	s_cbranch_execnz .LBB6_3254
	s_branch .LBB6_3255
.LBB6_4181:                             ;   in Loop: Header=BB6_3059 Depth=2
	s_mov_b32 s7, -1
	s_mov_b32 s24, exec_lo
                                        ; implicit-def: $sgpr22
	v_cmpx_eq_u16_e64 0x80, v160
; %bb.4182:                             ;   in Loop: Header=BB6_3059 Depth=2
	s_mov_b32 s22, 0x7f800001
	s_xor_b32 s7, exec_lo, -1
; %bb.4183:                             ;   in Loop: Header=BB6_3059 Depth=2
	s_or_b32 exec_lo, exec_lo, s24
	s_delay_alu instid0(SALU_CYCLE_1)
	s_and_b32 s7, s7, exec_lo
                                        ; implicit-def: $vgpr160
	s_or_saveexec_b32 s23, s23
	v_mov_b32_e32 v151, s22
	s_xor_b32 exec_lo, exec_lo, s23
	s_cbranch_execz .LBB6_3257
.LBB6_4184:                             ;   in Loop: Header=BB6_3059 Depth=2
	v_cmp_ne_u16_e64 vcc_lo, 0, v160
	v_mov_b32_e32 v151, 0
	s_and_not1_b32 s7, s7, exec_lo
	s_delay_alu instid0(VALU_DEP_2) | instskip(NEXT) | instid1(SALU_CYCLE_1)
	s_and_b32 s22, vcc_lo, exec_lo
	s_or_b32 s7, s7, s22
	s_or_b32 exec_lo, exec_lo, s23
	s_and_saveexec_b32 s22, s7
	s_cbranch_execnz .LBB6_3258
	s_branch .LBB6_3259
.LBB6_4185:                             ;   in Loop: Header=BB6_3059 Depth=2
	s_mov_b32 s7, -1
	s_mov_b32 s24, exec_lo
                                        ; implicit-def: $sgpr22
	v_cmpx_eq_u16_e64 0x80, v160
; %bb.4186:                             ;   in Loop: Header=BB6_3059 Depth=2
	s_mov_b32 s22, 0x7f800001
	s_xor_b32 s7, exec_lo, -1
; %bb.4187:                             ;   in Loop: Header=BB6_3059 Depth=2
	s_or_b32 exec_lo, exec_lo, s24
	s_delay_alu instid0(SALU_CYCLE_1)
	s_and_b32 s7, s7, exec_lo
	s_or_saveexec_b32 s23, s23
	v_mov_b32_e32 v151, s22
	s_xor_b32 exec_lo, exec_lo, s23
	s_cbranch_execz .LBB6_3269
.LBB6_4188:                             ;   in Loop: Header=BB6_3059 Depth=2
	v_cmp_ne_u16_e64 vcc_lo, 0, v160
	v_mov_b32_e32 v151, 0
	s_and_not1_b32 s7, s7, exec_lo
	s_delay_alu instid0(VALU_DEP_2) | instskip(NEXT) | instid1(SALU_CYCLE_1)
	s_and_b32 s22, vcc_lo, exec_lo
	s_or_b32 s7, s7, s22
	s_or_b32 exec_lo, exec_lo, s23
	s_and_saveexec_b32 s22, s7
	s_cbranch_execnz .LBB6_3270
	s_branch .LBB6_3271
.LBB6_4189:                             ;   in Loop: Header=BB6_3059 Depth=2
	s_mov_b32 s7, -1
	s_mov_b32 s24, exec_lo
                                        ; implicit-def: $sgpr22
	v_cmpx_eq_u16_e64 0x80, v160
; %bb.4190:                             ;   in Loop: Header=BB6_3059 Depth=2
	s_mov_b32 s22, 0x7f800001
	s_xor_b32 s7, exec_lo, -1
; %bb.4191:                             ;   in Loop: Header=BB6_3059 Depth=2
	s_or_b32 exec_lo, exec_lo, s24
	s_delay_alu instid0(SALU_CYCLE_1)
	s_and_b32 s7, s7, exec_lo
	s_or_saveexec_b32 s23, s23
	v_mov_b32_e32 v161, s22
	s_xor_b32 exec_lo, exec_lo, s23
	s_cbranch_execz .LBB6_3273
.LBB6_4192:                             ;   in Loop: Header=BB6_3059 Depth=2
	v_cmp_ne_u16_e64 vcc_lo, 0, v160
	v_mov_b32_e32 v161, 0
	s_and_not1_b32 s7, s7, exec_lo
	s_delay_alu instid0(VALU_DEP_2) | instskip(NEXT) | instid1(SALU_CYCLE_1)
	s_and_b32 s22, vcc_lo, exec_lo
	s_or_b32 s7, s7, s22
	s_or_b32 exec_lo, exec_lo, s23
	s_and_saveexec_b32 s22, s7
	s_cbranch_execnz .LBB6_3274
	s_branch .LBB6_3275
.LBB6_4193:                             ;   in Loop: Header=BB6_3059 Depth=2
	s_mov_b32 s7, -1
	s_mov_b32 s24, exec_lo
                                        ; implicit-def: $sgpr22
	v_cmpx_eq_u16_e64 0x80, v162
; %bb.4194:                             ;   in Loop: Header=BB6_3059 Depth=2
	s_mov_b32 s22, 0x7f800001
	s_xor_b32 s7, exec_lo, -1
; %bb.4195:                             ;   in Loop: Header=BB6_3059 Depth=2
	s_or_b32 exec_lo, exec_lo, s24
	s_delay_alu instid0(SALU_CYCLE_1)
	s_and_b32 s7, s7, exec_lo
                                        ; implicit-def: $vgpr162
	s_or_saveexec_b32 s23, s23
	v_mov_b32_e32 v160, s22
	s_xor_b32 exec_lo, exec_lo, s23
	s_cbranch_execz .LBB6_3285
.LBB6_4196:                             ;   in Loop: Header=BB6_3059 Depth=2
	v_cmp_ne_u16_e64 vcc_lo, 0, v162
	v_mov_b32_e32 v160, 0
	s_and_not1_b32 s7, s7, exec_lo
	s_delay_alu instid0(VALU_DEP_2) | instskip(NEXT) | instid1(SALU_CYCLE_1)
	s_and_b32 s22, vcc_lo, exec_lo
	s_or_b32 s7, s7, s22
	s_or_b32 exec_lo, exec_lo, s23
	s_and_saveexec_b32 s22, s7
	s_cbranch_execnz .LBB6_3286
	s_branch .LBB6_3287
.LBB6_4197:                             ;   in Loop: Header=BB6_3059 Depth=2
	s_mov_b32 s7, -1
	s_mov_b32 s24, exec_lo
                                        ; implicit-def: $sgpr22
	v_cmpx_eq_u16_e64 0x80, v163
; %bb.4198:                             ;   in Loop: Header=BB6_3059 Depth=2
	s_mov_b32 s22, 0x7f800001
	s_xor_b32 s7, exec_lo, -1
; %bb.4199:                             ;   in Loop: Header=BB6_3059 Depth=2
	s_or_b32 exec_lo, exec_lo, s24
	s_delay_alu instid0(SALU_CYCLE_1)
	s_and_b32 s7, s7, exec_lo
                                        ; implicit-def: $vgpr163
	s_or_saveexec_b32 s23, s23
	v_mov_b32_e32 v162, s22
	s_xor_b32 exec_lo, exec_lo, s23
	s_cbranch_execz .LBB6_3289
.LBB6_4200:                             ;   in Loop: Header=BB6_3059 Depth=2
	v_cmp_ne_u16_e64 vcc_lo, 0, v163
	v_mov_b32_e32 v162, 0
	s_and_not1_b32 s7, s7, exec_lo
	s_delay_alu instid0(VALU_DEP_2) | instskip(NEXT) | instid1(SALU_CYCLE_1)
	s_and_b32 s22, vcc_lo, exec_lo
	s_or_b32 s7, s7, s22
	s_or_b32 exec_lo, exec_lo, s23
	s_and_saveexec_b32 s22, s7
	s_cbranch_execnz .LBB6_3290
	s_branch .LBB6_3291
.LBB6_4201:                             ;   in Loop: Header=BB6_3059 Depth=2
	s_mov_b32 s7, -1
	s_mov_b32 s24, exec_lo
                                        ; implicit-def: $sgpr22
	v_cmpx_eq_u16_e64 0x80, v162
; %bb.4202:                             ;   in Loop: Header=BB6_3059 Depth=2
	s_mov_b32 s22, 0x7f800001
	s_xor_b32 s7, exec_lo, -1
; %bb.4203:                             ;   in Loop: Header=BB6_3059 Depth=2
	s_or_b32 exec_lo, exec_lo, s24
	s_delay_alu instid0(SALU_CYCLE_1)
	s_and_b32 s7, s7, exec_lo
	s_or_saveexec_b32 s23, s23
	v_mov_b32_e32 v161, s22
	s_xor_b32 exec_lo, exec_lo, s23
	s_cbranch_execz .LBB6_3301
.LBB6_4204:                             ;   in Loop: Header=BB6_3059 Depth=2
	v_cmp_ne_u16_e64 vcc_lo, 0, v162
	v_mov_b32_e32 v161, 0
	s_and_not1_b32 s7, s7, exec_lo
	s_delay_alu instid0(VALU_DEP_2) | instskip(NEXT) | instid1(SALU_CYCLE_1)
	s_and_b32 s22, vcc_lo, exec_lo
	s_or_b32 s7, s7, s22
	s_or_b32 exec_lo, exec_lo, s23
	s_and_saveexec_b32 s22, s7
	s_cbranch_execnz .LBB6_3302
	s_branch .LBB6_3303
.LBB6_4205:                             ;   in Loop: Header=BB6_3059 Depth=2
	s_mov_b32 s7, -1
	s_mov_b32 s24, exec_lo
                                        ; implicit-def: $sgpr22
	v_cmpx_eq_u16_e32 0x80, v51
; %bb.4206:                             ;   in Loop: Header=BB6_3059 Depth=2
	s_mov_b32 s22, 0x7f800001
	s_xor_b32 s7, exec_lo, -1
; %bb.4207:                             ;   in Loop: Header=BB6_3059 Depth=2
	s_or_b32 exec_lo, exec_lo, s24
	s_delay_alu instid0(SALU_CYCLE_1)
	s_and_b32 s7, s7, exec_lo
	s_or_saveexec_b32 s23, s23
	v_mov_b32_e32 v162, s22
	s_xor_b32 exec_lo, exec_lo, s23
	s_cbranch_execz .LBB6_3305
.LBB6_4208:                             ;   in Loop: Header=BB6_3059 Depth=2
	v_cmp_ne_u16_e32 vcc_lo, 0, v51
	v_mov_b32_e32 v162, 0
	s_and_not1_b32 s7, s7, exec_lo
	s_and_b32 s22, vcc_lo, exec_lo
	s_delay_alu instid0(SALU_CYCLE_1)
	s_or_b32 s7, s7, s22
	s_or_b32 exec_lo, exec_lo, s23
	s_and_saveexec_b32 s22, s7
	s_cbranch_execnz .LBB6_3306
	s_branch .LBB6_3307
.LBB6_4209:                             ;   in Loop: Header=BB6_3059 Depth=2
	s_mov_b32 s7, -1
	s_mov_b32 s24, exec_lo
                                        ; implicit-def: $sgpr22
	v_cmpx_eq_u16_e64 0x80, v161
; %bb.4210:                             ;   in Loop: Header=BB6_3059 Depth=2
	s_mov_b32 s22, 0x7f800001
	s_xor_b32 s7, exec_lo, -1
; %bb.4211:                             ;   in Loop: Header=BB6_3059 Depth=2
	s_or_b32 exec_lo, exec_lo, s24
	s_delay_alu instid0(SALU_CYCLE_1)
	s_and_b32 s7, s7, exec_lo
                                        ; implicit-def: $vgpr161
	s_or_saveexec_b32 s23, s23
	v_mov_b32_e32 v51, s22
	s_xor_b32 exec_lo, exec_lo, s23
	s_cbranch_execz .LBB6_3317
.LBB6_4212:                             ;   in Loop: Header=BB6_3059 Depth=2
	v_cmp_ne_u16_e64 vcc_lo, 0, v161
	v_mov_b32_e32 v51, 0
	s_and_not1_b32 s7, s7, exec_lo
	s_delay_alu instid0(VALU_DEP_2) | instskip(NEXT) | instid1(SALU_CYCLE_1)
	s_and_b32 s22, vcc_lo, exec_lo
	s_or_b32 s7, s7, s22
	s_or_b32 exec_lo, exec_lo, s23
	s_and_saveexec_b32 s22, s7
	s_cbranch_execnz .LBB6_3318
	s_branch .LBB6_3319
.LBB6_4213:                             ;   in Loop: Header=BB6_3059 Depth=2
	s_mov_b32 s7, -1
	s_mov_b32 s24, exec_lo
                                        ; implicit-def: $sgpr22
	v_cmpx_eq_u16_e64 0x80, v162
; %bb.4214:                             ;   in Loop: Header=BB6_3059 Depth=2
	s_mov_b32 s22, 0x7f800001
	s_xor_b32 s7, exec_lo, -1
; %bb.4215:                             ;   in Loop: Header=BB6_3059 Depth=2
	s_or_b32 exec_lo, exec_lo, s24
	s_delay_alu instid0(SALU_CYCLE_1)
	s_and_b32 s7, s7, exec_lo
                                        ; implicit-def: $vgpr162
	s_or_saveexec_b32 s23, s23
	v_mov_b32_e32 v161, s22
	s_xor_b32 exec_lo, exec_lo, s23
	s_cbranch_execz .LBB6_3321
.LBB6_4216:                             ;   in Loop: Header=BB6_3059 Depth=2
	v_cmp_ne_u16_e64 vcc_lo, 0, v162
	v_mov_b32_e32 v161, 0
	s_and_not1_b32 s7, s7, exec_lo
	s_delay_alu instid0(VALU_DEP_2) | instskip(NEXT) | instid1(SALU_CYCLE_1)
	s_and_b32 s22, vcc_lo, exec_lo
	s_or_b32 s7, s7, s22
	s_or_b32 exec_lo, exec_lo, s23
	s_and_saveexec_b32 s22, s7
	s_cbranch_execnz .LBB6_3322
	s_branch .LBB6_3323
.LBB6_4217:                             ;   in Loop: Header=BB6_3059 Depth=2
	s_mov_b32 s7, -1
	s_mov_b32 s24, exec_lo
                                        ; implicit-def: $sgpr22
	v_cmpx_eq_u16_e64 0x80, v162
; %bb.4218:                             ;   in Loop: Header=BB6_3059 Depth=2
	s_mov_b32 s22, 0x7f800001
	s_xor_b32 s7, exec_lo, -1
; %bb.4219:                             ;   in Loop: Header=BB6_3059 Depth=2
	s_or_b32 exec_lo, exec_lo, s24
	s_delay_alu instid0(SALU_CYCLE_1)
	s_and_b32 s7, s7, exec_lo
	s_or_saveexec_b32 s23, s23
	v_mov_b32_e32 v161, s22
	s_xor_b32 exec_lo, exec_lo, s23
	s_cbranch_execz .LBB6_3333
.LBB6_4220:                             ;   in Loop: Header=BB6_3059 Depth=2
	v_cmp_ne_u16_e64 vcc_lo, 0, v162
	v_mov_b32_e32 v161, 0
	s_and_not1_b32 s7, s7, exec_lo
	s_delay_alu instid0(VALU_DEP_2) | instskip(NEXT) | instid1(SALU_CYCLE_1)
	s_and_b32 s22, vcc_lo, exec_lo
	s_or_b32 s7, s7, s22
	s_or_b32 exec_lo, exec_lo, s23
	s_and_saveexec_b32 s22, s7
	s_cbranch_execnz .LBB6_3334
	s_branch .LBB6_3335
.LBB6_4221:                             ;   in Loop: Header=BB6_3059 Depth=2
	s_mov_b32 s7, -1
	s_mov_b32 s24, exec_lo
                                        ; implicit-def: $sgpr22
	v_cmpx_eq_u16_e64 0x80, v162
; %bb.4222:                             ;   in Loop: Header=BB6_3059 Depth=2
	s_mov_b32 s22, 0x7f800001
	s_xor_b32 s7, exec_lo, -1
; %bb.4223:                             ;   in Loop: Header=BB6_3059 Depth=2
	s_or_b32 exec_lo, exec_lo, s24
	s_delay_alu instid0(SALU_CYCLE_1)
	s_and_b32 s7, s7, exec_lo
	s_or_saveexec_b32 s23, s23
	v_mov_b32_e32 v163, s22
	s_xor_b32 exec_lo, exec_lo, s23
	s_cbranch_execz .LBB6_3337
.LBB6_4224:                             ;   in Loop: Header=BB6_3059 Depth=2
	v_cmp_ne_u16_e64 vcc_lo, 0, v162
	v_mov_b32_e32 v163, 0
	s_and_not1_b32 s7, s7, exec_lo
	s_delay_alu instid0(VALU_DEP_2) | instskip(NEXT) | instid1(SALU_CYCLE_1)
	s_and_b32 s22, vcc_lo, exec_lo
	s_or_b32 s7, s7, s22
	s_or_b32 exec_lo, exec_lo, s23
	s_and_saveexec_b32 s22, s7
	s_cbranch_execnz .LBB6_3338
	s_branch .LBB6_3339
.LBB6_4225:                             ;   in Loop: Header=BB6_3059 Depth=2
	s_mov_b32 s7, -1
	s_mov_b32 s24, exec_lo
                                        ; implicit-def: $sgpr22
	v_cmpx_eq_u16_e64 0x80, v164
; %bb.4226:                             ;   in Loop: Header=BB6_3059 Depth=2
	s_mov_b32 s22, 0x7f800001
	s_xor_b32 s7, exec_lo, -1
; %bb.4227:                             ;   in Loop: Header=BB6_3059 Depth=2
	s_or_b32 exec_lo, exec_lo, s24
	s_delay_alu instid0(SALU_CYCLE_1)
	s_and_b32 s7, s7, exec_lo
                                        ; implicit-def: $vgpr164
	s_or_saveexec_b32 s23, s23
	v_mov_b32_e32 v162, s22
	s_xor_b32 exec_lo, exec_lo, s23
	s_cbranch_execz .LBB6_3349
.LBB6_4228:                             ;   in Loop: Header=BB6_3059 Depth=2
	v_cmp_ne_u16_e64 vcc_lo, 0, v164
	v_mov_b32_e32 v162, 0
	s_and_not1_b32 s7, s7, exec_lo
	s_delay_alu instid0(VALU_DEP_2) | instskip(NEXT) | instid1(SALU_CYCLE_1)
	s_and_b32 s22, vcc_lo, exec_lo
	s_or_b32 s7, s7, s22
	s_or_b32 exec_lo, exec_lo, s23
	s_and_saveexec_b32 s22, s7
	s_cbranch_execnz .LBB6_3350
	s_branch .LBB6_3351
.LBB6_4229:                             ;   in Loop: Header=BB6_3059 Depth=2
	s_mov_b32 s7, -1
	s_mov_b32 s24, exec_lo
                                        ; implicit-def: $sgpr22
	v_cmpx_eq_u16_e64 0x80, v165
; %bb.4230:                             ;   in Loop: Header=BB6_3059 Depth=2
	s_mov_b32 s22, 0x7f800001
	s_xor_b32 s7, exec_lo, -1
; %bb.4231:                             ;   in Loop: Header=BB6_3059 Depth=2
	s_or_b32 exec_lo, exec_lo, s24
	s_delay_alu instid0(SALU_CYCLE_1)
	s_and_b32 s7, s7, exec_lo
                                        ; implicit-def: $vgpr165
	s_or_saveexec_b32 s23, s23
	v_mov_b32_e32 v164, s22
	s_xor_b32 exec_lo, exec_lo, s23
	s_cbranch_execz .LBB6_3353
.LBB6_4232:                             ;   in Loop: Header=BB6_3059 Depth=2
	v_cmp_ne_u16_e64 vcc_lo, 0, v165
	v_mov_b32_e32 v164, 0
	s_and_not1_b32 s7, s7, exec_lo
	s_delay_alu instid0(VALU_DEP_2) | instskip(NEXT) | instid1(SALU_CYCLE_1)
	s_and_b32 s22, vcc_lo, exec_lo
	s_or_b32 s7, s7, s22
	s_or_b32 exec_lo, exec_lo, s23
	s_and_saveexec_b32 s22, s7
	s_cbranch_execnz .LBB6_3354
	s_branch .LBB6_3355
.LBB6_4233:                             ;   in Loop: Header=BB6_3059 Depth=2
	s_mov_b32 s7, -1
	s_mov_b32 s24, exec_lo
                                        ; implicit-def: $sgpr22
	v_cmpx_eq_u16_e64 0x80, v164
; %bb.4234:                             ;   in Loop: Header=BB6_3059 Depth=2
	s_mov_b32 s22, 0x7f800001
	s_xor_b32 s7, exec_lo, -1
; %bb.4235:                             ;   in Loop: Header=BB6_3059 Depth=2
	s_or_b32 exec_lo, exec_lo, s24
	s_delay_alu instid0(SALU_CYCLE_1)
	s_and_b32 s7, s7, exec_lo
	s_or_saveexec_b32 s23, s23
	v_mov_b32_e32 v163, s22
	s_xor_b32 exec_lo, exec_lo, s23
	s_cbranch_execz .LBB6_3365
.LBB6_4236:                             ;   in Loop: Header=BB6_3059 Depth=2
	v_cmp_ne_u16_e64 vcc_lo, 0, v164
	v_mov_b32_e32 v163, 0
	s_and_not1_b32 s7, s7, exec_lo
	s_delay_alu instid0(VALU_DEP_2) | instskip(NEXT) | instid1(SALU_CYCLE_1)
	s_and_b32 s22, vcc_lo, exec_lo
	s_or_b32 s7, s7, s22
	s_or_b32 exec_lo, exec_lo, s23
	s_and_saveexec_b32 s22, s7
	s_cbranch_execnz .LBB6_3366
	s_branch .LBB6_3367
.LBB6_4237:                             ;   in Loop: Header=BB6_3059 Depth=2
	s_mov_b32 s7, -1
	s_mov_b32 s24, exec_lo
                                        ; implicit-def: $sgpr22
	v_cmpx_eq_u16_e32 0x80, v32
; %bb.4238:                             ;   in Loop: Header=BB6_3059 Depth=2
	s_mov_b32 s22, 0x7f800001
	s_xor_b32 s7, exec_lo, -1
; %bb.4239:                             ;   in Loop: Header=BB6_3059 Depth=2
	s_or_b32 exec_lo, exec_lo, s24
	s_delay_alu instid0(SALU_CYCLE_1)
	s_and_b32 s7, s7, exec_lo
	s_or_saveexec_b32 s23, s23
	v_mov_b32_e32 v164, s22
	s_xor_b32 exec_lo, exec_lo, s23
	s_cbranch_execz .LBB6_3369
.LBB6_4240:                             ;   in Loop: Header=BB6_3059 Depth=2
	v_cmp_ne_u16_e32 vcc_lo, 0, v32
	v_mov_b32_e32 v164, 0
	s_and_not1_b32 s7, s7, exec_lo
	s_and_b32 s22, vcc_lo, exec_lo
	s_delay_alu instid0(SALU_CYCLE_1)
	s_or_b32 s7, s7, s22
	s_or_b32 exec_lo, exec_lo, s23
	s_and_saveexec_b32 s22, s7
	s_cbranch_execnz .LBB6_3370
	s_branch .LBB6_3371
.LBB6_4241:                             ;   in Loop: Header=BB6_3059 Depth=2
	s_mov_b32 s7, -1
	s_mov_b32 s24, exec_lo
                                        ; implicit-def: $sgpr22
	v_cmpx_eq_u16_e64 0x80, v163
; %bb.4242:                             ;   in Loop: Header=BB6_3059 Depth=2
	s_mov_b32 s22, 0x7f800001
	s_xor_b32 s7, exec_lo, -1
; %bb.4243:                             ;   in Loop: Header=BB6_3059 Depth=2
	s_or_b32 exec_lo, exec_lo, s24
	s_delay_alu instid0(SALU_CYCLE_1)
	s_and_b32 s7, s7, exec_lo
                                        ; implicit-def: $vgpr163
	s_or_saveexec_b32 s23, s23
	v_mov_b32_e32 v32, s22
	s_xor_b32 exec_lo, exec_lo, s23
	s_cbranch_execz .LBB6_3381
.LBB6_4244:                             ;   in Loop: Header=BB6_3059 Depth=2
	v_cmp_ne_u16_e64 vcc_lo, 0, v163
	v_mov_b32_e32 v32, 0
	s_and_not1_b32 s7, s7, exec_lo
	s_delay_alu instid0(VALU_DEP_2) | instskip(NEXT) | instid1(SALU_CYCLE_1)
	s_and_b32 s22, vcc_lo, exec_lo
	s_or_b32 s7, s7, s22
	s_or_b32 exec_lo, exec_lo, s23
	s_and_saveexec_b32 s22, s7
	s_cbranch_execnz .LBB6_3382
	s_branch .LBB6_3383
.LBB6_4245:                             ;   in Loop: Header=BB6_3059 Depth=2
	s_mov_b32 s7, -1
	s_mov_b32 s24, exec_lo
                                        ; implicit-def: $sgpr22
	v_cmpx_eq_u16_e64 0x80, v164
; %bb.4246:                             ;   in Loop: Header=BB6_3059 Depth=2
	s_mov_b32 s22, 0x7f800001
	s_xor_b32 s7, exec_lo, -1
; %bb.4247:                             ;   in Loop: Header=BB6_3059 Depth=2
	s_or_b32 exec_lo, exec_lo, s24
	s_delay_alu instid0(SALU_CYCLE_1)
	s_and_b32 s7, s7, exec_lo
                                        ; implicit-def: $vgpr164
	s_or_saveexec_b32 s23, s23
	v_mov_b32_e32 v163, s22
	s_xor_b32 exec_lo, exec_lo, s23
	s_cbranch_execz .LBB6_3385
.LBB6_4248:                             ;   in Loop: Header=BB6_3059 Depth=2
	v_cmp_ne_u16_e64 vcc_lo, 0, v164
	v_mov_b32_e32 v163, 0
	s_and_not1_b32 s7, s7, exec_lo
	s_delay_alu instid0(VALU_DEP_2) | instskip(NEXT) | instid1(SALU_CYCLE_1)
	s_and_b32 s22, vcc_lo, exec_lo
	s_or_b32 s7, s7, s22
	s_or_b32 exec_lo, exec_lo, s23
	s_and_saveexec_b32 s22, s7
	s_cbranch_execnz .LBB6_3386
	s_branch .LBB6_3387
.LBB6_4249:                             ;   in Loop: Header=BB6_3059 Depth=2
	s_mov_b32 s7, -1
	s_mov_b32 s24, exec_lo
                                        ; implicit-def: $sgpr22
	v_cmpx_eq_u16_e64 0x80, v164
; %bb.4250:                             ;   in Loop: Header=BB6_3059 Depth=2
	s_mov_b32 s22, 0x7f800001
	s_xor_b32 s7, exec_lo, -1
; %bb.4251:                             ;   in Loop: Header=BB6_3059 Depth=2
	s_or_b32 exec_lo, exec_lo, s24
	s_delay_alu instid0(SALU_CYCLE_1)
	s_and_b32 s7, s7, exec_lo
	s_or_saveexec_b32 s23, s23
	v_mov_b32_e32 v163, s22
	s_xor_b32 exec_lo, exec_lo, s23
	s_cbranch_execz .LBB6_3397
.LBB6_4252:                             ;   in Loop: Header=BB6_3059 Depth=2
	v_cmp_ne_u16_e64 vcc_lo, 0, v164
	v_mov_b32_e32 v163, 0
	s_and_not1_b32 s7, s7, exec_lo
	s_delay_alu instid0(VALU_DEP_2) | instskip(NEXT) | instid1(SALU_CYCLE_1)
	s_and_b32 s22, vcc_lo, exec_lo
	s_or_b32 s7, s7, s22
	s_or_b32 exec_lo, exec_lo, s23
	s_and_saveexec_b32 s22, s7
	s_cbranch_execnz .LBB6_3398
	s_branch .LBB6_3399
.LBB6_4253:                             ;   in Loop: Header=BB6_3059 Depth=2
	s_mov_b32 s7, -1
	s_mov_b32 s24, exec_lo
                                        ; implicit-def: $sgpr22
	v_cmpx_eq_u16_e64 0x80, v164
; %bb.4254:                             ;   in Loop: Header=BB6_3059 Depth=2
	s_mov_b32 s22, 0x7f800001
	s_xor_b32 s7, exec_lo, -1
; %bb.4255:                             ;   in Loop: Header=BB6_3059 Depth=2
	s_or_b32 exec_lo, exec_lo, s24
	s_delay_alu instid0(SALU_CYCLE_1)
	s_and_b32 s7, s7, exec_lo
	s_or_saveexec_b32 s23, s23
	v_mov_b32_e32 v165, s22
	s_xor_b32 exec_lo, exec_lo, s23
	s_cbranch_execz .LBB6_3401
.LBB6_4256:                             ;   in Loop: Header=BB6_3059 Depth=2
	v_cmp_ne_u16_e64 vcc_lo, 0, v164
	v_mov_b32_e32 v165, 0
	s_and_not1_b32 s7, s7, exec_lo
	s_delay_alu instid0(VALU_DEP_2) | instskip(NEXT) | instid1(SALU_CYCLE_1)
	s_and_b32 s22, vcc_lo, exec_lo
	s_or_b32 s7, s7, s22
	s_or_b32 exec_lo, exec_lo, s23
	s_and_saveexec_b32 s22, s7
	s_cbranch_execnz .LBB6_3402
	s_branch .LBB6_3403
.LBB6_4257:                             ;   in Loop: Header=BB6_3059 Depth=2
	s_mov_b32 s7, -1
	s_mov_b32 s24, exec_lo
                                        ; implicit-def: $sgpr22
	v_cmpx_eq_u16_e64 0x80, v166
; %bb.4258:                             ;   in Loop: Header=BB6_3059 Depth=2
	s_mov_b32 s22, 0x7f800001
	s_xor_b32 s7, exec_lo, -1
; %bb.4259:                             ;   in Loop: Header=BB6_3059 Depth=2
	s_or_b32 exec_lo, exec_lo, s24
	s_delay_alu instid0(SALU_CYCLE_1)
	s_and_b32 s7, s7, exec_lo
                                        ; implicit-def: $vgpr166
	s_or_saveexec_b32 s23, s23
	v_mov_b32_e32 v164, s22
	s_xor_b32 exec_lo, exec_lo, s23
	s_cbranch_execz .LBB6_3413
.LBB6_4260:                             ;   in Loop: Header=BB6_3059 Depth=2
	v_cmp_ne_u16_e64 vcc_lo, 0, v166
	v_mov_b32_e32 v164, 0
	s_and_not1_b32 s7, s7, exec_lo
	s_delay_alu instid0(VALU_DEP_2) | instskip(NEXT) | instid1(SALU_CYCLE_1)
	s_and_b32 s22, vcc_lo, exec_lo
	s_or_b32 s7, s7, s22
	s_or_b32 exec_lo, exec_lo, s23
	s_and_saveexec_b32 s22, s7
	s_cbranch_execnz .LBB6_3414
	s_branch .LBB6_3415
.LBB6_4261:                             ;   in Loop: Header=BB6_3059 Depth=2
	s_mov_b32 s7, -1
	s_mov_b32 s24, exec_lo
                                        ; implicit-def: $sgpr22
	v_cmpx_eq_u16_e64 0x80, v167
; %bb.4262:                             ;   in Loop: Header=BB6_3059 Depth=2
	s_mov_b32 s22, 0x7f800001
	s_xor_b32 s7, exec_lo, -1
; %bb.4263:                             ;   in Loop: Header=BB6_3059 Depth=2
	s_or_b32 exec_lo, exec_lo, s24
	s_delay_alu instid0(SALU_CYCLE_1)
	s_and_b32 s7, s7, exec_lo
                                        ; implicit-def: $vgpr167
	s_or_saveexec_b32 s23, s23
	v_mov_b32_e32 v166, s22
	s_xor_b32 exec_lo, exec_lo, s23
	s_cbranch_execz .LBB6_3417
.LBB6_4264:                             ;   in Loop: Header=BB6_3059 Depth=2
	v_cmp_ne_u16_e64 vcc_lo, 0, v167
	v_mov_b32_e32 v166, 0
	s_and_not1_b32 s7, s7, exec_lo
	s_delay_alu instid0(VALU_DEP_2) | instskip(NEXT) | instid1(SALU_CYCLE_1)
	s_and_b32 s22, vcc_lo, exec_lo
	s_or_b32 s7, s7, s22
	s_or_b32 exec_lo, exec_lo, s23
	s_and_saveexec_b32 s22, s7
	s_cbranch_execnz .LBB6_3418
	s_branch .LBB6_3419
.LBB6_4265:                             ;   in Loop: Header=BB6_3059 Depth=2
	s_mov_b32 s7, -1
	s_mov_b32 s24, exec_lo
                                        ; implicit-def: $sgpr22
	v_cmpx_eq_u16_e64 0x80, v166
; %bb.4266:                             ;   in Loop: Header=BB6_3059 Depth=2
	s_mov_b32 s22, 0x7f800001
	s_xor_b32 s7, exec_lo, -1
; %bb.4267:                             ;   in Loop: Header=BB6_3059 Depth=2
	s_or_b32 exec_lo, exec_lo, s24
	s_delay_alu instid0(SALU_CYCLE_1)
	s_and_b32 s7, s7, exec_lo
	s_or_saveexec_b32 s23, s23
	v_mov_b32_e32 v165, s22
	s_xor_b32 exec_lo, exec_lo, s23
	s_cbranch_execz .LBB6_3429
.LBB6_4268:                             ;   in Loop: Header=BB6_3059 Depth=2
	v_cmp_ne_u16_e64 vcc_lo, 0, v166
	v_mov_b32_e32 v165, 0
	s_and_not1_b32 s7, s7, exec_lo
	s_delay_alu instid0(VALU_DEP_2) | instskip(NEXT) | instid1(SALU_CYCLE_1)
	s_and_b32 s22, vcc_lo, exec_lo
	s_or_b32 s7, s7, s22
	s_or_b32 exec_lo, exec_lo, s23
	s_and_saveexec_b32 s22, s7
	s_cbranch_execnz .LBB6_3430
	s_branch .LBB6_3431
.LBB6_4269:                             ;   in Loop: Header=BB6_3059 Depth=2
	s_mov_b32 s7, -1
	s_mov_b32 s24, exec_lo
                                        ; implicit-def: $sgpr22
	v_cmpx_eq_u16_e32 0x80, v33
; %bb.4270:                             ;   in Loop: Header=BB6_3059 Depth=2
	s_mov_b32 s22, 0x7f800001
	s_xor_b32 s7, exec_lo, -1
; %bb.4271:                             ;   in Loop: Header=BB6_3059 Depth=2
	s_or_b32 exec_lo, exec_lo, s24
	s_delay_alu instid0(SALU_CYCLE_1)
	s_and_b32 s7, s7, exec_lo
	s_or_saveexec_b32 s23, s23
	v_mov_b32_e32 v166, s22
	s_xor_b32 exec_lo, exec_lo, s23
	s_cbranch_execz .LBB6_3433
.LBB6_4272:                             ;   in Loop: Header=BB6_3059 Depth=2
	v_cmp_ne_u16_e32 vcc_lo, 0, v33
	v_mov_b32_e32 v166, 0
	s_and_not1_b32 s7, s7, exec_lo
	s_and_b32 s22, vcc_lo, exec_lo
	s_delay_alu instid0(SALU_CYCLE_1)
	s_or_b32 s7, s7, s22
	s_or_b32 exec_lo, exec_lo, s23
	s_and_saveexec_b32 s22, s7
	s_cbranch_execnz .LBB6_3434
	s_branch .LBB6_3435
.LBB6_4273:                             ;   in Loop: Header=BB6_3059 Depth=2
	s_mov_b32 s7, -1
	s_mov_b32 s24, exec_lo
                                        ; implicit-def: $sgpr22
	v_cmpx_eq_u16_e64 0x80, v165
; %bb.4274:                             ;   in Loop: Header=BB6_3059 Depth=2
	s_mov_b32 s22, 0x7f800001
	s_xor_b32 s7, exec_lo, -1
; %bb.4275:                             ;   in Loop: Header=BB6_3059 Depth=2
	s_or_b32 exec_lo, exec_lo, s24
	s_delay_alu instid0(SALU_CYCLE_1)
	s_and_b32 s7, s7, exec_lo
                                        ; implicit-def: $vgpr165
	s_or_saveexec_b32 s23, s23
	v_mov_b32_e32 v33, s22
	s_xor_b32 exec_lo, exec_lo, s23
	s_cbranch_execz .LBB6_3445
.LBB6_4276:                             ;   in Loop: Header=BB6_3059 Depth=2
	v_cmp_ne_u16_e64 vcc_lo, 0, v165
	v_mov_b32_e32 v33, 0
	s_and_not1_b32 s7, s7, exec_lo
	s_delay_alu instid0(VALU_DEP_2) | instskip(NEXT) | instid1(SALU_CYCLE_1)
	s_and_b32 s22, vcc_lo, exec_lo
	s_or_b32 s7, s7, s22
	s_or_b32 exec_lo, exec_lo, s23
	s_and_saveexec_b32 s22, s7
	s_cbranch_execnz .LBB6_3446
	s_branch .LBB6_3447
.LBB6_4277:                             ;   in Loop: Header=BB6_3059 Depth=2
	s_mov_b32 s7, -1
	s_mov_b32 s24, exec_lo
                                        ; implicit-def: $sgpr22
	v_cmpx_eq_u16_e64 0x80, v166
; %bb.4278:                             ;   in Loop: Header=BB6_3059 Depth=2
	s_mov_b32 s22, 0x7f800001
	s_xor_b32 s7, exec_lo, -1
; %bb.4279:                             ;   in Loop: Header=BB6_3059 Depth=2
	s_or_b32 exec_lo, exec_lo, s24
	s_delay_alu instid0(SALU_CYCLE_1)
	s_and_b32 s7, s7, exec_lo
                                        ; implicit-def: $vgpr166
	s_or_saveexec_b32 s23, s23
	v_mov_b32_e32 v165, s22
	s_xor_b32 exec_lo, exec_lo, s23
	s_cbranch_execz .LBB6_3449
.LBB6_4280:                             ;   in Loop: Header=BB6_3059 Depth=2
	v_cmp_ne_u16_e64 vcc_lo, 0, v166
	v_mov_b32_e32 v165, 0
	s_and_not1_b32 s7, s7, exec_lo
	s_delay_alu instid0(VALU_DEP_2) | instskip(NEXT) | instid1(SALU_CYCLE_1)
	s_and_b32 s22, vcc_lo, exec_lo
	s_or_b32 s7, s7, s22
	s_or_b32 exec_lo, exec_lo, s23
	s_and_saveexec_b32 s22, s7
	s_cbranch_execnz .LBB6_3450
	s_branch .LBB6_3451
.LBB6_4281:                             ;   in Loop: Header=BB6_3059 Depth=2
	s_mov_b32 s7, -1
	s_mov_b32 s24, exec_lo
                                        ; implicit-def: $sgpr22
	v_cmpx_eq_u16_e64 0x80, v166
; %bb.4282:                             ;   in Loop: Header=BB6_3059 Depth=2
	s_mov_b32 s22, 0x7f800001
	s_xor_b32 s7, exec_lo, -1
; %bb.4283:                             ;   in Loop: Header=BB6_3059 Depth=2
	s_or_b32 exec_lo, exec_lo, s24
	s_delay_alu instid0(SALU_CYCLE_1)
	s_and_b32 s7, s7, exec_lo
	s_or_saveexec_b32 s23, s23
	v_mov_b32_e32 v165, s22
	s_xor_b32 exec_lo, exec_lo, s23
	s_cbranch_execz .LBB6_3461
.LBB6_4284:                             ;   in Loop: Header=BB6_3059 Depth=2
	v_cmp_ne_u16_e64 vcc_lo, 0, v166
	v_mov_b32_e32 v165, 0
	s_and_not1_b32 s7, s7, exec_lo
	s_delay_alu instid0(VALU_DEP_2) | instskip(NEXT) | instid1(SALU_CYCLE_1)
	s_and_b32 s22, vcc_lo, exec_lo
	s_or_b32 s7, s7, s22
	s_or_b32 exec_lo, exec_lo, s23
	s_and_saveexec_b32 s22, s7
	s_cbranch_execnz .LBB6_3462
	s_branch .LBB6_3463
.LBB6_4285:                             ;   in Loop: Header=BB6_3059 Depth=2
	s_mov_b32 s7, -1
	s_mov_b32 s24, exec_lo
                                        ; implicit-def: $sgpr22
	v_cmpx_eq_u16_e64 0x80, v166
; %bb.4286:                             ;   in Loop: Header=BB6_3059 Depth=2
	s_mov_b32 s22, 0x7f800001
	s_xor_b32 s7, exec_lo, -1
; %bb.4287:                             ;   in Loop: Header=BB6_3059 Depth=2
	s_or_b32 exec_lo, exec_lo, s24
	s_delay_alu instid0(SALU_CYCLE_1)
	s_and_b32 s7, s7, exec_lo
	s_or_saveexec_b32 s23, s23
	v_mov_b32_e32 v167, s22
	s_xor_b32 exec_lo, exec_lo, s23
	s_cbranch_execz .LBB6_3465
.LBB6_4288:                             ;   in Loop: Header=BB6_3059 Depth=2
	v_cmp_ne_u16_e64 vcc_lo, 0, v166
	v_mov_b32_e32 v167, 0
	s_and_not1_b32 s7, s7, exec_lo
	s_delay_alu instid0(VALU_DEP_2) | instskip(NEXT) | instid1(SALU_CYCLE_1)
	s_and_b32 s22, vcc_lo, exec_lo
	s_or_b32 s7, s7, s22
	s_or_b32 exec_lo, exec_lo, s23
	s_and_saveexec_b32 s22, s7
	s_cbranch_execnz .LBB6_3466
	s_branch .LBB6_3467
.LBB6_4289:                             ;   in Loop: Header=BB6_3059 Depth=2
	s_mov_b32 s7, -1
	s_mov_b32 s24, exec_lo
                                        ; implicit-def: $sgpr22
	v_cmpx_eq_u16_e64 0x80, v176
; %bb.4290:                             ;   in Loop: Header=BB6_3059 Depth=2
	s_mov_b32 s22, 0x7f800001
	s_xor_b32 s7, exec_lo, -1
; %bb.4291:                             ;   in Loop: Header=BB6_3059 Depth=2
	s_or_b32 exec_lo, exec_lo, s24
	s_delay_alu instid0(SALU_CYCLE_1)
	s_and_b32 s7, s7, exec_lo
                                        ; implicit-def: $vgpr176
	s_or_saveexec_b32 s23, s23
	v_mov_b32_e32 v166, s22
	s_xor_b32 exec_lo, exec_lo, s23
	s_cbranch_execz .LBB6_3477
.LBB6_4292:                             ;   in Loop: Header=BB6_3059 Depth=2
	v_cmp_ne_u16_e64 vcc_lo, 0, v176
	v_mov_b32_e32 v166, 0
	s_and_not1_b32 s7, s7, exec_lo
	s_delay_alu instid0(VALU_DEP_2) | instskip(NEXT) | instid1(SALU_CYCLE_1)
	s_and_b32 s22, vcc_lo, exec_lo
	s_or_b32 s7, s7, s22
	s_or_b32 exec_lo, exec_lo, s23
	s_and_saveexec_b32 s22, s7
	s_cbranch_execnz .LBB6_3478
	s_branch .LBB6_3479
.LBB6_4293:                             ;   in Loop: Header=BB6_3059 Depth=2
	s_mov_b32 s7, -1
	s_mov_b32 s24, exec_lo
                                        ; implicit-def: $sgpr22
	v_cmpx_eq_u16_e64 0x80, v177
; %bb.4294:                             ;   in Loop: Header=BB6_3059 Depth=2
	s_mov_b32 s22, 0x7f800001
	s_xor_b32 s7, exec_lo, -1
; %bb.4295:                             ;   in Loop: Header=BB6_3059 Depth=2
	s_or_b32 exec_lo, exec_lo, s24
	s_delay_alu instid0(SALU_CYCLE_1)
	s_and_b32 s7, s7, exec_lo
                                        ; implicit-def: $vgpr177
	s_or_saveexec_b32 s23, s23
	v_mov_b32_e32 v176, s22
	s_xor_b32 exec_lo, exec_lo, s23
	s_cbranch_execz .LBB6_3481
.LBB6_4296:                             ;   in Loop: Header=BB6_3059 Depth=2
	v_cmp_ne_u16_e64 vcc_lo, 0, v177
	v_mov_b32_e32 v176, 0
	s_and_not1_b32 s7, s7, exec_lo
	s_delay_alu instid0(VALU_DEP_2) | instskip(NEXT) | instid1(SALU_CYCLE_1)
	s_and_b32 s22, vcc_lo, exec_lo
	s_or_b32 s7, s7, s22
	s_or_b32 exec_lo, exec_lo, s23
	s_and_saveexec_b32 s22, s7
	s_cbranch_execnz .LBB6_3482
	s_branch .LBB6_3483
.LBB6_4297:                             ;   in Loop: Header=BB6_3059 Depth=2
	s_mov_b32 s7, -1
	s_mov_b32 s24, exec_lo
                                        ; implicit-def: $sgpr22
	v_cmpx_eq_u16_e64 0x80, v176
; %bb.4298:                             ;   in Loop: Header=BB6_3059 Depth=2
	s_mov_b32 s22, 0x7f800001
	s_xor_b32 s7, exec_lo, -1
; %bb.4299:                             ;   in Loop: Header=BB6_3059 Depth=2
	s_or_b32 exec_lo, exec_lo, s24
	s_delay_alu instid0(SALU_CYCLE_1)
	s_and_b32 s7, s7, exec_lo
	s_or_saveexec_b32 s23, s23
	v_mov_b32_e32 v167, s22
	s_xor_b32 exec_lo, exec_lo, s23
	s_cbranch_execz .LBB6_3493
.LBB6_4300:                             ;   in Loop: Header=BB6_3059 Depth=2
	v_cmp_ne_u16_e64 vcc_lo, 0, v176
	v_mov_b32_e32 v167, 0
	s_and_not1_b32 s7, s7, exec_lo
	s_delay_alu instid0(VALU_DEP_2) | instskip(NEXT) | instid1(SALU_CYCLE_1)
	s_and_b32 s22, vcc_lo, exec_lo
	s_or_b32 s7, s7, s22
	s_or_b32 exec_lo, exec_lo, s23
	s_and_saveexec_b32 s22, s7
	s_cbranch_execnz .LBB6_3494
	s_branch .LBB6_3495
.LBB6_4301:                             ;   in Loop: Header=BB6_3059 Depth=2
	s_mov_b32 s7, -1
	s_mov_b32 s24, exec_lo
                                        ; implicit-def: $sgpr22
	v_cmpx_eq_u16_e32 0x80, v34
; %bb.4302:                             ;   in Loop: Header=BB6_3059 Depth=2
	s_mov_b32 s22, 0x7f800001
	s_xor_b32 s7, exec_lo, -1
; %bb.4303:                             ;   in Loop: Header=BB6_3059 Depth=2
	s_or_b32 exec_lo, exec_lo, s24
	s_delay_alu instid0(SALU_CYCLE_1)
	s_and_b32 s7, s7, exec_lo
	s_or_saveexec_b32 s23, s23
	v_mov_b32_e32 v176, s22
	s_xor_b32 exec_lo, exec_lo, s23
	s_cbranch_execz .LBB6_3497
.LBB6_4304:                             ;   in Loop: Header=BB6_3059 Depth=2
	v_cmp_ne_u16_e32 vcc_lo, 0, v34
	v_mov_b32_e32 v176, 0
	s_and_not1_b32 s7, s7, exec_lo
	s_and_b32 s22, vcc_lo, exec_lo
	s_delay_alu instid0(SALU_CYCLE_1)
	s_or_b32 s7, s7, s22
	s_or_b32 exec_lo, exec_lo, s23
	s_and_saveexec_b32 s22, s7
	s_cbranch_execnz .LBB6_3498
	s_branch .LBB6_3499
.LBB6_4305:                             ;   in Loop: Header=BB6_3059 Depth=2
	s_mov_b32 s7, -1
	s_mov_b32 s24, exec_lo
                                        ; implicit-def: $sgpr22
	v_cmpx_eq_u16_e64 0x80, v167
; %bb.4306:                             ;   in Loop: Header=BB6_3059 Depth=2
	s_mov_b32 s22, 0x7f800001
	s_xor_b32 s7, exec_lo, -1
; %bb.4307:                             ;   in Loop: Header=BB6_3059 Depth=2
	s_or_b32 exec_lo, exec_lo, s24
	s_delay_alu instid0(SALU_CYCLE_1)
	s_and_b32 s7, s7, exec_lo
                                        ; implicit-def: $vgpr167
	s_or_saveexec_b32 s23, s23
	v_mov_b32_e32 v34, s22
	s_xor_b32 exec_lo, exec_lo, s23
	s_cbranch_execz .LBB6_3509
.LBB6_4308:                             ;   in Loop: Header=BB6_3059 Depth=2
	v_cmp_ne_u16_e64 vcc_lo, 0, v167
	v_mov_b32_e32 v34, 0
	s_and_not1_b32 s7, s7, exec_lo
	s_delay_alu instid0(VALU_DEP_2) | instskip(NEXT) | instid1(SALU_CYCLE_1)
	s_and_b32 s22, vcc_lo, exec_lo
	s_or_b32 s7, s7, s22
	s_or_b32 exec_lo, exec_lo, s23
	s_and_saveexec_b32 s22, s7
	s_cbranch_execnz .LBB6_3510
	s_branch .LBB6_3511
.LBB6_4309:                             ;   in Loop: Header=BB6_3059 Depth=2
	s_mov_b32 s7, -1
	s_mov_b32 s24, exec_lo
                                        ; implicit-def: $sgpr22
	v_cmpx_eq_u16_e64 0x80, v176
; %bb.4310:                             ;   in Loop: Header=BB6_3059 Depth=2
	s_mov_b32 s22, 0x7f800001
	s_xor_b32 s7, exec_lo, -1
; %bb.4311:                             ;   in Loop: Header=BB6_3059 Depth=2
	s_or_b32 exec_lo, exec_lo, s24
	s_delay_alu instid0(SALU_CYCLE_1)
	s_and_b32 s7, s7, exec_lo
                                        ; implicit-def: $vgpr176
	s_or_saveexec_b32 s23, s23
	v_mov_b32_e32 v167, s22
	s_xor_b32 exec_lo, exec_lo, s23
	s_cbranch_execz .LBB6_3513
.LBB6_4312:                             ;   in Loop: Header=BB6_3059 Depth=2
	v_cmp_ne_u16_e64 vcc_lo, 0, v176
	v_mov_b32_e32 v167, 0
	s_and_not1_b32 s7, s7, exec_lo
	s_delay_alu instid0(VALU_DEP_2) | instskip(NEXT) | instid1(SALU_CYCLE_1)
	s_and_b32 s22, vcc_lo, exec_lo
	s_or_b32 s7, s7, s22
	s_or_b32 exec_lo, exec_lo, s23
	s_and_saveexec_b32 s22, s7
	s_cbranch_execnz .LBB6_3514
	s_branch .LBB6_3515
.LBB6_4313:                             ;   in Loop: Header=BB6_3059 Depth=2
	s_mov_b32 s7, -1
	s_mov_b32 s24, exec_lo
                                        ; implicit-def: $sgpr22
	v_cmpx_eq_u16_e64 0x80, v176
; %bb.4314:                             ;   in Loop: Header=BB6_3059 Depth=2
	s_mov_b32 s22, 0x7f800001
	s_xor_b32 s7, exec_lo, -1
; %bb.4315:                             ;   in Loop: Header=BB6_3059 Depth=2
	s_or_b32 exec_lo, exec_lo, s24
	s_delay_alu instid0(SALU_CYCLE_1)
	s_and_b32 s7, s7, exec_lo
	s_or_saveexec_b32 s23, s23
	v_mov_b32_e32 v167, s22
	s_xor_b32 exec_lo, exec_lo, s23
	s_cbranch_execz .LBB6_3525
.LBB6_4316:                             ;   in Loop: Header=BB6_3059 Depth=2
	v_cmp_ne_u16_e64 vcc_lo, 0, v176
	v_mov_b32_e32 v167, 0
	s_and_not1_b32 s7, s7, exec_lo
	s_delay_alu instid0(VALU_DEP_2) | instskip(NEXT) | instid1(SALU_CYCLE_1)
	s_and_b32 s22, vcc_lo, exec_lo
	s_or_b32 s7, s7, s22
	s_or_b32 exec_lo, exec_lo, s23
	s_and_saveexec_b32 s22, s7
	s_cbranch_execnz .LBB6_3526
	s_branch .LBB6_3527
.LBB6_4317:                             ;   in Loop: Header=BB6_3059 Depth=2
	s_mov_b32 s7, -1
	s_mov_b32 s24, exec_lo
                                        ; implicit-def: $sgpr22
	v_cmpx_eq_u16_e64 0x80, v176
; %bb.4318:                             ;   in Loop: Header=BB6_3059 Depth=2
	s_mov_b32 s22, 0x7f800001
	s_xor_b32 s7, exec_lo, -1
; %bb.4319:                             ;   in Loop: Header=BB6_3059 Depth=2
	s_or_b32 exec_lo, exec_lo, s24
	s_delay_alu instid0(SALU_CYCLE_1)
	s_and_b32 s7, s7, exec_lo
	s_or_saveexec_b32 s23, s23
	v_mov_b32_e32 v177, s22
	s_xor_b32 exec_lo, exec_lo, s23
	s_cbranch_execz .LBB6_3529
.LBB6_4320:                             ;   in Loop: Header=BB6_3059 Depth=2
	v_cmp_ne_u16_e64 vcc_lo, 0, v176
	v_mov_b32_e32 v177, 0
	s_and_not1_b32 s7, s7, exec_lo
	s_delay_alu instid0(VALU_DEP_2) | instskip(NEXT) | instid1(SALU_CYCLE_1)
	s_and_b32 s22, vcc_lo, exec_lo
	s_or_b32 s7, s7, s22
	s_or_b32 exec_lo, exec_lo, s23
	s_and_saveexec_b32 s22, s7
	s_cbranch_execnz .LBB6_3530
	s_branch .LBB6_3531
.LBB6_4321:                             ;   in Loop: Header=BB6_3059 Depth=2
	s_mov_b32 s7, -1
	s_mov_b32 s24, exec_lo
                                        ; implicit-def: $sgpr22
	v_cmpx_eq_u16_e64 0x80, v178
; %bb.4322:                             ;   in Loop: Header=BB6_3059 Depth=2
	s_mov_b32 s22, 0x7f800001
	s_xor_b32 s7, exec_lo, -1
; %bb.4323:                             ;   in Loop: Header=BB6_3059 Depth=2
	s_or_b32 exec_lo, exec_lo, s24
	s_delay_alu instid0(SALU_CYCLE_1)
	s_and_b32 s7, s7, exec_lo
                                        ; implicit-def: $vgpr178
	s_or_saveexec_b32 s23, s23
	v_mov_b32_e32 v176, s22
	s_xor_b32 exec_lo, exec_lo, s23
	s_cbranch_execz .LBB6_3541
.LBB6_4324:                             ;   in Loop: Header=BB6_3059 Depth=2
	v_cmp_ne_u16_e64 vcc_lo, 0, v178
	v_mov_b32_e32 v176, 0
	s_and_not1_b32 s7, s7, exec_lo
	s_delay_alu instid0(VALU_DEP_2) | instskip(NEXT) | instid1(SALU_CYCLE_1)
	s_and_b32 s22, vcc_lo, exec_lo
	s_or_b32 s7, s7, s22
	s_or_b32 exec_lo, exec_lo, s23
	s_and_saveexec_b32 s22, s7
	s_cbranch_execnz .LBB6_3542
	s_branch .LBB6_3543
.LBB6_4325:                             ;   in Loop: Header=BB6_3059 Depth=2
	s_mov_b32 s7, -1
	s_mov_b32 s24, exec_lo
                                        ; implicit-def: $sgpr22
	v_cmpx_eq_u16_e64 0x80, v179
; %bb.4326:                             ;   in Loop: Header=BB6_3059 Depth=2
	s_mov_b32 s22, 0x7f800001
	s_xor_b32 s7, exec_lo, -1
; %bb.4327:                             ;   in Loop: Header=BB6_3059 Depth=2
	s_or_b32 exec_lo, exec_lo, s24
	s_delay_alu instid0(SALU_CYCLE_1)
	s_and_b32 s7, s7, exec_lo
                                        ; implicit-def: $vgpr179
	s_or_saveexec_b32 s23, s23
	v_mov_b32_e32 v178, s22
	s_xor_b32 exec_lo, exec_lo, s23
	s_cbranch_execz .LBB6_3545
.LBB6_4328:                             ;   in Loop: Header=BB6_3059 Depth=2
	v_cmp_ne_u16_e64 vcc_lo, 0, v179
	v_mov_b32_e32 v178, 0
	s_and_not1_b32 s7, s7, exec_lo
	s_delay_alu instid0(VALU_DEP_2) | instskip(NEXT) | instid1(SALU_CYCLE_1)
	s_and_b32 s22, vcc_lo, exec_lo
	s_or_b32 s7, s7, s22
	s_or_b32 exec_lo, exec_lo, s23
	s_and_saveexec_b32 s22, s7
	s_cbranch_execnz .LBB6_3546
	s_branch .LBB6_3547
.LBB6_4329:                             ;   in Loop: Header=BB6_3059 Depth=2
	s_mov_b32 s7, -1
	s_mov_b32 s24, exec_lo
                                        ; implicit-def: $sgpr22
	v_cmpx_eq_u16_e64 0x80, v178
; %bb.4330:                             ;   in Loop: Header=BB6_3059 Depth=2
	s_mov_b32 s22, 0x7f800001
	s_xor_b32 s7, exec_lo, -1
; %bb.4331:                             ;   in Loop: Header=BB6_3059 Depth=2
	s_or_b32 exec_lo, exec_lo, s24
	s_delay_alu instid0(SALU_CYCLE_1)
	s_and_b32 s7, s7, exec_lo
	s_or_saveexec_b32 s23, s23
	v_mov_b32_e32 v177, s22
	s_xor_b32 exec_lo, exec_lo, s23
	s_cbranch_execz .LBB6_3557
.LBB6_4332:                             ;   in Loop: Header=BB6_3059 Depth=2
	v_cmp_ne_u16_e64 vcc_lo, 0, v178
	v_mov_b32_e32 v177, 0
	s_and_not1_b32 s7, s7, exec_lo
	s_delay_alu instid0(VALU_DEP_2) | instskip(NEXT) | instid1(SALU_CYCLE_1)
	s_and_b32 s22, vcc_lo, exec_lo
	s_or_b32 s7, s7, s22
	s_or_b32 exec_lo, exec_lo, s23
	s_and_saveexec_b32 s22, s7
	s_cbranch_execnz .LBB6_3558
	s_branch .LBB6_3559
.LBB6_4333:                             ;   in Loop: Header=BB6_3059 Depth=2
	s_mov_b32 s7, -1
	s_mov_b32 s24, exec_lo
                                        ; implicit-def: $sgpr22
	v_cmpx_eq_u16_e32 0x80, v35
; %bb.4334:                             ;   in Loop: Header=BB6_3059 Depth=2
	s_mov_b32 s22, 0x7f800001
	s_xor_b32 s7, exec_lo, -1
; %bb.4335:                             ;   in Loop: Header=BB6_3059 Depth=2
	s_or_b32 exec_lo, exec_lo, s24
	s_delay_alu instid0(SALU_CYCLE_1)
	s_and_b32 s7, s7, exec_lo
	s_or_saveexec_b32 s23, s23
	v_mov_b32_e32 v178, s22
	s_xor_b32 exec_lo, exec_lo, s23
	s_cbranch_execz .LBB6_3561
.LBB6_4336:                             ;   in Loop: Header=BB6_3059 Depth=2
	v_cmp_ne_u16_e32 vcc_lo, 0, v35
	v_mov_b32_e32 v178, 0
	s_and_not1_b32 s7, s7, exec_lo
	s_and_b32 s22, vcc_lo, exec_lo
	s_delay_alu instid0(SALU_CYCLE_1)
	s_or_b32 s7, s7, s22
	s_or_b32 exec_lo, exec_lo, s23
	s_and_saveexec_b32 s22, s7
	s_cbranch_execnz .LBB6_3562
	s_branch .LBB6_3563
.LBB6_4337:                             ;   in Loop: Header=BB6_3059 Depth=2
	s_mov_b32 s7, -1
	s_mov_b32 s24, exec_lo
                                        ; implicit-def: $sgpr22
	v_cmpx_eq_u16_e64 0x80, v177
; %bb.4338:                             ;   in Loop: Header=BB6_3059 Depth=2
	s_mov_b32 s22, 0x7f800001
	s_xor_b32 s7, exec_lo, -1
; %bb.4339:                             ;   in Loop: Header=BB6_3059 Depth=2
	s_or_b32 exec_lo, exec_lo, s24
	s_delay_alu instid0(SALU_CYCLE_1)
	s_and_b32 s7, s7, exec_lo
                                        ; implicit-def: $vgpr177
	s_or_saveexec_b32 s23, s23
	v_mov_b32_e32 v35, s22
	s_xor_b32 exec_lo, exec_lo, s23
	s_cbranch_execz .LBB6_3573
.LBB6_4340:                             ;   in Loop: Header=BB6_3059 Depth=2
	v_cmp_ne_u16_e64 vcc_lo, 0, v177
	v_mov_b32_e32 v35, 0
	s_and_not1_b32 s7, s7, exec_lo
	s_delay_alu instid0(VALU_DEP_2) | instskip(NEXT) | instid1(SALU_CYCLE_1)
	s_and_b32 s22, vcc_lo, exec_lo
	s_or_b32 s7, s7, s22
	s_or_b32 exec_lo, exec_lo, s23
	s_and_saveexec_b32 s22, s7
	s_cbranch_execnz .LBB6_3574
	s_branch .LBB6_3575
.LBB6_4341:                             ;   in Loop: Header=BB6_3059 Depth=2
	s_mov_b32 s7, -1
	s_mov_b32 s24, exec_lo
                                        ; implicit-def: $sgpr22
	v_cmpx_eq_u16_e64 0x80, v178
; %bb.4342:                             ;   in Loop: Header=BB6_3059 Depth=2
	s_mov_b32 s22, 0x7f800001
	s_xor_b32 s7, exec_lo, -1
; %bb.4343:                             ;   in Loop: Header=BB6_3059 Depth=2
	s_or_b32 exec_lo, exec_lo, s24
	s_delay_alu instid0(SALU_CYCLE_1)
	s_and_b32 s7, s7, exec_lo
                                        ; implicit-def: $vgpr178
	s_or_saveexec_b32 s23, s23
	v_mov_b32_e32 v177, s22
	s_xor_b32 exec_lo, exec_lo, s23
	s_cbranch_execz .LBB6_3577
.LBB6_4344:                             ;   in Loop: Header=BB6_3059 Depth=2
	v_cmp_ne_u16_e64 vcc_lo, 0, v178
	v_mov_b32_e32 v177, 0
	s_and_not1_b32 s7, s7, exec_lo
	s_delay_alu instid0(VALU_DEP_2) | instskip(NEXT) | instid1(SALU_CYCLE_1)
	s_and_b32 s22, vcc_lo, exec_lo
	s_or_b32 s7, s7, s22
	s_or_b32 exec_lo, exec_lo, s23
	s_and_saveexec_b32 s22, s7
	s_cbranch_execnz .LBB6_3578
	s_branch .LBB6_3579
.LBB6_4345:                             ;   in Loop: Header=BB6_3059 Depth=2
	s_mov_b32 s7, -1
	s_mov_b32 s24, exec_lo
                                        ; implicit-def: $sgpr22
	v_cmpx_eq_u16_e64 0x80, v178
; %bb.4346:                             ;   in Loop: Header=BB6_3059 Depth=2
	s_mov_b32 s22, 0x7f800001
	s_xor_b32 s7, exec_lo, -1
; %bb.4347:                             ;   in Loop: Header=BB6_3059 Depth=2
	s_or_b32 exec_lo, exec_lo, s24
	s_delay_alu instid0(SALU_CYCLE_1)
	s_and_b32 s7, s7, exec_lo
	s_or_saveexec_b32 s23, s23
	v_mov_b32_e32 v177, s22
	s_xor_b32 exec_lo, exec_lo, s23
	s_cbranch_execz .LBB6_3589
.LBB6_4348:                             ;   in Loop: Header=BB6_3059 Depth=2
	v_cmp_ne_u16_e64 vcc_lo, 0, v178
	v_mov_b32_e32 v177, 0
	s_and_not1_b32 s7, s7, exec_lo
	s_delay_alu instid0(VALU_DEP_2) | instskip(NEXT) | instid1(SALU_CYCLE_1)
	s_and_b32 s22, vcc_lo, exec_lo
	s_or_b32 s7, s7, s22
	s_or_b32 exec_lo, exec_lo, s23
	s_and_saveexec_b32 s22, s7
	s_cbranch_execnz .LBB6_3590
	s_branch .LBB6_3591
.LBB6_4349:                             ;   in Loop: Header=BB6_3059 Depth=2
	s_mov_b32 s7, -1
	s_mov_b32 s24, exec_lo
                                        ; implicit-def: $sgpr22
	v_cmpx_eq_u16_e64 0x80, v178
; %bb.4350:                             ;   in Loop: Header=BB6_3059 Depth=2
	s_mov_b32 s22, 0x7f800001
	s_xor_b32 s7, exec_lo, -1
; %bb.4351:                             ;   in Loop: Header=BB6_3059 Depth=2
	s_or_b32 exec_lo, exec_lo, s24
	s_delay_alu instid0(SALU_CYCLE_1)
	s_and_b32 s7, s7, exec_lo
	s_or_saveexec_b32 s23, s23
	v_mov_b32_e32 v179, s22
	s_xor_b32 exec_lo, exec_lo, s23
	s_cbranch_execz .LBB6_3593
.LBB6_4352:                             ;   in Loop: Header=BB6_3059 Depth=2
	v_cmp_ne_u16_e64 vcc_lo, 0, v178
	v_mov_b32_e32 v179, 0
	s_and_not1_b32 s7, s7, exec_lo
	s_delay_alu instid0(VALU_DEP_2) | instskip(NEXT) | instid1(SALU_CYCLE_1)
	s_and_b32 s22, vcc_lo, exec_lo
	s_or_b32 s7, s7, s22
	s_or_b32 exec_lo, exec_lo, s23
	s_and_saveexec_b32 s22, s7
	s_cbranch_execnz .LBB6_3594
	s_branch .LBB6_3595
.LBB6_4353:                             ;   in Loop: Header=BB6_3059 Depth=2
	s_mov_b32 s7, -1
	s_mov_b32 s24, exec_lo
                                        ; implicit-def: $sgpr22
	v_cmpx_eq_u16_e64 0x80, v180
; %bb.4354:                             ;   in Loop: Header=BB6_3059 Depth=2
	s_mov_b32 s22, 0x7f800001
	s_xor_b32 s7, exec_lo, -1
; %bb.4355:                             ;   in Loop: Header=BB6_3059 Depth=2
	s_or_b32 exec_lo, exec_lo, s24
	s_delay_alu instid0(SALU_CYCLE_1)
	s_and_b32 s7, s7, exec_lo
                                        ; implicit-def: $vgpr180
	s_or_saveexec_b32 s23, s23
	v_mov_b32_e32 v178, s22
	s_xor_b32 exec_lo, exec_lo, s23
	s_cbranch_execz .LBB6_3605
.LBB6_4356:                             ;   in Loop: Header=BB6_3059 Depth=2
	v_cmp_ne_u16_e64 vcc_lo, 0, v180
	v_mov_b32_e32 v178, 0
	s_and_not1_b32 s7, s7, exec_lo
	s_delay_alu instid0(VALU_DEP_2) | instskip(NEXT) | instid1(SALU_CYCLE_1)
	s_and_b32 s22, vcc_lo, exec_lo
	s_or_b32 s7, s7, s22
	s_or_b32 exec_lo, exec_lo, s23
	s_and_saveexec_b32 s22, s7
	s_cbranch_execnz .LBB6_3606
	s_branch .LBB6_3607
.LBB6_4357:                             ;   in Loop: Header=BB6_3059 Depth=2
	s_mov_b32 s7, -1
	s_mov_b32 s24, exec_lo
                                        ; implicit-def: $sgpr22
	v_cmpx_eq_u16_e64 0x80, v181
; %bb.4358:                             ;   in Loop: Header=BB6_3059 Depth=2
	s_mov_b32 s22, 0x7f800001
	s_xor_b32 s7, exec_lo, -1
; %bb.4359:                             ;   in Loop: Header=BB6_3059 Depth=2
	s_or_b32 exec_lo, exec_lo, s24
	s_delay_alu instid0(SALU_CYCLE_1)
	s_and_b32 s7, s7, exec_lo
                                        ; implicit-def: $vgpr181
	s_or_saveexec_b32 s23, s23
	v_mov_b32_e32 v180, s22
	s_xor_b32 exec_lo, exec_lo, s23
	s_cbranch_execz .LBB6_3609
.LBB6_4360:                             ;   in Loop: Header=BB6_3059 Depth=2
	v_cmp_ne_u16_e64 vcc_lo, 0, v181
	v_mov_b32_e32 v180, 0
	s_and_not1_b32 s7, s7, exec_lo
	s_delay_alu instid0(VALU_DEP_2) | instskip(NEXT) | instid1(SALU_CYCLE_1)
	s_and_b32 s22, vcc_lo, exec_lo
	s_or_b32 s7, s7, s22
	s_or_b32 exec_lo, exec_lo, s23
	s_and_saveexec_b32 s22, s7
	s_cbranch_execnz .LBB6_3610
	s_branch .LBB6_3611
.LBB6_4361:                             ;   in Loop: Header=BB6_3059 Depth=2
	s_mov_b32 s7, -1
	s_mov_b32 s24, exec_lo
                                        ; implicit-def: $sgpr22
	v_cmpx_eq_u16_e64 0x80, v180
; %bb.4362:                             ;   in Loop: Header=BB6_3059 Depth=2
	s_mov_b32 s22, 0x7f800001
	s_xor_b32 s7, exec_lo, -1
; %bb.4363:                             ;   in Loop: Header=BB6_3059 Depth=2
	s_or_b32 exec_lo, exec_lo, s24
	s_delay_alu instid0(SALU_CYCLE_1)
	s_and_b32 s7, s7, exec_lo
	s_or_saveexec_b32 s23, s23
	v_mov_b32_e32 v179, s22
	s_xor_b32 exec_lo, exec_lo, s23
	s_cbranch_execz .LBB6_3621
.LBB6_4364:                             ;   in Loop: Header=BB6_3059 Depth=2
	v_cmp_ne_u16_e64 vcc_lo, 0, v180
	v_mov_b32_e32 v179, 0
	s_and_not1_b32 s7, s7, exec_lo
	s_delay_alu instid0(VALU_DEP_2) | instskip(NEXT) | instid1(SALU_CYCLE_1)
	s_and_b32 s22, vcc_lo, exec_lo
	s_or_b32 s7, s7, s22
	s_or_b32 exec_lo, exec_lo, s23
	s_and_saveexec_b32 s22, s7
	s_cbranch_execnz .LBB6_3622
	s_branch .LBB6_3623
.LBB6_4365:                             ;   in Loop: Header=BB6_3059 Depth=2
	s_mov_b32 s7, -1
	s_mov_b32 s24, exec_lo
                                        ; implicit-def: $sgpr22
	v_cmpx_eq_u16_e32 0x80, v22
; %bb.4366:                             ;   in Loop: Header=BB6_3059 Depth=2
	s_mov_b32 s22, 0x7f800001
	s_xor_b32 s7, exec_lo, -1
; %bb.4367:                             ;   in Loop: Header=BB6_3059 Depth=2
	s_or_b32 exec_lo, exec_lo, s24
	s_delay_alu instid0(SALU_CYCLE_1)
	s_and_b32 s7, s7, exec_lo
	s_or_saveexec_b32 s23, s23
	v_mov_b32_e32 v180, s22
	s_xor_b32 exec_lo, exec_lo, s23
	s_cbranch_execz .LBB6_3625
.LBB6_4368:                             ;   in Loop: Header=BB6_3059 Depth=2
	v_cmp_ne_u16_e32 vcc_lo, 0, v22
	v_mov_b32_e32 v180, 0
	s_and_not1_b32 s7, s7, exec_lo
	s_and_b32 s22, vcc_lo, exec_lo
	s_delay_alu instid0(SALU_CYCLE_1)
	s_or_b32 s7, s7, s22
	s_or_b32 exec_lo, exec_lo, s23
	s_and_saveexec_b32 s22, s7
	s_cbranch_execnz .LBB6_3626
	s_branch .LBB6_3627
.LBB6_4369:                             ;   in Loop: Header=BB6_3059 Depth=2
	s_mov_b32 s7, -1
	s_mov_b32 s24, exec_lo
                                        ; implicit-def: $sgpr22
	v_cmpx_eq_u16_e64 0x80, v179
; %bb.4370:                             ;   in Loop: Header=BB6_3059 Depth=2
	s_mov_b32 s22, 0x7f800001
	s_xor_b32 s7, exec_lo, -1
; %bb.4371:                             ;   in Loop: Header=BB6_3059 Depth=2
	s_or_b32 exec_lo, exec_lo, s24
	s_delay_alu instid0(SALU_CYCLE_1)
	s_and_b32 s7, s7, exec_lo
                                        ; implicit-def: $vgpr179
	s_or_saveexec_b32 s23, s23
	v_mov_b32_e32 v22, s22
	s_xor_b32 exec_lo, exec_lo, s23
	s_cbranch_execz .LBB6_3637
.LBB6_4372:                             ;   in Loop: Header=BB6_3059 Depth=2
	v_cmp_ne_u16_e64 vcc_lo, 0, v179
	v_mov_b32_e32 v22, 0
	s_and_not1_b32 s7, s7, exec_lo
	s_delay_alu instid0(VALU_DEP_2) | instskip(NEXT) | instid1(SALU_CYCLE_1)
	s_and_b32 s22, vcc_lo, exec_lo
	s_or_b32 s7, s7, s22
	s_or_b32 exec_lo, exec_lo, s23
	s_and_saveexec_b32 s22, s7
	s_cbranch_execnz .LBB6_3638
	s_branch .LBB6_3639
.LBB6_4373:                             ;   in Loop: Header=BB6_3059 Depth=2
	s_mov_b32 s7, -1
	s_mov_b32 s24, exec_lo
                                        ; implicit-def: $sgpr22
	v_cmpx_eq_u16_e64 0x80, v180
; %bb.4374:                             ;   in Loop: Header=BB6_3059 Depth=2
	s_mov_b32 s22, 0x7f800001
	s_xor_b32 s7, exec_lo, -1
; %bb.4375:                             ;   in Loop: Header=BB6_3059 Depth=2
	s_or_b32 exec_lo, exec_lo, s24
	s_delay_alu instid0(SALU_CYCLE_1)
	s_and_b32 s7, s7, exec_lo
                                        ; implicit-def: $vgpr180
	s_or_saveexec_b32 s23, s23
	v_mov_b32_e32 v179, s22
	s_xor_b32 exec_lo, exec_lo, s23
	s_cbranch_execz .LBB6_3641
.LBB6_4376:                             ;   in Loop: Header=BB6_3059 Depth=2
	v_cmp_ne_u16_e64 vcc_lo, 0, v180
	v_mov_b32_e32 v179, 0
	s_and_not1_b32 s7, s7, exec_lo
	s_delay_alu instid0(VALU_DEP_2) | instskip(NEXT) | instid1(SALU_CYCLE_1)
	s_and_b32 s22, vcc_lo, exec_lo
	s_or_b32 s7, s7, s22
	s_or_b32 exec_lo, exec_lo, s23
	s_and_saveexec_b32 s22, s7
	s_cbranch_execnz .LBB6_3642
	s_branch .LBB6_3643
.LBB6_4377:                             ;   in Loop: Header=BB6_3059 Depth=2
	s_mov_b32 s7, -1
	s_mov_b32 s24, exec_lo
                                        ; implicit-def: $sgpr22
	v_cmpx_eq_u16_e64 0x80, v180
; %bb.4378:                             ;   in Loop: Header=BB6_3059 Depth=2
	s_mov_b32 s22, 0x7f800001
	s_xor_b32 s7, exec_lo, -1
; %bb.4379:                             ;   in Loop: Header=BB6_3059 Depth=2
	s_or_b32 exec_lo, exec_lo, s24
	s_delay_alu instid0(SALU_CYCLE_1)
	s_and_b32 s7, s7, exec_lo
	s_or_saveexec_b32 s23, s23
	v_mov_b32_e32 v179, s22
	s_xor_b32 exec_lo, exec_lo, s23
	s_cbranch_execz .LBB6_3653
.LBB6_4380:                             ;   in Loop: Header=BB6_3059 Depth=2
	v_cmp_ne_u16_e64 vcc_lo, 0, v180
	v_mov_b32_e32 v179, 0
	s_and_not1_b32 s7, s7, exec_lo
	s_delay_alu instid0(VALU_DEP_2) | instskip(NEXT) | instid1(SALU_CYCLE_1)
	s_and_b32 s22, vcc_lo, exec_lo
	s_or_b32 s7, s7, s22
	s_or_b32 exec_lo, exec_lo, s23
	s_and_saveexec_b32 s22, s7
	s_cbranch_execnz .LBB6_3654
	s_branch .LBB6_3655
.LBB6_4381:                             ;   in Loop: Header=BB6_3059 Depth=2
	s_mov_b32 s7, -1
	s_mov_b32 s24, exec_lo
                                        ; implicit-def: $sgpr22
	v_cmpx_eq_u16_e64 0x80, v180
; %bb.4382:                             ;   in Loop: Header=BB6_3059 Depth=2
	s_mov_b32 s22, 0x7f800001
	s_xor_b32 s7, exec_lo, -1
; %bb.4383:                             ;   in Loop: Header=BB6_3059 Depth=2
	s_or_b32 exec_lo, exec_lo, s24
	s_delay_alu instid0(SALU_CYCLE_1)
	s_and_b32 s7, s7, exec_lo
	s_or_saveexec_b32 s23, s23
	v_mov_b32_e32 v181, s22
	s_xor_b32 exec_lo, exec_lo, s23
	s_cbranch_execz .LBB6_3657
.LBB6_4384:                             ;   in Loop: Header=BB6_3059 Depth=2
	v_cmp_ne_u16_e64 vcc_lo, 0, v180
	v_mov_b32_e32 v181, 0
	s_and_not1_b32 s7, s7, exec_lo
	s_delay_alu instid0(VALU_DEP_2) | instskip(NEXT) | instid1(SALU_CYCLE_1)
	s_and_b32 s22, vcc_lo, exec_lo
	s_or_b32 s7, s7, s22
	s_or_b32 exec_lo, exec_lo, s23
	s_and_saveexec_b32 s22, s7
	s_cbranch_execnz .LBB6_3658
	s_branch .LBB6_3659
.LBB6_4385:                             ;   in Loop: Header=BB6_3059 Depth=2
	s_mov_b32 s7, -1
	s_mov_b32 s24, exec_lo
                                        ; implicit-def: $sgpr22
	v_cmpx_eq_u16_e64 0x80, v182
; %bb.4386:                             ;   in Loop: Header=BB6_3059 Depth=2
	s_mov_b32 s22, 0x7f800001
	s_xor_b32 s7, exec_lo, -1
; %bb.4387:                             ;   in Loop: Header=BB6_3059 Depth=2
	s_or_b32 exec_lo, exec_lo, s24
	s_delay_alu instid0(SALU_CYCLE_1)
	s_and_b32 s7, s7, exec_lo
                                        ; implicit-def: $vgpr182
	s_or_saveexec_b32 s23, s23
	v_mov_b32_e32 v180, s22
	s_xor_b32 exec_lo, exec_lo, s23
	s_cbranch_execz .LBB6_3669
.LBB6_4388:                             ;   in Loop: Header=BB6_3059 Depth=2
	v_cmp_ne_u16_e64 vcc_lo, 0, v182
	v_mov_b32_e32 v180, 0
	s_and_not1_b32 s7, s7, exec_lo
	s_delay_alu instid0(VALU_DEP_2) | instskip(NEXT) | instid1(SALU_CYCLE_1)
	s_and_b32 s22, vcc_lo, exec_lo
	s_or_b32 s7, s7, s22
	s_or_b32 exec_lo, exec_lo, s23
	s_and_saveexec_b32 s22, s7
	s_cbranch_execnz .LBB6_3670
	s_branch .LBB6_3671
.LBB6_4389:                             ;   in Loop: Header=BB6_3059 Depth=2
	s_mov_b32 s7, -1
	s_mov_b32 s24, exec_lo
                                        ; implicit-def: $sgpr22
	v_cmpx_eq_u16_e64 0x80, v183
; %bb.4390:                             ;   in Loop: Header=BB6_3059 Depth=2
	s_mov_b32 s22, 0x7f800001
	s_xor_b32 s7, exec_lo, -1
; %bb.4391:                             ;   in Loop: Header=BB6_3059 Depth=2
	s_or_b32 exec_lo, exec_lo, s24
	s_delay_alu instid0(SALU_CYCLE_1)
	s_and_b32 s7, s7, exec_lo
                                        ; implicit-def: $vgpr183
	s_or_saveexec_b32 s23, s23
	v_mov_b32_e32 v182, s22
	s_xor_b32 exec_lo, exec_lo, s23
	s_cbranch_execz .LBB6_3673
.LBB6_4392:                             ;   in Loop: Header=BB6_3059 Depth=2
	v_cmp_ne_u16_e64 vcc_lo, 0, v183
	v_mov_b32_e32 v182, 0
	s_and_not1_b32 s7, s7, exec_lo
	s_delay_alu instid0(VALU_DEP_2) | instskip(NEXT) | instid1(SALU_CYCLE_1)
	s_and_b32 s22, vcc_lo, exec_lo
	s_or_b32 s7, s7, s22
	s_or_b32 exec_lo, exec_lo, s23
	s_and_saveexec_b32 s22, s7
	s_cbranch_execnz .LBB6_3674
	s_branch .LBB6_3675
.LBB6_4393:                             ;   in Loop: Header=BB6_3059 Depth=2
	s_mov_b32 s7, -1
	s_mov_b32 s24, exec_lo
                                        ; implicit-def: $sgpr22
	v_cmpx_eq_u16_e64 0x80, v182
; %bb.4394:                             ;   in Loop: Header=BB6_3059 Depth=2
	s_mov_b32 s22, 0x7f800001
	s_xor_b32 s7, exec_lo, -1
; %bb.4395:                             ;   in Loop: Header=BB6_3059 Depth=2
	s_or_b32 exec_lo, exec_lo, s24
	s_delay_alu instid0(SALU_CYCLE_1)
	s_and_b32 s7, s7, exec_lo
	s_or_saveexec_b32 s23, s23
	v_mov_b32_e32 v181, s22
	s_xor_b32 exec_lo, exec_lo, s23
	s_cbranch_execz .LBB6_3685
.LBB6_4396:                             ;   in Loop: Header=BB6_3059 Depth=2
	v_cmp_ne_u16_e64 vcc_lo, 0, v182
	v_mov_b32_e32 v181, 0
	s_and_not1_b32 s7, s7, exec_lo
	s_delay_alu instid0(VALU_DEP_2) | instskip(NEXT) | instid1(SALU_CYCLE_1)
	s_and_b32 s22, vcc_lo, exec_lo
	s_or_b32 s7, s7, s22
	s_or_b32 exec_lo, exec_lo, s23
	s_and_saveexec_b32 s22, s7
	s_cbranch_execnz .LBB6_3686
	s_branch .LBB6_3687
.LBB6_4397:                             ;   in Loop: Header=BB6_3059 Depth=2
	s_mov_b32 s7, -1
	s_mov_b32 s24, exec_lo
                                        ; implicit-def: $sgpr22
	v_cmpx_eq_u16_e32 0x80, v23
; %bb.4398:                             ;   in Loop: Header=BB6_3059 Depth=2
	s_mov_b32 s22, 0x7f800001
	s_xor_b32 s7, exec_lo, -1
; %bb.4399:                             ;   in Loop: Header=BB6_3059 Depth=2
	s_or_b32 exec_lo, exec_lo, s24
	s_delay_alu instid0(SALU_CYCLE_1)
	s_and_b32 s7, s7, exec_lo
	s_or_saveexec_b32 s23, s23
	v_mov_b32_e32 v182, s22
	s_xor_b32 exec_lo, exec_lo, s23
	s_cbranch_execz .LBB6_3689
.LBB6_4400:                             ;   in Loop: Header=BB6_3059 Depth=2
	v_cmp_ne_u16_e32 vcc_lo, 0, v23
	v_mov_b32_e32 v182, 0
	s_and_not1_b32 s7, s7, exec_lo
	s_and_b32 s22, vcc_lo, exec_lo
	s_delay_alu instid0(SALU_CYCLE_1)
	s_or_b32 s7, s7, s22
	s_or_b32 exec_lo, exec_lo, s23
	s_and_saveexec_b32 s22, s7
	s_cbranch_execnz .LBB6_3690
	s_branch .LBB6_3691
.LBB6_4401:                             ;   in Loop: Header=BB6_3059 Depth=2
	s_mov_b32 s7, -1
	s_mov_b32 s24, exec_lo
                                        ; implicit-def: $sgpr22
	v_cmpx_eq_u16_e64 0x80, v181
; %bb.4402:                             ;   in Loop: Header=BB6_3059 Depth=2
	s_mov_b32 s22, 0x7f800001
	s_xor_b32 s7, exec_lo, -1
; %bb.4403:                             ;   in Loop: Header=BB6_3059 Depth=2
	s_or_b32 exec_lo, exec_lo, s24
	s_delay_alu instid0(SALU_CYCLE_1)
	s_and_b32 s7, s7, exec_lo
                                        ; implicit-def: $vgpr181
	s_or_saveexec_b32 s23, s23
	v_mov_b32_e32 v23, s22
	s_xor_b32 exec_lo, exec_lo, s23
	s_cbranch_execz .LBB6_3701
.LBB6_4404:                             ;   in Loop: Header=BB6_3059 Depth=2
	v_cmp_ne_u16_e64 vcc_lo, 0, v181
	v_mov_b32_e32 v23, 0
	s_and_not1_b32 s7, s7, exec_lo
	s_delay_alu instid0(VALU_DEP_2) | instskip(NEXT) | instid1(SALU_CYCLE_1)
	s_and_b32 s22, vcc_lo, exec_lo
	s_or_b32 s7, s7, s22
	s_or_b32 exec_lo, exec_lo, s23
	s_and_saveexec_b32 s22, s7
	s_cbranch_execnz .LBB6_3702
	s_branch .LBB6_3703
.LBB6_4405:                             ;   in Loop: Header=BB6_3059 Depth=2
	s_mov_b32 s7, -1
	s_mov_b32 s24, exec_lo
                                        ; implicit-def: $sgpr22
	v_cmpx_eq_u16_e64 0x80, v182
; %bb.4406:                             ;   in Loop: Header=BB6_3059 Depth=2
	s_mov_b32 s22, 0x7f800001
	s_xor_b32 s7, exec_lo, -1
; %bb.4407:                             ;   in Loop: Header=BB6_3059 Depth=2
	s_or_b32 exec_lo, exec_lo, s24
	s_delay_alu instid0(SALU_CYCLE_1)
	s_and_b32 s7, s7, exec_lo
                                        ; implicit-def: $vgpr182
	s_or_saveexec_b32 s23, s23
	v_mov_b32_e32 v181, s22
	s_xor_b32 exec_lo, exec_lo, s23
	s_cbranch_execz .LBB6_3705
.LBB6_4408:                             ;   in Loop: Header=BB6_3059 Depth=2
	v_cmp_ne_u16_e64 vcc_lo, 0, v182
	v_mov_b32_e32 v181, 0
	s_and_not1_b32 s7, s7, exec_lo
	s_delay_alu instid0(VALU_DEP_2) | instskip(NEXT) | instid1(SALU_CYCLE_1)
	s_and_b32 s22, vcc_lo, exec_lo
	s_or_b32 s7, s7, s22
	s_or_b32 exec_lo, exec_lo, s23
	s_and_saveexec_b32 s22, s7
	s_cbranch_execnz .LBB6_3706
	s_branch .LBB6_3707
.LBB6_4409:                             ;   in Loop: Header=BB6_3059 Depth=2
	s_mov_b32 s7, -1
	s_mov_b32 s24, exec_lo
                                        ; implicit-def: $sgpr22
	v_cmpx_eq_u16_e64 0x80, v182
; %bb.4410:                             ;   in Loop: Header=BB6_3059 Depth=2
	s_mov_b32 s22, 0x7f800001
	s_xor_b32 s7, exec_lo, -1
; %bb.4411:                             ;   in Loop: Header=BB6_3059 Depth=2
	s_or_b32 exec_lo, exec_lo, s24
	s_delay_alu instid0(SALU_CYCLE_1)
	s_and_b32 s7, s7, exec_lo
	s_or_saveexec_b32 s23, s23
	v_mov_b32_e32 v181, s22
	s_xor_b32 exec_lo, exec_lo, s23
	s_cbranch_execz .LBB6_3717
.LBB6_4412:                             ;   in Loop: Header=BB6_3059 Depth=2
	v_cmp_ne_u16_e64 vcc_lo, 0, v182
	v_mov_b32_e32 v181, 0
	s_and_not1_b32 s7, s7, exec_lo
	s_delay_alu instid0(VALU_DEP_2) | instskip(NEXT) | instid1(SALU_CYCLE_1)
	s_and_b32 s22, vcc_lo, exec_lo
	s_or_b32 s7, s7, s22
	s_or_b32 exec_lo, exec_lo, s23
	s_and_saveexec_b32 s22, s7
	s_cbranch_execnz .LBB6_3718
	s_branch .LBB6_3719
.LBB6_4413:                             ;   in Loop: Header=BB6_3059 Depth=2
	s_mov_b32 s7, -1
	s_mov_b32 s24, exec_lo
                                        ; implicit-def: $sgpr22
	v_cmpx_eq_u16_e64 0x80, v182
; %bb.4414:                             ;   in Loop: Header=BB6_3059 Depth=2
	s_mov_b32 s22, 0x7f800001
	s_xor_b32 s7, exec_lo, -1
; %bb.4415:                             ;   in Loop: Header=BB6_3059 Depth=2
	s_or_b32 exec_lo, exec_lo, s24
	s_delay_alu instid0(SALU_CYCLE_1)
	s_and_b32 s7, s7, exec_lo
	s_or_saveexec_b32 s23, s23
	v_mov_b32_e32 v183, s22
	s_xor_b32 exec_lo, exec_lo, s23
	s_cbranch_execz .LBB6_3721
.LBB6_4416:                             ;   in Loop: Header=BB6_3059 Depth=2
	v_cmp_ne_u16_e64 vcc_lo, 0, v182
	v_mov_b32_e32 v183, 0
	s_and_not1_b32 s7, s7, exec_lo
	s_delay_alu instid0(VALU_DEP_2) | instskip(NEXT) | instid1(SALU_CYCLE_1)
	s_and_b32 s22, vcc_lo, exec_lo
	s_or_b32 s7, s7, s22
	s_or_b32 exec_lo, exec_lo, s23
	s_and_saveexec_b32 s22, s7
	s_cbranch_execnz .LBB6_3722
	s_branch .LBB6_3723
.LBB6_4417:                             ;   in Loop: Header=BB6_3059 Depth=2
	s_mov_b32 s7, -1
	s_mov_b32 s24, exec_lo
                                        ; implicit-def: $sgpr22
	v_cmpx_eq_u16_e32 0x80, v40
; %bb.4418:                             ;   in Loop: Header=BB6_3059 Depth=2
	s_mov_b32 s22, 0x7f800001
	s_xor_b32 s7, exec_lo, -1
; %bb.4419:                             ;   in Loop: Header=BB6_3059 Depth=2
	s_or_b32 exec_lo, exec_lo, s24
	s_delay_alu instid0(SALU_CYCLE_1)
	s_and_b32 s7, s7, exec_lo
                                        ; implicit-def: $vgpr40
	s_or_saveexec_b32 s23, s23
	v_mov_b32_e32 v182, s22
	s_xor_b32 exec_lo, exec_lo, s23
	s_cbranch_execz .LBB6_3733
.LBB6_4420:                             ;   in Loop: Header=BB6_3059 Depth=2
	v_cmp_ne_u16_e32 vcc_lo, 0, v40
	v_mov_b32_e32 v182, 0
	s_and_not1_b32 s7, s7, exec_lo
	s_and_b32 s22, vcc_lo, exec_lo
	s_delay_alu instid0(SALU_CYCLE_1)
	s_or_b32 s7, s7, s22
	s_or_b32 exec_lo, exec_lo, s23
	s_and_saveexec_b32 s22, s7
	s_cbranch_execnz .LBB6_3734
	s_branch .LBB6_3735
.LBB6_4421:                             ;   in Loop: Header=BB6_3059 Depth=2
	s_mov_b32 s7, -1
	s_mov_b32 s24, exec_lo
                                        ; implicit-def: $sgpr22
	v_cmpx_eq_u16_e32 0x80, v41
; %bb.4422:                             ;   in Loop: Header=BB6_3059 Depth=2
	s_mov_b32 s22, 0x7f800001
	s_xor_b32 s7, exec_lo, -1
; %bb.4423:                             ;   in Loop: Header=BB6_3059 Depth=2
	s_or_b32 exec_lo, exec_lo, s24
	s_delay_alu instid0(SALU_CYCLE_1)
	s_and_b32 s7, s7, exec_lo
                                        ; implicit-def: $vgpr41
	s_or_saveexec_b32 s23, s23
	v_mov_b32_e32 v40, s22
	s_xor_b32 exec_lo, exec_lo, s23
	s_cbranch_execz .LBB6_3737
.LBB6_4424:                             ;   in Loop: Header=BB6_3059 Depth=2
	v_cmp_ne_u16_e32 vcc_lo, 0, v41
	v_mov_b32_e32 v40, 0
	s_and_not1_b32 s7, s7, exec_lo
	s_and_b32 s22, vcc_lo, exec_lo
	s_delay_alu instid0(SALU_CYCLE_1)
	s_or_b32 s7, s7, s22
	s_or_b32 exec_lo, exec_lo, s23
	s_and_saveexec_b32 s22, s7
	s_cbranch_execnz .LBB6_3738
	s_branch .LBB6_3739
.LBB6_4425:                             ;   in Loop: Header=BB6_3059 Depth=2
	s_mov_b32 s7, -1
	s_mov_b32 s24, exec_lo
                                        ; implicit-def: $sgpr22
	v_cmpx_eq_u16_e32 0x80, v40
; %bb.4426:                             ;   in Loop: Header=BB6_3059 Depth=2
	s_mov_b32 s22, 0x7f800001
	s_xor_b32 s7, exec_lo, -1
; %bb.4427:                             ;   in Loop: Header=BB6_3059 Depth=2
	s_or_b32 exec_lo, exec_lo, s24
	s_delay_alu instid0(SALU_CYCLE_1)
	s_and_b32 s7, s7, exec_lo
	s_or_saveexec_b32 s23, s23
	v_mov_b32_e32 v183, s22
	s_xor_b32 exec_lo, exec_lo, s23
	s_cbranch_execz .LBB6_3749
.LBB6_4428:                             ;   in Loop: Header=BB6_3059 Depth=2
	v_cmp_ne_u16_e32 vcc_lo, 0, v40
	v_mov_b32_e32 v183, 0
	s_and_not1_b32 s7, s7, exec_lo
	s_and_b32 s22, vcc_lo, exec_lo
	s_delay_alu instid0(SALU_CYCLE_1)
	s_or_b32 s7, s7, s22
	s_or_b32 exec_lo, exec_lo, s23
	s_and_saveexec_b32 s22, s7
	s_cbranch_execnz .LBB6_3750
	s_branch .LBB6_3751
.LBB6_4429:                             ;   in Loop: Header=BB6_3059 Depth=2
	s_mov_b32 s7, -1
	s_mov_b32 s24, exec_lo
                                        ; implicit-def: $sgpr22
	v_cmpx_eq_u16_e32 0x80, v24
; %bb.4430:                             ;   in Loop: Header=BB6_3059 Depth=2
	s_mov_b32 s22, 0x7f800001
	s_xor_b32 s7, exec_lo, -1
; %bb.4431:                             ;   in Loop: Header=BB6_3059 Depth=2
	s_or_b32 exec_lo, exec_lo, s24
	s_delay_alu instid0(SALU_CYCLE_1)
	s_and_b32 s7, s7, exec_lo
	s_or_saveexec_b32 s23, s23
	v_mov_b32_e32 v40, s22
	s_xor_b32 exec_lo, exec_lo, s23
	s_cbranch_execz .LBB6_3753
.LBB6_4432:                             ;   in Loop: Header=BB6_3059 Depth=2
	v_cmp_ne_u16_e32 vcc_lo, 0, v24
	v_mov_b32_e32 v40, 0
	s_and_not1_b32 s7, s7, exec_lo
	s_and_b32 s22, vcc_lo, exec_lo
	s_delay_alu instid0(SALU_CYCLE_1)
	s_or_b32 s7, s7, s22
	s_or_b32 exec_lo, exec_lo, s23
	s_and_saveexec_b32 s22, s7
	s_cbranch_execnz .LBB6_3754
	s_branch .LBB6_3755
.LBB6_4433:                             ;   in Loop: Header=BB6_3059 Depth=2
	s_mov_b32 s7, -1
	s_mov_b32 s24, exec_lo
                                        ; implicit-def: $sgpr22
	v_cmpx_eq_u16_e64 0x80, v183
; %bb.4434:                             ;   in Loop: Header=BB6_3059 Depth=2
	s_mov_b32 s22, 0x7f800001
	s_xor_b32 s7, exec_lo, -1
; %bb.4435:                             ;   in Loop: Header=BB6_3059 Depth=2
	s_or_b32 exec_lo, exec_lo, s24
	s_delay_alu instid0(SALU_CYCLE_1)
	s_and_b32 s7, s7, exec_lo
                                        ; implicit-def: $vgpr183
	s_or_saveexec_b32 s23, s23
	v_mov_b32_e32 v24, s22
	s_xor_b32 exec_lo, exec_lo, s23
	s_cbranch_execz .LBB6_3765
.LBB6_4436:                             ;   in Loop: Header=BB6_3059 Depth=2
	v_cmp_ne_u16_e64 vcc_lo, 0, v183
	v_mov_b32_e32 v24, 0
	s_and_not1_b32 s7, s7, exec_lo
	s_delay_alu instid0(VALU_DEP_2) | instskip(NEXT) | instid1(SALU_CYCLE_1)
	s_and_b32 s22, vcc_lo, exec_lo
	s_or_b32 s7, s7, s22
	s_or_b32 exec_lo, exec_lo, s23
	s_and_saveexec_b32 s22, s7
	s_cbranch_execnz .LBB6_3766
	s_branch .LBB6_3767
.LBB6_4437:                             ;   in Loop: Header=BB6_3059 Depth=2
	s_mov_b32 s7, -1
	s_mov_b32 s24, exec_lo
                                        ; implicit-def: $sgpr22
	v_cmpx_eq_u16_e32 0x80, v40
; %bb.4438:                             ;   in Loop: Header=BB6_3059 Depth=2
	s_mov_b32 s22, 0x7f800001
	s_xor_b32 s7, exec_lo, -1
; %bb.4439:                             ;   in Loop: Header=BB6_3059 Depth=2
	s_or_b32 exec_lo, exec_lo, s24
	s_delay_alu instid0(SALU_CYCLE_1)
	s_and_b32 s7, s7, exec_lo
                                        ; implicit-def: $vgpr40
	s_or_saveexec_b32 s23, s23
	v_mov_b32_e32 v183, s22
	s_xor_b32 exec_lo, exec_lo, s23
	s_cbranch_execz .LBB6_3769
.LBB6_4440:                             ;   in Loop: Header=BB6_3059 Depth=2
	v_cmp_ne_u16_e32 vcc_lo, 0, v40
	v_mov_b32_e32 v183, 0
	s_and_not1_b32 s7, s7, exec_lo
	s_and_b32 s22, vcc_lo, exec_lo
	s_delay_alu instid0(SALU_CYCLE_1)
	s_or_b32 s7, s7, s22
	s_or_b32 exec_lo, exec_lo, s23
	s_and_saveexec_b32 s22, s7
	s_cbranch_execnz .LBB6_3770
	s_branch .LBB6_3771
.LBB6_4441:                             ;   in Loop: Header=BB6_3059 Depth=2
	s_mov_b32 s7, -1
	s_mov_b32 s24, exec_lo
                                        ; implicit-def: $sgpr22
	v_cmpx_eq_u16_e32 0x80, v40
; %bb.4442:                             ;   in Loop: Header=BB6_3059 Depth=2
	s_mov_b32 s22, 0x7f800001
	s_xor_b32 s7, exec_lo, -1
; %bb.4443:                             ;   in Loop: Header=BB6_3059 Depth=2
	s_or_b32 exec_lo, exec_lo, s24
	s_delay_alu instid0(SALU_CYCLE_1)
	s_and_b32 s7, s7, exec_lo
	s_or_saveexec_b32 s23, s23
	v_mov_b32_e32 v183, s22
	s_xor_b32 exec_lo, exec_lo, s23
	s_cbranch_execz .LBB6_3781
.LBB6_4444:                             ;   in Loop: Header=BB6_3059 Depth=2
	v_cmp_ne_u16_e32 vcc_lo, 0, v40
	v_mov_b32_e32 v183, 0
	s_and_not1_b32 s7, s7, exec_lo
	s_and_b32 s22, vcc_lo, exec_lo
	s_delay_alu instid0(SALU_CYCLE_1)
	s_or_b32 s7, s7, s22
	s_or_b32 exec_lo, exec_lo, s23
	s_and_saveexec_b32 s22, s7
	s_cbranch_execnz .LBB6_3782
	s_branch .LBB6_3783
.LBB6_4445:                             ;   in Loop: Header=BB6_3059 Depth=2
	s_mov_b32 s7, -1
	s_mov_b32 s24, exec_lo
                                        ; implicit-def: $sgpr22
	v_cmpx_eq_u16_e32 0x80, v40
; %bb.4446:                             ;   in Loop: Header=BB6_3059 Depth=2
	s_mov_b32 s22, 0x7f800001
	s_xor_b32 s7, exec_lo, -1
; %bb.4447:                             ;   in Loop: Header=BB6_3059 Depth=2
	s_or_b32 exec_lo, exec_lo, s24
	s_delay_alu instid0(SALU_CYCLE_1)
	s_and_b32 s7, s7, exec_lo
	s_or_saveexec_b32 s23, s23
	v_mov_b32_e32 v41, s22
	s_xor_b32 exec_lo, exec_lo, s23
	s_cbranch_execz .LBB6_3785
.LBB6_4448:                             ;   in Loop: Header=BB6_3059 Depth=2
	v_cmp_ne_u16_e32 vcc_lo, 0, v40
	v_mov_b32_e32 v41, 0
	s_and_not1_b32 s7, s7, exec_lo
	s_and_b32 s22, vcc_lo, exec_lo
	s_delay_alu instid0(SALU_CYCLE_1)
	s_or_b32 s7, s7, s22
	s_or_b32 exec_lo, exec_lo, s23
	s_and_saveexec_b32 s22, s7
	s_cbranch_execnz .LBB6_3786
	s_branch .LBB6_3787
.LBB6_4449:                             ;   in Loop: Header=BB6_3059 Depth=2
	s_mov_b32 s7, -1
	s_mov_b32 s24, exec_lo
                                        ; implicit-def: $sgpr22
	v_cmpx_eq_u16_e32 0x80, v42
; %bb.4450:                             ;   in Loop: Header=BB6_3059 Depth=2
	s_mov_b32 s22, 0x7f800001
	s_xor_b32 s7, exec_lo, -1
; %bb.4451:                             ;   in Loop: Header=BB6_3059 Depth=2
	s_or_b32 exec_lo, exec_lo, s24
	s_delay_alu instid0(SALU_CYCLE_1)
	s_and_b32 s7, s7, exec_lo
                                        ; implicit-def: $vgpr42
	s_or_saveexec_b32 s23, s23
	v_mov_b32_e32 v40, s22
	s_xor_b32 exec_lo, exec_lo, s23
	s_cbranch_execz .LBB6_3797
.LBB6_4452:                             ;   in Loop: Header=BB6_3059 Depth=2
	v_cmp_ne_u16_e32 vcc_lo, 0, v42
	v_mov_b32_e32 v40, 0
	s_and_not1_b32 s7, s7, exec_lo
	s_and_b32 s22, vcc_lo, exec_lo
	s_delay_alu instid0(SALU_CYCLE_1)
	s_or_b32 s7, s7, s22
	s_or_b32 exec_lo, exec_lo, s23
	s_and_saveexec_b32 s22, s7
	s_cbranch_execnz .LBB6_3798
	s_branch .LBB6_3799
.LBB6_4453:                             ;   in Loop: Header=BB6_3059 Depth=2
	s_mov_b32 s7, -1
	s_mov_b32 s24, exec_lo
                                        ; implicit-def: $sgpr22
	v_cmpx_eq_u16_e32 0x80, v43
; %bb.4454:                             ;   in Loop: Header=BB6_3059 Depth=2
	s_mov_b32 s22, 0x7f800001
	s_xor_b32 s7, exec_lo, -1
; %bb.4455:                             ;   in Loop: Header=BB6_3059 Depth=2
	s_or_b32 exec_lo, exec_lo, s24
	s_delay_alu instid0(SALU_CYCLE_1)
	s_and_b32 s7, s7, exec_lo
                                        ; implicit-def: $vgpr43
	s_or_saveexec_b32 s23, s23
	v_mov_b32_e32 v42, s22
	s_xor_b32 exec_lo, exec_lo, s23
	s_cbranch_execz .LBB6_3801
.LBB6_4456:                             ;   in Loop: Header=BB6_3059 Depth=2
	v_cmp_ne_u16_e32 vcc_lo, 0, v43
	v_mov_b32_e32 v42, 0
	s_and_not1_b32 s7, s7, exec_lo
	s_and_b32 s22, vcc_lo, exec_lo
	s_delay_alu instid0(SALU_CYCLE_1)
	s_or_b32 s7, s7, s22
	s_or_b32 exec_lo, exec_lo, s23
	s_and_saveexec_b32 s22, s7
	s_cbranch_execnz .LBB6_3802
	s_branch .LBB6_3803
.LBB6_4457:                             ;   in Loop: Header=BB6_3059 Depth=2
	s_mov_b32 s7, -1
	s_mov_b32 s24, exec_lo
                                        ; implicit-def: $sgpr22
	v_cmpx_eq_u16_e32 0x80, v42
; %bb.4458:                             ;   in Loop: Header=BB6_3059 Depth=2
	s_mov_b32 s22, 0x7f800001
	s_xor_b32 s7, exec_lo, -1
; %bb.4459:                             ;   in Loop: Header=BB6_3059 Depth=2
	s_or_b32 exec_lo, exec_lo, s24
	s_delay_alu instid0(SALU_CYCLE_1)
	s_and_b32 s7, s7, exec_lo
	s_or_saveexec_b32 s23, s23
	v_mov_b32_e32 v41, s22
	s_xor_b32 exec_lo, exec_lo, s23
	s_cbranch_execz .LBB6_3813
.LBB6_4460:                             ;   in Loop: Header=BB6_3059 Depth=2
	v_cmp_ne_u16_e32 vcc_lo, 0, v42
	v_mov_b32_e32 v41, 0
	s_and_not1_b32 s7, s7, exec_lo
	s_and_b32 s22, vcc_lo, exec_lo
	s_delay_alu instid0(SALU_CYCLE_1)
	s_or_b32 s7, s7, s22
	s_or_b32 exec_lo, exec_lo, s23
	s_and_saveexec_b32 s22, s7
	s_cbranch_execnz .LBB6_3814
	s_branch .LBB6_3815
.LBB6_4461:                             ;   in Loop: Header=BB6_3059 Depth=2
	s_mov_b32 s7, -1
	s_mov_b32 s24, exec_lo
                                        ; implicit-def: $sgpr22
	v_cmpx_eq_u16_e32 0x80, v25
; %bb.4462:                             ;   in Loop: Header=BB6_3059 Depth=2
	s_mov_b32 s22, 0x7f800001
	s_xor_b32 s7, exec_lo, -1
; %bb.4463:                             ;   in Loop: Header=BB6_3059 Depth=2
	s_or_b32 exec_lo, exec_lo, s24
	s_delay_alu instid0(SALU_CYCLE_1)
	s_and_b32 s7, s7, exec_lo
	s_or_saveexec_b32 s23, s23
	v_mov_b32_e32 v42, s22
	s_xor_b32 exec_lo, exec_lo, s23
	s_cbranch_execz .LBB6_3817
.LBB6_4464:                             ;   in Loop: Header=BB6_3059 Depth=2
	v_cmp_ne_u16_e32 vcc_lo, 0, v25
	v_mov_b32_e32 v42, 0
	s_and_not1_b32 s7, s7, exec_lo
	s_and_b32 s22, vcc_lo, exec_lo
	s_delay_alu instid0(SALU_CYCLE_1)
	s_or_b32 s7, s7, s22
	s_or_b32 exec_lo, exec_lo, s23
	s_and_saveexec_b32 s22, s7
	s_cbranch_execnz .LBB6_3818
	s_branch .LBB6_3819
.LBB6_4465:                             ;   in Loop: Header=BB6_3059 Depth=2
	s_mov_b32 s7, -1
	s_mov_b32 s24, exec_lo
                                        ; implicit-def: $sgpr22
	v_cmpx_eq_u16_e32 0x80, v41
; %bb.4466:                             ;   in Loop: Header=BB6_3059 Depth=2
	s_mov_b32 s22, 0x7f800001
	s_xor_b32 s7, exec_lo, -1
; %bb.4467:                             ;   in Loop: Header=BB6_3059 Depth=2
	s_or_b32 exec_lo, exec_lo, s24
	s_delay_alu instid0(SALU_CYCLE_1)
	s_and_b32 s7, s7, exec_lo
                                        ; implicit-def: $vgpr41
	s_or_saveexec_b32 s23, s23
	v_mov_b32_e32 v25, s22
	s_xor_b32 exec_lo, exec_lo, s23
	s_cbranch_execz .LBB6_3829
.LBB6_4468:                             ;   in Loop: Header=BB6_3059 Depth=2
	v_cmp_ne_u16_e32 vcc_lo, 0, v41
	v_mov_b32_e32 v25, 0
	s_and_not1_b32 s7, s7, exec_lo
	s_and_b32 s22, vcc_lo, exec_lo
	s_delay_alu instid0(SALU_CYCLE_1)
	s_or_b32 s7, s7, s22
	s_or_b32 exec_lo, exec_lo, s23
	s_and_saveexec_b32 s22, s7
	s_cbranch_execnz .LBB6_3830
	s_branch .LBB6_3831
.LBB6_4469:                             ;   in Loop: Header=BB6_3059 Depth=2
	s_mov_b32 s7, -1
	s_mov_b32 s24, exec_lo
                                        ; implicit-def: $sgpr22
	v_cmpx_eq_u16_e32 0x80, v42
; %bb.4470:                             ;   in Loop: Header=BB6_3059 Depth=2
	s_mov_b32 s22, 0x7f800001
	s_xor_b32 s7, exec_lo, -1
; %bb.4471:                             ;   in Loop: Header=BB6_3059 Depth=2
	s_or_b32 exec_lo, exec_lo, s24
	s_delay_alu instid0(SALU_CYCLE_1)
	s_and_b32 s7, s7, exec_lo
                                        ; implicit-def: $vgpr42
	s_or_saveexec_b32 s23, s23
	v_mov_b32_e32 v41, s22
	s_xor_b32 exec_lo, exec_lo, s23
	s_cbranch_execz .LBB6_3833
.LBB6_4472:                             ;   in Loop: Header=BB6_3059 Depth=2
	v_cmp_ne_u16_e32 vcc_lo, 0, v42
	v_mov_b32_e32 v41, 0
	s_and_not1_b32 s7, s7, exec_lo
	s_and_b32 s22, vcc_lo, exec_lo
	s_delay_alu instid0(SALU_CYCLE_1)
	s_or_b32 s7, s7, s22
	s_or_b32 exec_lo, exec_lo, s23
	s_and_saveexec_b32 s22, s7
	s_cbranch_execnz .LBB6_3834
	s_branch .LBB6_3835
.LBB6_4473:                             ;   in Loop: Header=BB6_3059 Depth=2
	s_mov_b32 s7, -1
	s_mov_b32 s24, exec_lo
                                        ; implicit-def: $sgpr22
	v_cmpx_eq_u16_e32 0x80, v42
; %bb.4474:                             ;   in Loop: Header=BB6_3059 Depth=2
	s_mov_b32 s22, 0x7f800001
	s_xor_b32 s7, exec_lo, -1
; %bb.4475:                             ;   in Loop: Header=BB6_3059 Depth=2
	s_or_b32 exec_lo, exec_lo, s24
	s_delay_alu instid0(SALU_CYCLE_1)
	s_and_b32 s7, s7, exec_lo
	s_or_saveexec_b32 s23, s23
	v_mov_b32_e32 v41, s22
	s_xor_b32 exec_lo, exec_lo, s23
	s_cbranch_execz .LBB6_3845
.LBB6_4476:                             ;   in Loop: Header=BB6_3059 Depth=2
	v_cmp_ne_u16_e32 vcc_lo, 0, v42
	v_mov_b32_e32 v41, 0
	s_and_not1_b32 s7, s7, exec_lo
	s_and_b32 s22, vcc_lo, exec_lo
	s_delay_alu instid0(SALU_CYCLE_1)
	s_or_b32 s7, s7, s22
	s_or_b32 exec_lo, exec_lo, s23
	s_and_saveexec_b32 s22, s7
	s_cbranch_execnz .LBB6_3846
	s_branch .LBB6_3847
.LBB6_4477:                             ;   in Loop: Header=BB6_3059 Depth=2
	s_mov_b32 s7, -1
	s_mov_b32 s24, exec_lo
                                        ; implicit-def: $sgpr22
	v_cmpx_eq_u16_e32 0x80, v42
; %bb.4478:                             ;   in Loop: Header=BB6_3059 Depth=2
	s_mov_b32 s22, 0x7f800001
	s_xor_b32 s7, exec_lo, -1
; %bb.4479:                             ;   in Loop: Header=BB6_3059 Depth=2
	s_or_b32 exec_lo, exec_lo, s24
	s_delay_alu instid0(SALU_CYCLE_1)
	s_and_b32 s7, s7, exec_lo
	s_or_saveexec_b32 s23, s23
	v_mov_b32_e32 v43, s22
	s_xor_b32 exec_lo, exec_lo, s23
	s_cbranch_execz .LBB6_3849
.LBB6_4480:                             ;   in Loop: Header=BB6_3059 Depth=2
	v_cmp_ne_u16_e32 vcc_lo, 0, v42
	v_mov_b32_e32 v43, 0
	s_and_not1_b32 s7, s7, exec_lo
	s_and_b32 s22, vcc_lo, exec_lo
	s_delay_alu instid0(SALU_CYCLE_1)
	s_or_b32 s7, s7, s22
	s_or_b32 exec_lo, exec_lo, s23
	s_and_saveexec_b32 s22, s7
	s_cbranch_execnz .LBB6_3850
	s_branch .LBB6_3851
.LBB6_4481:                             ;   in Loop: Header=BB6_3059 Depth=2
	s_mov_b32 s7, -1
	s_mov_b32 s24, exec_lo
                                        ; implicit-def: $sgpr22
	v_cmpx_eq_u16_e32 0x80, v44
; %bb.4482:                             ;   in Loop: Header=BB6_3059 Depth=2
	s_mov_b32 s22, 0x7f800001
	s_xor_b32 s7, exec_lo, -1
; %bb.4483:                             ;   in Loop: Header=BB6_3059 Depth=2
	s_or_b32 exec_lo, exec_lo, s24
	s_delay_alu instid0(SALU_CYCLE_1)
	s_and_b32 s7, s7, exec_lo
                                        ; implicit-def: $vgpr44
	s_or_saveexec_b32 s23, s23
	v_mov_b32_e32 v42, s22
	s_xor_b32 exec_lo, exec_lo, s23
	s_cbranch_execz .LBB6_3861
.LBB6_4484:                             ;   in Loop: Header=BB6_3059 Depth=2
	v_cmp_ne_u16_e32 vcc_lo, 0, v44
	v_mov_b32_e32 v42, 0
	s_and_not1_b32 s7, s7, exec_lo
	s_and_b32 s22, vcc_lo, exec_lo
	s_delay_alu instid0(SALU_CYCLE_1)
	s_or_b32 s7, s7, s22
	s_or_b32 exec_lo, exec_lo, s23
	s_and_saveexec_b32 s22, s7
	s_cbranch_execnz .LBB6_3862
	s_branch .LBB6_3863
.LBB6_4485:                             ;   in Loop: Header=BB6_3059 Depth=2
	s_mov_b32 s7, -1
	s_mov_b32 s24, exec_lo
                                        ; implicit-def: $sgpr22
	v_cmpx_eq_u16_e32 0x80, v45
; %bb.4486:                             ;   in Loop: Header=BB6_3059 Depth=2
	s_mov_b32 s22, 0x7f800001
	s_xor_b32 s7, exec_lo, -1
; %bb.4487:                             ;   in Loop: Header=BB6_3059 Depth=2
	s_or_b32 exec_lo, exec_lo, s24
	s_delay_alu instid0(SALU_CYCLE_1)
	s_and_b32 s7, s7, exec_lo
                                        ; implicit-def: $vgpr45
	s_or_saveexec_b32 s23, s23
	v_mov_b32_e32 v44, s22
	s_xor_b32 exec_lo, exec_lo, s23
	s_cbranch_execz .LBB6_3865
.LBB6_4488:                             ;   in Loop: Header=BB6_3059 Depth=2
	v_cmp_ne_u16_e32 vcc_lo, 0, v45
	v_mov_b32_e32 v44, 0
	s_and_not1_b32 s7, s7, exec_lo
	s_and_b32 s22, vcc_lo, exec_lo
	s_delay_alu instid0(SALU_CYCLE_1)
	s_or_b32 s7, s7, s22
	s_or_b32 exec_lo, exec_lo, s23
	s_and_saveexec_b32 s22, s7
	s_cbranch_execnz .LBB6_3866
	s_branch .LBB6_3867
.LBB6_4489:                             ;   in Loop: Header=BB6_3059 Depth=2
	s_mov_b32 s7, -1
	s_mov_b32 s24, exec_lo
                                        ; implicit-def: $sgpr22
	v_cmpx_eq_u16_e32 0x80, v44
; %bb.4490:                             ;   in Loop: Header=BB6_3059 Depth=2
	s_mov_b32 s22, 0x7f800001
	s_xor_b32 s7, exec_lo, -1
; %bb.4491:                             ;   in Loop: Header=BB6_3059 Depth=2
	s_or_b32 exec_lo, exec_lo, s24
	s_delay_alu instid0(SALU_CYCLE_1)
	s_and_b32 s7, s7, exec_lo
	s_or_saveexec_b32 s23, s23
	v_mov_b32_e32 v43, s22
	s_xor_b32 exec_lo, exec_lo, s23
	s_cbranch_execz .LBB6_3877
.LBB6_4492:                             ;   in Loop: Header=BB6_3059 Depth=2
	v_cmp_ne_u16_e32 vcc_lo, 0, v44
	v_mov_b32_e32 v43, 0
	s_and_not1_b32 s7, s7, exec_lo
	s_and_b32 s22, vcc_lo, exec_lo
	s_delay_alu instid0(SALU_CYCLE_1)
	s_or_b32 s7, s7, s22
	s_or_b32 exec_lo, exec_lo, s23
	s_and_saveexec_b32 s22, s7
	s_cbranch_execnz .LBB6_3878
	s_branch .LBB6_3879
.LBB6_4493:                             ;   in Loop: Header=BB6_3059 Depth=2
	s_mov_b32 s7, -1
	s_mov_b32 s24, exec_lo
                                        ; implicit-def: $sgpr22
	v_cmpx_eq_u16_e32 0x80, v14
; %bb.4494:                             ;   in Loop: Header=BB6_3059 Depth=2
	s_mov_b32 s22, 0x7f800001
	s_xor_b32 s7, exec_lo, -1
; %bb.4495:                             ;   in Loop: Header=BB6_3059 Depth=2
	s_or_b32 exec_lo, exec_lo, s24
	s_delay_alu instid0(SALU_CYCLE_1)
	s_and_b32 s7, s7, exec_lo
	s_or_saveexec_b32 s23, s23
	v_mov_b32_e32 v44, s22
	s_xor_b32 exec_lo, exec_lo, s23
	s_cbranch_execz .LBB6_3881
.LBB6_4496:                             ;   in Loop: Header=BB6_3059 Depth=2
	v_cmp_ne_u16_e32 vcc_lo, 0, v14
	v_mov_b32_e32 v44, 0
	s_and_not1_b32 s7, s7, exec_lo
	s_and_b32 s22, vcc_lo, exec_lo
	s_delay_alu instid0(SALU_CYCLE_1)
	s_or_b32 s7, s7, s22
	s_or_b32 exec_lo, exec_lo, s23
	s_and_saveexec_b32 s22, s7
	s_cbranch_execnz .LBB6_3882
	s_branch .LBB6_3883
.LBB6_4497:                             ;   in Loop: Header=BB6_3059 Depth=2
	s_mov_b32 s7, -1
	s_mov_b32 s24, exec_lo
                                        ; implicit-def: $sgpr22
	v_cmpx_eq_u16_e32 0x80, v43
; %bb.4498:                             ;   in Loop: Header=BB6_3059 Depth=2
	s_mov_b32 s22, 0x7f800001
	s_xor_b32 s7, exec_lo, -1
; %bb.4499:                             ;   in Loop: Header=BB6_3059 Depth=2
	s_or_b32 exec_lo, exec_lo, s24
	s_delay_alu instid0(SALU_CYCLE_1)
	s_and_b32 s7, s7, exec_lo
                                        ; implicit-def: $vgpr43
	s_or_saveexec_b32 s23, s23
	v_mov_b32_e32 v14, s22
	s_xor_b32 exec_lo, exec_lo, s23
	s_cbranch_execz .LBB6_3893
.LBB6_4500:                             ;   in Loop: Header=BB6_3059 Depth=2
	v_cmp_ne_u16_e32 vcc_lo, 0, v43
	v_mov_b32_e32 v14, 0
	s_and_not1_b32 s7, s7, exec_lo
	s_and_b32 s22, vcc_lo, exec_lo
	s_delay_alu instid0(SALU_CYCLE_1)
	s_or_b32 s7, s7, s22
	s_or_b32 exec_lo, exec_lo, s23
	s_and_saveexec_b32 s22, s7
	s_cbranch_execnz .LBB6_3894
	s_branch .LBB6_3895
.LBB6_4501:                             ;   in Loop: Header=BB6_3059 Depth=2
	s_mov_b32 s7, -1
	s_mov_b32 s24, exec_lo
                                        ; implicit-def: $sgpr22
	v_cmpx_eq_u16_e32 0x80, v44
; %bb.4502:                             ;   in Loop: Header=BB6_3059 Depth=2
	s_mov_b32 s22, 0x7f800001
	s_xor_b32 s7, exec_lo, -1
; %bb.4503:                             ;   in Loop: Header=BB6_3059 Depth=2
	s_or_b32 exec_lo, exec_lo, s24
	s_delay_alu instid0(SALU_CYCLE_1)
	s_and_b32 s7, s7, exec_lo
                                        ; implicit-def: $vgpr44
	s_or_saveexec_b32 s23, s23
	v_mov_b32_e32 v43, s22
	s_xor_b32 exec_lo, exec_lo, s23
	s_cbranch_execz .LBB6_3897
.LBB6_4504:                             ;   in Loop: Header=BB6_3059 Depth=2
	v_cmp_ne_u16_e32 vcc_lo, 0, v44
	v_mov_b32_e32 v43, 0
	s_and_not1_b32 s7, s7, exec_lo
	s_and_b32 s22, vcc_lo, exec_lo
	s_delay_alu instid0(SALU_CYCLE_1)
	s_or_b32 s7, s7, s22
	s_or_b32 exec_lo, exec_lo, s23
	s_and_saveexec_b32 s22, s7
	s_cbranch_execnz .LBB6_3898
	s_branch .LBB6_3899
.LBB6_4505:                             ;   in Loop: Header=BB6_3059 Depth=2
	s_mov_b32 s7, -1
	s_mov_b32 s24, exec_lo
                                        ; implicit-def: $sgpr22
	v_cmpx_eq_u16_e32 0x80, v44
; %bb.4506:                             ;   in Loop: Header=BB6_3059 Depth=2
	s_mov_b32 s22, 0x7f800001
	s_xor_b32 s7, exec_lo, -1
; %bb.4507:                             ;   in Loop: Header=BB6_3059 Depth=2
	s_or_b32 exec_lo, exec_lo, s24
	s_delay_alu instid0(SALU_CYCLE_1)
	s_and_b32 s7, s7, exec_lo
	s_or_saveexec_b32 s23, s23
	v_mov_b32_e32 v43, s22
	s_xor_b32 exec_lo, exec_lo, s23
	s_cbranch_execz .LBB6_3909
.LBB6_4508:                             ;   in Loop: Header=BB6_3059 Depth=2
	v_cmp_ne_u16_e32 vcc_lo, 0, v44
	v_mov_b32_e32 v43, 0
	s_and_not1_b32 s7, s7, exec_lo
	s_and_b32 s22, vcc_lo, exec_lo
	s_delay_alu instid0(SALU_CYCLE_1)
	s_or_b32 s7, s7, s22
	s_or_b32 exec_lo, exec_lo, s23
	s_and_saveexec_b32 s22, s7
	s_cbranch_execnz .LBB6_3910
	s_branch .LBB6_3911
.LBB6_4509:                             ;   in Loop: Header=BB6_3059 Depth=2
	s_mov_b32 s7, -1
	s_mov_b32 s24, exec_lo
                                        ; implicit-def: $sgpr22
	v_cmpx_eq_u16_e32 0x80, v44
; %bb.4510:                             ;   in Loop: Header=BB6_3059 Depth=2
	s_mov_b32 s22, 0x7f800001
	s_xor_b32 s7, exec_lo, -1
; %bb.4511:                             ;   in Loop: Header=BB6_3059 Depth=2
	s_or_b32 exec_lo, exec_lo, s24
	s_delay_alu instid0(SALU_CYCLE_1)
	s_and_b32 s7, s7, exec_lo
	s_or_saveexec_b32 s23, s23
	v_mov_b32_e32 v45, s22
	s_xor_b32 exec_lo, exec_lo, s23
	s_cbranch_execz .LBB6_3913
.LBB6_4512:                             ;   in Loop: Header=BB6_3059 Depth=2
	v_cmp_ne_u16_e32 vcc_lo, 0, v44
	v_mov_b32_e32 v45, 0
	s_and_not1_b32 s7, s7, exec_lo
	s_and_b32 s22, vcc_lo, exec_lo
	s_delay_alu instid0(SALU_CYCLE_1)
	s_or_b32 s7, s7, s22
	s_or_b32 exec_lo, exec_lo, s23
	s_and_saveexec_b32 s22, s7
	s_cbranch_execnz .LBB6_3914
	s_branch .LBB6_3915
.LBB6_4513:                             ;   in Loop: Header=BB6_3059 Depth=2
	s_mov_b32 s7, -1
	s_mov_b32 s24, exec_lo
                                        ; implicit-def: $sgpr22
	v_cmpx_eq_u16_e32 0x80, v46
; %bb.4514:                             ;   in Loop: Header=BB6_3059 Depth=2
	s_mov_b32 s22, 0x7f800001
	s_xor_b32 s7, exec_lo, -1
; %bb.4515:                             ;   in Loop: Header=BB6_3059 Depth=2
	s_or_b32 exec_lo, exec_lo, s24
	s_delay_alu instid0(SALU_CYCLE_1)
	s_and_b32 s7, s7, exec_lo
                                        ; implicit-def: $vgpr46
	s_or_saveexec_b32 s23, s23
	v_mov_b32_e32 v44, s22
	s_xor_b32 exec_lo, exec_lo, s23
	s_cbranch_execz .LBB6_3925
.LBB6_4516:                             ;   in Loop: Header=BB6_3059 Depth=2
	v_cmp_ne_u16_e32 vcc_lo, 0, v46
	v_mov_b32_e32 v44, 0
	s_and_not1_b32 s7, s7, exec_lo
	s_and_b32 s22, vcc_lo, exec_lo
	s_delay_alu instid0(SALU_CYCLE_1)
	s_or_b32 s7, s7, s22
	s_or_b32 exec_lo, exec_lo, s23
	s_and_saveexec_b32 s22, s7
	s_cbranch_execnz .LBB6_3926
	s_branch .LBB6_3927
.LBB6_4517:                             ;   in Loop: Header=BB6_3059 Depth=2
	s_mov_b32 s7, -1
	s_mov_b32 s24, exec_lo
                                        ; implicit-def: $sgpr22
	v_cmpx_eq_u16_e32 0x80, v47
; %bb.4518:                             ;   in Loop: Header=BB6_3059 Depth=2
	s_mov_b32 s22, 0x7f800001
	s_xor_b32 s7, exec_lo, -1
; %bb.4519:                             ;   in Loop: Header=BB6_3059 Depth=2
	s_or_b32 exec_lo, exec_lo, s24
	s_delay_alu instid0(SALU_CYCLE_1)
	s_and_b32 s7, s7, exec_lo
                                        ; implicit-def: $vgpr47
	s_or_saveexec_b32 s23, s23
	v_mov_b32_e32 v46, s22
	s_xor_b32 exec_lo, exec_lo, s23
	s_cbranch_execz .LBB6_3929
.LBB6_4520:                             ;   in Loop: Header=BB6_3059 Depth=2
	v_cmp_ne_u16_e32 vcc_lo, 0, v47
	v_mov_b32_e32 v46, 0
	s_and_not1_b32 s7, s7, exec_lo
	s_and_b32 s22, vcc_lo, exec_lo
	s_delay_alu instid0(SALU_CYCLE_1)
	s_or_b32 s7, s7, s22
	s_or_b32 exec_lo, exec_lo, s23
	s_and_saveexec_b32 s22, s7
	s_cbranch_execnz .LBB6_3930
	s_branch .LBB6_3931
.LBB6_4521:                             ;   in Loop: Header=BB6_3059 Depth=2
	s_mov_b32 s7, -1
	s_mov_b32 s24, exec_lo
                                        ; implicit-def: $sgpr22
	v_cmpx_eq_u16_e32 0x80, v46
; %bb.4522:                             ;   in Loop: Header=BB6_3059 Depth=2
	s_mov_b32 s22, 0x7f800001
	s_xor_b32 s7, exec_lo, -1
; %bb.4523:                             ;   in Loop: Header=BB6_3059 Depth=2
	s_or_b32 exec_lo, exec_lo, s24
	s_delay_alu instid0(SALU_CYCLE_1)
	s_and_b32 s7, s7, exec_lo
	s_or_saveexec_b32 s23, s23
	v_mov_b32_e32 v45, s22
	s_xor_b32 exec_lo, exec_lo, s23
	s_cbranch_execz .LBB6_3941
.LBB6_4524:                             ;   in Loop: Header=BB6_3059 Depth=2
	v_cmp_ne_u16_e32 vcc_lo, 0, v46
	v_mov_b32_e32 v45, 0
	s_and_not1_b32 s7, s7, exec_lo
	s_and_b32 s22, vcc_lo, exec_lo
	s_delay_alu instid0(SALU_CYCLE_1)
	s_or_b32 s7, s7, s22
	s_or_b32 exec_lo, exec_lo, s23
	s_and_saveexec_b32 s22, s7
	s_cbranch_execnz .LBB6_3942
	s_branch .LBB6_3943
.LBB6_4525:                             ;   in Loop: Header=BB6_3059 Depth=2
	s_mov_b32 s7, -1
	s_mov_b32 s24, exec_lo
                                        ; implicit-def: $sgpr22
	v_cmpx_eq_u16_e32 0x80, v15
; %bb.4526:                             ;   in Loop: Header=BB6_3059 Depth=2
	s_mov_b32 s22, 0x7f800001
	s_xor_b32 s7, exec_lo, -1
; %bb.4527:                             ;   in Loop: Header=BB6_3059 Depth=2
	s_or_b32 exec_lo, exec_lo, s24
	s_delay_alu instid0(SALU_CYCLE_1)
	s_and_b32 s7, s7, exec_lo
	s_or_saveexec_b32 s23, s23
	v_mov_b32_e32 v46, s22
	s_xor_b32 exec_lo, exec_lo, s23
	s_cbranch_execz .LBB6_3945
.LBB6_4528:                             ;   in Loop: Header=BB6_3059 Depth=2
	v_cmp_ne_u16_e32 vcc_lo, 0, v15
	v_mov_b32_e32 v46, 0
	s_and_not1_b32 s7, s7, exec_lo
	s_and_b32 s22, vcc_lo, exec_lo
	s_delay_alu instid0(SALU_CYCLE_1)
	s_or_b32 s7, s7, s22
	s_or_b32 exec_lo, exec_lo, s23
	s_and_saveexec_b32 s22, s7
	s_cbranch_execnz .LBB6_3946
	s_branch .LBB6_3947
.LBB6_4529:                             ;   in Loop: Header=BB6_3059 Depth=2
	s_mov_b32 s7, -1
	s_mov_b32 s24, exec_lo
                                        ; implicit-def: $sgpr22
	v_cmpx_eq_u16_e32 0x80, v45
; %bb.4530:                             ;   in Loop: Header=BB6_3059 Depth=2
	s_mov_b32 s22, 0x7f800001
	s_xor_b32 s7, exec_lo, -1
; %bb.4531:                             ;   in Loop: Header=BB6_3059 Depth=2
	s_or_b32 exec_lo, exec_lo, s24
	s_delay_alu instid0(SALU_CYCLE_1)
	s_and_b32 s7, s7, exec_lo
                                        ; implicit-def: $vgpr45
	s_or_saveexec_b32 s23, s23
	v_mov_b32_e32 v15, s22
	s_xor_b32 exec_lo, exec_lo, s23
	s_cbranch_execz .LBB6_3957
.LBB6_4532:                             ;   in Loop: Header=BB6_3059 Depth=2
	v_cmp_ne_u16_e32 vcc_lo, 0, v45
	v_mov_b32_e32 v15, 0
	s_and_not1_b32 s7, s7, exec_lo
	s_and_b32 s22, vcc_lo, exec_lo
	s_delay_alu instid0(SALU_CYCLE_1)
	s_or_b32 s7, s7, s22
	s_or_b32 exec_lo, exec_lo, s23
	s_and_saveexec_b32 s22, s7
	s_cbranch_execnz .LBB6_3958
	s_branch .LBB6_3959
.LBB6_4533:                             ;   in Loop: Header=BB6_3059 Depth=2
	s_mov_b32 s7, -1
	s_mov_b32 s24, exec_lo
                                        ; implicit-def: $sgpr22
	v_cmpx_eq_u16_e32 0x80, v46
; %bb.4534:                             ;   in Loop: Header=BB6_3059 Depth=2
	s_mov_b32 s22, 0x7f800001
	s_xor_b32 s7, exec_lo, -1
; %bb.4535:                             ;   in Loop: Header=BB6_3059 Depth=2
	s_or_b32 exec_lo, exec_lo, s24
	s_delay_alu instid0(SALU_CYCLE_1)
	s_and_b32 s7, s7, exec_lo
                                        ; implicit-def: $vgpr46
	s_or_saveexec_b32 s23, s23
	v_mov_b32_e32 v45, s22
	s_xor_b32 exec_lo, exec_lo, s23
	s_cbranch_execz .LBB6_3961
.LBB6_4536:                             ;   in Loop: Header=BB6_3059 Depth=2
	v_cmp_ne_u16_e32 vcc_lo, 0, v46
	v_mov_b32_e32 v45, 0
	s_and_not1_b32 s7, s7, exec_lo
	s_and_b32 s22, vcc_lo, exec_lo
	s_delay_alu instid0(SALU_CYCLE_1)
	s_or_b32 s7, s7, s22
	s_or_b32 exec_lo, exec_lo, s23
	s_and_saveexec_b32 s22, s7
	s_cbranch_execnz .LBB6_3962
	s_branch .LBB6_3963
.LBB6_4537:                             ;   in Loop: Header=BB6_3059 Depth=2
	s_mov_b32 s7, -1
	s_mov_b32 s24, exec_lo
                                        ; implicit-def: $sgpr22
	v_cmpx_eq_u16_e32 0x80, v46
; %bb.4538:                             ;   in Loop: Header=BB6_3059 Depth=2
	s_mov_b32 s22, 0x7f800001
	s_xor_b32 s7, exec_lo, -1
; %bb.4539:                             ;   in Loop: Header=BB6_3059 Depth=2
	s_or_b32 exec_lo, exec_lo, s24
	s_delay_alu instid0(SALU_CYCLE_1)
	s_and_b32 s7, s7, exec_lo
	s_or_saveexec_b32 s23, s23
	v_mov_b32_e32 v45, s22
	s_xor_b32 exec_lo, exec_lo, s23
	s_cbranch_execz .LBB6_3973
.LBB6_4540:                             ;   in Loop: Header=BB6_3059 Depth=2
	v_cmp_ne_u16_e32 vcc_lo, 0, v46
	v_mov_b32_e32 v45, 0
	s_and_not1_b32 s7, s7, exec_lo
	s_and_b32 s22, vcc_lo, exec_lo
	s_delay_alu instid0(SALU_CYCLE_1)
	s_or_b32 s7, s7, s22
	s_or_b32 exec_lo, exec_lo, s23
	s_and_saveexec_b32 s22, s7
	s_cbranch_execnz .LBB6_3974
	s_branch .LBB6_3975
.LBB6_4541:                             ;   in Loop: Header=BB6_3059 Depth=2
	s_mov_b32 s7, -1
	s_mov_b32 s24, exec_lo
                                        ; implicit-def: $sgpr22
	v_cmpx_eq_u16_e32 0x80, v46
; %bb.4542:                             ;   in Loop: Header=BB6_3059 Depth=2
	s_mov_b32 s22, 0x7f800001
	s_xor_b32 s7, exec_lo, -1
; %bb.4543:                             ;   in Loop: Header=BB6_3059 Depth=2
	s_or_b32 exec_lo, exec_lo, s24
	s_delay_alu instid0(SALU_CYCLE_1)
	s_and_b32 s7, s7, exec_lo
	s_or_saveexec_b32 s23, s23
	v_mov_b32_e32 v47, s22
	s_xor_b32 exec_lo, exec_lo, s23
	s_cbranch_execz .LBB6_3977
.LBB6_4544:                             ;   in Loop: Header=BB6_3059 Depth=2
	v_cmp_ne_u16_e32 vcc_lo, 0, v46
	v_mov_b32_e32 v47, 0
	s_and_not1_b32 s7, s7, exec_lo
	s_and_b32 s22, vcc_lo, exec_lo
	s_delay_alu instid0(SALU_CYCLE_1)
	s_or_b32 s7, s7, s22
	s_or_b32 exec_lo, exec_lo, s23
	s_and_saveexec_b32 s22, s7
	s_cbranch_execnz .LBB6_3978
	s_branch .LBB6_3979
.LBB6_4545:                             ;   in Loop: Header=BB6_3059 Depth=2
	s_mov_b32 s7, -1
	s_mov_b32 s24, exec_lo
                                        ; implicit-def: $sgpr22
	v_cmpx_eq_u16_e32 0x80, v56
; %bb.4546:                             ;   in Loop: Header=BB6_3059 Depth=2
	s_mov_b32 s22, 0x7f800001
	s_xor_b32 s7, exec_lo, -1
; %bb.4547:                             ;   in Loop: Header=BB6_3059 Depth=2
	s_or_b32 exec_lo, exec_lo, s24
	s_delay_alu instid0(SALU_CYCLE_1)
	s_and_b32 s7, s7, exec_lo
                                        ; implicit-def: $vgpr56
	s_or_saveexec_b32 s23, s23
	v_mov_b32_e32 v46, s22
	s_xor_b32 exec_lo, exec_lo, s23
	s_cbranch_execz .LBB6_3989
.LBB6_4548:                             ;   in Loop: Header=BB6_3059 Depth=2
	v_cmp_ne_u16_e32 vcc_lo, 0, v56
	v_mov_b32_e32 v46, 0
	s_and_not1_b32 s7, s7, exec_lo
	s_and_b32 s22, vcc_lo, exec_lo
	s_delay_alu instid0(SALU_CYCLE_1)
	s_or_b32 s7, s7, s22
	s_or_b32 exec_lo, exec_lo, s23
	s_and_saveexec_b32 s22, s7
	s_cbranch_execnz .LBB6_3990
	s_branch .LBB6_3991
.LBB6_4549:                             ;   in Loop: Header=BB6_3059 Depth=2
	s_mov_b32 s7, -1
	s_mov_b32 s24, exec_lo
                                        ; implicit-def: $sgpr22
	v_cmpx_eq_u16_e32 0x80, v57
; %bb.4550:                             ;   in Loop: Header=BB6_3059 Depth=2
	s_mov_b32 s22, 0x7f800001
	s_xor_b32 s7, exec_lo, -1
; %bb.4551:                             ;   in Loop: Header=BB6_3059 Depth=2
	s_or_b32 exec_lo, exec_lo, s24
	s_delay_alu instid0(SALU_CYCLE_1)
	s_and_b32 s7, s7, exec_lo
                                        ; implicit-def: $vgpr57
	s_or_saveexec_b32 s23, s23
	v_mov_b32_e32 v56, s22
	s_xor_b32 exec_lo, exec_lo, s23
	s_cbranch_execz .LBB6_3993
.LBB6_4552:                             ;   in Loop: Header=BB6_3059 Depth=2
	v_cmp_ne_u16_e32 vcc_lo, 0, v57
	v_mov_b32_e32 v56, 0
	s_and_not1_b32 s7, s7, exec_lo
	s_and_b32 s22, vcc_lo, exec_lo
	s_delay_alu instid0(SALU_CYCLE_1)
	s_or_b32 s7, s7, s22
	s_or_b32 exec_lo, exec_lo, s23
	s_and_saveexec_b32 s22, s7
	s_cbranch_execnz .LBB6_3994
	s_branch .LBB6_3995
.LBB6_4553:                             ;   in Loop: Header=BB6_3059 Depth=2
	s_mov_b32 s7, -1
	s_mov_b32 s24, exec_lo
                                        ; implicit-def: $sgpr22
	v_cmpx_eq_u16_e32 0x80, v56
; %bb.4554:                             ;   in Loop: Header=BB6_3059 Depth=2
	s_mov_b32 s22, 0x7f800001
	s_xor_b32 s7, exec_lo, -1
; %bb.4555:                             ;   in Loop: Header=BB6_3059 Depth=2
	s_or_b32 exec_lo, exec_lo, s24
	s_delay_alu instid0(SALU_CYCLE_1)
	s_and_b32 s7, s7, exec_lo
	s_or_saveexec_b32 s23, s23
	v_mov_b32_e32 v47, s22
	s_xor_b32 exec_lo, exec_lo, s23
	s_cbranch_execz .LBB6_4005
.LBB6_4556:                             ;   in Loop: Header=BB6_3059 Depth=2
	v_cmp_ne_u16_e32 vcc_lo, 0, v56
	v_mov_b32_e32 v47, 0
	s_and_not1_b32 s7, s7, exec_lo
	s_and_b32 s22, vcc_lo, exec_lo
	s_delay_alu instid0(SALU_CYCLE_1)
	s_or_b32 s7, s7, s22
	s_or_b32 exec_lo, exec_lo, s23
	s_and_saveexec_b32 s22, s7
	s_cbranch_execnz .LBB6_4006
	s_branch .LBB6_4007
.LBB6_4557:                             ;   in Loop: Header=BB6_3059 Depth=2
	s_mov_b32 s7, -1
	s_mov_b32 s24, exec_lo
                                        ; implicit-def: $sgpr22
	v_cmpx_eq_u16_e32 0x80, v16
; %bb.4558:                             ;   in Loop: Header=BB6_3059 Depth=2
	s_mov_b32 s22, 0x7f800001
	s_xor_b32 s7, exec_lo, -1
; %bb.4559:                             ;   in Loop: Header=BB6_3059 Depth=2
	s_or_b32 exec_lo, exec_lo, s24
	s_delay_alu instid0(SALU_CYCLE_1)
	s_and_b32 s7, s7, exec_lo
	s_or_saveexec_b32 s23, s23
	v_mov_b32_e32 v56, s22
	s_xor_b32 exec_lo, exec_lo, s23
	s_cbranch_execz .LBB6_4009
.LBB6_4560:                             ;   in Loop: Header=BB6_3059 Depth=2
	v_cmp_ne_u16_e32 vcc_lo, 0, v16
	v_mov_b32_e32 v56, 0
	s_and_not1_b32 s7, s7, exec_lo
	s_and_b32 s22, vcc_lo, exec_lo
	s_delay_alu instid0(SALU_CYCLE_1)
	s_or_b32 s7, s7, s22
	s_or_b32 exec_lo, exec_lo, s23
	s_and_saveexec_b32 s22, s7
	s_cbranch_execnz .LBB6_4010
	s_branch .LBB6_4011
.LBB6_4561:                             ;   in Loop: Header=BB6_3059 Depth=2
	s_mov_b32 s7, -1
	s_mov_b32 s24, exec_lo
                                        ; implicit-def: $sgpr22
	v_cmpx_eq_u16_e32 0x80, v47
; %bb.4562:                             ;   in Loop: Header=BB6_3059 Depth=2
	s_mov_b32 s22, 0x7f800001
	s_xor_b32 s7, exec_lo, -1
; %bb.4563:                             ;   in Loop: Header=BB6_3059 Depth=2
	s_or_b32 exec_lo, exec_lo, s24
	s_delay_alu instid0(SALU_CYCLE_1)
	s_and_b32 s7, s7, exec_lo
                                        ; implicit-def: $vgpr47
	s_or_saveexec_b32 s23, s23
	v_mov_b32_e32 v16, s22
	s_xor_b32 exec_lo, exec_lo, s23
	s_cbranch_execz .LBB6_4021
.LBB6_4564:                             ;   in Loop: Header=BB6_3059 Depth=2
	v_cmp_ne_u16_e32 vcc_lo, 0, v47
	v_mov_b32_e32 v16, 0
	s_and_not1_b32 s7, s7, exec_lo
	s_and_b32 s22, vcc_lo, exec_lo
	s_delay_alu instid0(SALU_CYCLE_1)
	s_or_b32 s7, s7, s22
	s_or_b32 exec_lo, exec_lo, s23
	s_and_saveexec_b32 s22, s7
	s_cbranch_execnz .LBB6_4022
	s_branch .LBB6_4023
.LBB6_4565:                             ;   in Loop: Header=BB6_3059 Depth=2
	s_mov_b32 s7, -1
	s_mov_b32 s24, exec_lo
                                        ; implicit-def: $sgpr22
	v_cmpx_eq_u16_e32 0x80, v56
; %bb.4566:                             ;   in Loop: Header=BB6_3059 Depth=2
	s_mov_b32 s22, 0x7f800001
	s_xor_b32 s7, exec_lo, -1
; %bb.4567:                             ;   in Loop: Header=BB6_3059 Depth=2
	s_or_b32 exec_lo, exec_lo, s24
	s_delay_alu instid0(SALU_CYCLE_1)
	s_and_b32 s7, s7, exec_lo
                                        ; implicit-def: $vgpr56
	s_or_saveexec_b32 s23, s23
	v_mov_b32_e32 v47, s22
	s_xor_b32 exec_lo, exec_lo, s23
	s_cbranch_execz .LBB6_4025
.LBB6_4568:                             ;   in Loop: Header=BB6_3059 Depth=2
	v_cmp_ne_u16_e32 vcc_lo, 0, v56
	v_mov_b32_e32 v47, 0
	s_and_not1_b32 s7, s7, exec_lo
	s_and_b32 s22, vcc_lo, exec_lo
	s_delay_alu instid0(SALU_CYCLE_1)
	s_or_b32 s7, s7, s22
	s_or_b32 exec_lo, exec_lo, s23
	s_and_saveexec_b32 s22, s7
	s_cbranch_execnz .LBB6_4026
	s_branch .LBB6_4027
.LBB6_4569:                             ;   in Loop: Header=BB6_3059 Depth=2
	s_mov_b32 s7, -1
	s_mov_b32 s24, exec_lo
                                        ; implicit-def: $sgpr22
	v_cmpx_eq_u16_e32 0x80, v56
; %bb.4570:                             ;   in Loop: Header=BB6_3059 Depth=2
	s_mov_b32 s22, 0x7f800001
	s_xor_b32 s7, exec_lo, -1
; %bb.4571:                             ;   in Loop: Header=BB6_3059 Depth=2
	s_or_b32 exec_lo, exec_lo, s24
	s_delay_alu instid0(SALU_CYCLE_1)
	s_and_b32 s7, s7, exec_lo
	s_or_saveexec_b32 s23, s23
	v_mov_b32_e32 v47, s22
	s_xor_b32 exec_lo, exec_lo, s23
	s_cbranch_execz .LBB6_4037
.LBB6_4572:                             ;   in Loop: Header=BB6_3059 Depth=2
	v_cmp_ne_u16_e32 vcc_lo, 0, v56
	v_mov_b32_e32 v47, 0
	s_and_not1_b32 s7, s7, exec_lo
	s_and_b32 s22, vcc_lo, exec_lo
	s_delay_alu instid0(SALU_CYCLE_1)
	s_or_b32 s7, s7, s22
	s_or_b32 exec_lo, exec_lo, s23
	s_and_saveexec_b32 s22, s7
	s_cbranch_execnz .LBB6_4038
	s_branch .LBB6_4039
.LBB6_4573:                             ;   in Loop: Header=BB6_3059 Depth=2
	s_mov_b32 s7, -1
	s_mov_b32 s24, exec_lo
                                        ; implicit-def: $sgpr22
	v_cmpx_eq_u16_e32 0x80, v56
; %bb.4574:                             ;   in Loop: Header=BB6_3059 Depth=2
	s_mov_b32 s22, 0x7f800001
	s_xor_b32 s7, exec_lo, -1
; %bb.4575:                             ;   in Loop: Header=BB6_3059 Depth=2
	s_or_b32 exec_lo, exec_lo, s24
	s_delay_alu instid0(SALU_CYCLE_1)
	s_and_b32 s7, s7, exec_lo
	s_or_saveexec_b32 s23, s23
	v_mov_b32_e32 v57, s22
	s_xor_b32 exec_lo, exec_lo, s23
	s_cbranch_execz .LBB6_4041
.LBB6_4576:                             ;   in Loop: Header=BB6_3059 Depth=2
	v_cmp_ne_u16_e32 vcc_lo, 0, v56
	v_mov_b32_e32 v57, 0
	s_and_not1_b32 s7, s7, exec_lo
	s_and_b32 s22, vcc_lo, exec_lo
	s_delay_alu instid0(SALU_CYCLE_1)
	s_or_b32 s7, s7, s22
	s_or_b32 exec_lo, exec_lo, s23
	s_and_saveexec_b32 s22, s7
	s_cbranch_execnz .LBB6_4042
	s_branch .LBB6_4043
.LBB6_4577:                             ;   in Loop: Header=BB6_3059 Depth=2
	s_mov_b32 s7, -1
	s_mov_b32 s24, exec_lo
                                        ; implicit-def: $sgpr22
	v_cmpx_eq_u16_e32 0x80, v58
; %bb.4578:                             ;   in Loop: Header=BB6_3059 Depth=2
	s_mov_b32 s22, 0x7f800001
	s_xor_b32 s7, exec_lo, -1
; %bb.4579:                             ;   in Loop: Header=BB6_3059 Depth=2
	s_or_b32 exec_lo, exec_lo, s24
	s_delay_alu instid0(SALU_CYCLE_1)
	s_and_b32 s7, s7, exec_lo
                                        ; implicit-def: $vgpr58
	s_or_saveexec_b32 s23, s23
	v_mov_b32_e32 v56, s22
	s_xor_b32 exec_lo, exec_lo, s23
	s_cbranch_execz .LBB6_4053
.LBB6_4580:                             ;   in Loop: Header=BB6_3059 Depth=2
	v_cmp_ne_u16_e32 vcc_lo, 0, v58
	v_mov_b32_e32 v56, 0
	s_and_not1_b32 s7, s7, exec_lo
	s_and_b32 s22, vcc_lo, exec_lo
	s_delay_alu instid0(SALU_CYCLE_1)
	s_or_b32 s7, s7, s22
	s_or_b32 exec_lo, exec_lo, s23
	s_and_saveexec_b32 s22, s7
	s_cbranch_execnz .LBB6_4054
	s_branch .LBB6_4055
.LBB6_4581:                             ;   in Loop: Header=BB6_3059 Depth=2
	s_mov_b32 s7, -1
	s_mov_b32 s24, exec_lo
                                        ; implicit-def: $sgpr22
	v_cmpx_eq_u16_e32 0x80, v59
; %bb.4582:                             ;   in Loop: Header=BB6_3059 Depth=2
	s_mov_b32 s22, 0x7f800001
	s_xor_b32 s7, exec_lo, -1
; %bb.4583:                             ;   in Loop: Header=BB6_3059 Depth=2
	s_or_b32 exec_lo, exec_lo, s24
	s_delay_alu instid0(SALU_CYCLE_1)
	s_and_b32 s7, s7, exec_lo
                                        ; implicit-def: $vgpr59
	s_or_saveexec_b32 s23, s23
	v_mov_b32_e32 v58, s22
	s_xor_b32 exec_lo, exec_lo, s23
	s_cbranch_execz .LBB6_4057
.LBB6_4584:                             ;   in Loop: Header=BB6_3059 Depth=2
	v_cmp_ne_u16_e32 vcc_lo, 0, v59
	v_mov_b32_e32 v58, 0
	s_and_not1_b32 s7, s7, exec_lo
	s_and_b32 s22, vcc_lo, exec_lo
	s_delay_alu instid0(SALU_CYCLE_1)
	s_or_b32 s7, s7, s22
	s_or_b32 exec_lo, exec_lo, s23
	s_and_saveexec_b32 s22, s7
	s_cbranch_execnz .LBB6_4058
	s_branch .LBB6_4059
.LBB6_4585:                             ;   in Loop: Header=BB6_3059 Depth=2
	s_mov_b32 s7, -1
	s_mov_b32 s24, exec_lo
                                        ; implicit-def: $sgpr22
	v_cmpx_eq_u16_e32 0x80, v58
; %bb.4586:                             ;   in Loop: Header=BB6_3059 Depth=2
	s_mov_b32 s22, 0x7f800001
	s_xor_b32 s7, exec_lo, -1
; %bb.4587:                             ;   in Loop: Header=BB6_3059 Depth=2
	s_or_b32 exec_lo, exec_lo, s24
	s_delay_alu instid0(SALU_CYCLE_1)
	s_and_b32 s7, s7, exec_lo
	s_or_saveexec_b32 s23, s23
	v_mov_b32_e32 v57, s22
	s_xor_b32 exec_lo, exec_lo, s23
	s_cbranch_execz .LBB6_4069
.LBB6_4588:                             ;   in Loop: Header=BB6_3059 Depth=2
	v_cmp_ne_u16_e32 vcc_lo, 0, v58
	v_mov_b32_e32 v57, 0
	s_and_not1_b32 s7, s7, exec_lo
	s_and_b32 s22, vcc_lo, exec_lo
	s_delay_alu instid0(SALU_CYCLE_1)
	s_or_b32 s7, s7, s22
	s_or_b32 exec_lo, exec_lo, s23
	s_and_saveexec_b32 s22, s7
	s_cbranch_execnz .LBB6_4070
	s_branch .LBB6_4071
.LBB6_4589:                             ;   in Loop: Header=BB6_3059 Depth=2
	s_mov_b32 s7, -1
	s_mov_b32 s24, exec_lo
                                        ; implicit-def: $sgpr22
	v_cmpx_eq_u16_e32 0x80, v17
; %bb.4590:                             ;   in Loop: Header=BB6_3059 Depth=2
	s_mov_b32 s22, 0x7f800001
	s_xor_b32 s7, exec_lo, -1
; %bb.4591:                             ;   in Loop: Header=BB6_3059 Depth=2
	s_or_b32 exec_lo, exec_lo, s24
	s_delay_alu instid0(SALU_CYCLE_1)
	s_and_b32 s7, s7, exec_lo
	s_or_saveexec_b32 s23, s23
	v_mov_b32_e32 v58, s22
	s_xor_b32 exec_lo, exec_lo, s23
	s_cbranch_execz .LBB6_4073
.LBB6_4592:                             ;   in Loop: Header=BB6_3059 Depth=2
	v_cmp_ne_u16_e32 vcc_lo, 0, v17
	v_mov_b32_e32 v58, 0
	s_and_not1_b32 s7, s7, exec_lo
	s_and_b32 s22, vcc_lo, exec_lo
	s_delay_alu instid0(SALU_CYCLE_1)
	s_or_b32 s7, s7, s22
	s_or_b32 exec_lo, exec_lo, s23
	s_and_saveexec_b32 s22, s7
	s_cbranch_execnz .LBB6_4074
	s_branch .LBB6_4075
.LBB6_4593:                             ;   in Loop: Header=BB6_2973 Depth=1
	s_or_b32 exec_lo, exec_lo, s21
.LBB6_4594:                             ;   in Loop: Header=BB6_2973 Depth=1
	s_delay_alu instid0(SALU_CYCLE_1) | instskip(SKIP_3) | instid1(VALU_DEP_1)
	s_or_b32 exec_lo, exec_lo, s10
	v_dual_mov_b32 v16, 0 :: v_dual_and_b32 v11, 0x3ffff800, v134
	s_mov_b32 s7, 0
	s_mov_b32 s21, exec_lo
                                        ; implicit-def: $vgpr17
                                        ; implicit-def: $vgpr18
                                        ; implicit-def: $vgpr10
	v_cmpx_ne_u32_e64 v11, v134
	s_cbranch_execz .LBB6_4987
; %bb.4595:                             ;   in Loop: Header=BB6_2973 Depth=1
	v_lshlrev_b32_e32 v10, 5, v135
	v_bfe_u32 v15, v134, 9, 2
	s_mov_b32 s22, exec_lo
	s_delay_alu instid0(VALU_DEP_2) | instskip(NEXT) | instid1(VALU_DEP_1)
	v_sub_nc_u32_e32 v10, v102, v10
	v_ashrrev_i32_e32 v12, 31, v10
	s_delay_alu instid0(VALU_DEP_1) | instskip(NEXT) | instid1(VALU_DEP_1)
	v_lshrrev_b32_e32 v12, 27, v12
	v_add_nc_u32_e32 v12, v10, v12
	s_delay_alu instid0(VALU_DEP_1) | instskip(SKIP_1) | instid1(VALU_DEP_2)
	v_and_b32_e32 v13, 0xffffffe0, v12
	v_ashrrev_i32_e32 v12, 5, v12
	v_sub_nc_u32_e32 v24, v10, v13
	v_and_b32_e32 v13, 0x7ff, v134
	v_and_b32_e32 v10, 0x600, v134
	s_delay_alu instid0(VALU_DEP_3) | instskip(NEXT) | instid1(VALU_DEP_2)
	v_lshlrev_b32_e32 v14, 4, v24
	v_sub_nc_u32_e32 v25, v13, v10
	s_delay_alu instid0(VALU_DEP_2) | instskip(NEXT) | instid1(VALU_DEP_2)
	v_lshl_add_u32 v10, v12, 9, v14
	v_cmp_lt_i32_e32 vcc_lo, 15, v25
	s_delay_alu instid0(VALU_DEP_2) | instskip(SKIP_1) | instid1(VALU_DEP_1)
	v_sub_nc_u32_e32 v27, v13, v10
	v_add_co_ci_u32_e64 v14, s7, 0, v15, vcc_lo
	v_sub_nc_u32_e32 v26, v14, v12
	s_delay_alu instid0(VALU_DEP_3)
	v_cmpx_lt_i32_e32 15, v27
	s_cbranch_execz .LBB6_4984
; %bb.4596:                             ;   in Loop: Header=BB6_2973 Depth=1
	s_cbranch_execnz .LBB6_6327
; %bb.4597:                             ;   in Loop: Header=BB6_2973 Depth=1
	ds_load_b128 v[12:15], v0
	ds_load_b64 v[16:17], v0
	v_add_nc_u32_e32 v10, v10, v11
	s_mov_b32 s23, 0
	s_delay_alu instid0(VALU_DEP_1) | instskip(SKIP_2) | instid1(VALU_DEP_1)
	v_ashrrev_i32_e32 v11, 31, v10
	s_waitcnt lgkmcnt(1)
	v_add_co_u32 v18, s7, v12, v10
	v_add_co_ci_u32_e64 v19, s7, v13, v11, s7
	v_add_co_u32 v20, s7, v14, v10
	s_delay_alu instid0(VALU_DEP_1) | instskip(SKIP_2) | instid1(VALU_DEP_1)
	v_add_co_ci_u32_e64 v21, s7, v15, v11, s7
	s_waitcnt lgkmcnt(0)
	v_add_co_u32 v22, s7, v16, v10
	v_add_co_ci_u32_e64 v23, s7, v17, v11, s7
	s_branch .LBB6_4601
.LBB6_4598:                             ;   in Loop: Header=BB6_4601 Depth=2
	s_or_b32 exec_lo, exec_lo, s7
	s_delay_alu instid0(VALU_DEP_1) | instskip(NEXT) | instid1(VALU_DEP_2)
	v_lshrrev_b32_e32 v39, 21, v39
	v_min_i32_e32 v48, 31, v17
	v_cmp_gt_i32_e64 s7, 32, v17
	v_lshrrev_b32_e32 v13, 24, v13
	s_delay_alu instid0(VALU_DEP_3) | instskip(NEXT) | instid1(VALU_DEP_3)
	v_lshlrev_b32_e32 v48, 2, v48
	v_cndmask_b32_e64 v39, 3, v39, s7
	s_delay_alu instid0(VALU_DEP_3) | instskip(NEXT) | instid1(VALU_DEP_3)
	v_and_b32_e32 v13, 0x80, v13
	v_and_b32_e32 v48, 0xfc, v48
	s_delay_alu instid0(VALU_DEP_3) | instskip(SKIP_1) | instid1(VALU_DEP_2)
	v_and_b32_e32 v49, 3, v39
	v_or_b32_e32 v17, v17, v39
	v_or3_b32 v13, v13, v48, v49
	s_delay_alu instid0(VALU_DEP_2) | instskip(NEXT) | instid1(VALU_DEP_2)
	v_cmp_ne_u32_e64 s7, 0, v17
	v_lshlrev_b32_e32 v13, 8, v13
	s_delay_alu instid0(VALU_DEP_1)
	v_cndmask_b32_e64 v17, 0, v13, s7
.LBB6_4599:                             ;   in Loop: Header=BB6_4601 Depth=2
	s_or_b32 exec_lo, exec_lo, s25
.LBB6_4600:                             ;   in Loop: Header=BB6_4601 Depth=2
	s_delay_alu instid0(SALU_CYCLE_1)
	s_or_b32 exec_lo, exec_lo, s24
	v_or_b32_e32 v11, v11, v34
	v_and_b32_e32 v13, 0xff, v32
	v_lshlrev_b32_e32 v29, 8, v29
	v_and_b32_e32 v32, 0xff, v36
	v_lshlrev_b32_e32 v34, 8, v35
	v_or_b32_e32 v17, v17, v38
	v_and_b32_e32 v14, 0xff, v14
	v_lshlrev_b32_e32 v10, 24, v10
	v_lshlrev_b32_e32 v11, 16, v11
	;; [unrolled: 1-line block ×3, first 2 shown]
	v_perm_b32 v28, v29, v28, 0xc0c0500
	v_lshlrev_b32_e32 v12, 24, v12
	v_lshlrev_b32_e32 v29, 16, v32
	v_perm_b32 v15, v34, v15, 0xc0c0500
	v_and_b32_e32 v16, 0xff, v16
	v_lshlrev_b32_e32 v17, 16, v17
	v_add_co_u32 v18, s7, v18, v118
	v_or3_b32 v11, v33, v14, v11
	v_or3_b32 v10, v10, v13, v28
	;; [unrolled: 1-line block ×4, first 2 shown]
	v_sub_nc_u32_e32 v27, v27, v101
	v_add_co_ci_u32_e64 v19, s7, v19, v119, s7
	v_add_co_u32 v20, s7, v20, v118
	s_delay_alu instid0(VALU_DEP_1) | instskip(SKIP_3) | instid1(VALU_DEP_1)
	v_add_co_ci_u32_e64 v21, s7, v21, v119, s7
	global_store_b128 v[22:23], v[10:13], off glc slc dlc
	v_cmp_gt_i32_e64 s7, 16, v27
	v_add_co_u32 v22, s10, v22, v118
	v_add_co_ci_u32_e64 v23, s10, v23, v119, s10
	v_sub_nc_u32_e32 v26, v26, v87
	s_delay_alu instid0(VALU_DEP_4) | instskip(NEXT) | instid1(SALU_CYCLE_1)
	s_or_b32 s23, s7, s23
	s_and_not1_b32 exec_lo, exec_lo, s23
	s_cbranch_execz .LBB6_4983
.LBB6_4601:                             ;   Parent Loop BB6_2973 Depth=1
                                        ; =>  This Inner Loop Header: Depth=2
	global_load_b128 v[14:17], v[18:19], off slc dlc
	global_load_b128 v[10:13], v[20:21], off slc dlc
	s_mov_b32 s10, 0
	s_mov_b32 s25, exec_lo
                                        ; implicit-def: $sgpr24
	s_waitcnt vmcnt(1)
	v_and_b32_e32 v29, 0xff, v14
	s_delay_alu instid0(VALU_DEP_1)
	v_cmpx_lt_i16_e32 0x7f, v29
	s_xor_b32 s25, exec_lo, s25
	s_cbranch_execnz .LBB6_4855
; %bb.4602:                             ;   in Loop: Header=BB6_4601 Depth=2
	s_or_saveexec_b32 s25, s25
	v_mov_b32_e32 v28, s24
	s_xor_b32 exec_lo, exec_lo, s25
	s_cbranch_execnz .LBB6_4858
.LBB6_4603:                             ;   in Loop: Header=BB6_4601 Depth=2
	s_or_b32 exec_lo, exec_lo, s25
	s_and_saveexec_b32 s24, s10
	s_cbranch_execz .LBB6_4605
.LBB6_4604:                             ;   in Loop: Header=BB6_4601 Depth=2
	v_and_b32_e32 v28, 3, v14
	v_bfe_u32 v33, v14, 2, 5
	v_lshlrev_b32_e32 v34, 24, v14
	s_delay_alu instid0(VALU_DEP_3) | instskip(NEXT) | instid1(VALU_DEP_3)
	v_clz_i32_u32_e32 v29, v28
	v_cmp_eq_u32_e64 s7, 0, v33
	s_delay_alu instid0(VALU_DEP_2) | instskip(NEXT) | instid1(VALU_DEP_1)
	v_min_u32_e32 v29, 32, v29
	v_subrev_nc_u32_e32 v32, 29, v29
	v_sub_nc_u32_e32 v29, 30, v29
	s_delay_alu instid0(VALU_DEP_2) | instskip(NEXT) | instid1(VALU_DEP_2)
	v_lshlrev_b32_e32 v32, v32, v14
	v_cndmask_b32_e64 v29, v33, v29, s7
	s_delay_alu instid0(VALU_DEP_2) | instskip(NEXT) | instid1(VALU_DEP_2)
	v_and_b32_e32 v32, 3, v32
	v_lshl_add_u32 v29, v29, 23, 0x37800000
	s_delay_alu instid0(VALU_DEP_2) | instskip(SKIP_1) | instid1(VALU_DEP_2)
	v_cndmask_b32_e64 v28, v28, v32, s7
	v_and_b32_e32 v32, 0x80000000, v34
	v_lshlrev_b32_e32 v28, 21, v28
	s_delay_alu instid0(VALU_DEP_1)
	v_or3_b32 v28, v32, v29, v28
.LBB6_4605:                             ;   in Loop: Header=BB6_4601 Depth=2
	s_or_b32 exec_lo, exec_lo, s24
	s_waitcnt vmcnt(0)
	v_and_b32_e32 v32, 0xff, v10
	s_mov_b32 s10, 0
	s_mov_b32 s25, exec_lo
                                        ; implicit-def: $sgpr24
	s_delay_alu instid0(VALU_DEP_1)
	v_cmpx_lt_i16_e32 0x7f, v32
	s_xor_b32 s25, exec_lo, s25
	s_cbranch_execnz .LBB6_4859
; %bb.4606:                             ;   in Loop: Header=BB6_4601 Depth=2
	s_or_saveexec_b32 s25, s25
	v_mov_b32_e32 v29, s24
	s_xor_b32 exec_lo, exec_lo, s25
	s_cbranch_execnz .LBB6_4862
.LBB6_4607:                             ;   in Loop: Header=BB6_4601 Depth=2
	s_or_b32 exec_lo, exec_lo, s25
	s_and_saveexec_b32 s24, s10
	s_cbranch_execz .LBB6_4609
.LBB6_4608:                             ;   in Loop: Header=BB6_4601 Depth=2
	v_and_b32_e32 v29, 3, v10
	v_bfe_u32 v34, v10, 2, 5
	v_lshlrev_b32_e32 v35, 24, v10
	s_delay_alu instid0(VALU_DEP_3) | instskip(NEXT) | instid1(VALU_DEP_3)
	v_clz_i32_u32_e32 v32, v29
	v_cmp_eq_u32_e64 s7, 0, v34
	s_delay_alu instid0(VALU_DEP_2) | instskip(NEXT) | instid1(VALU_DEP_1)
	v_min_u32_e32 v32, 32, v32
	v_subrev_nc_u32_e32 v33, 29, v32
	v_sub_nc_u32_e32 v32, 30, v32
	s_delay_alu instid0(VALU_DEP_2) | instskip(NEXT) | instid1(VALU_DEP_2)
	v_lshlrev_b32_e32 v33, v33, v10
	v_cndmask_b32_e64 v32, v34, v32, s7
	s_delay_alu instid0(VALU_DEP_2) | instskip(NEXT) | instid1(VALU_DEP_2)
	v_and_b32_e32 v33, 3, v33
	v_lshl_add_u32 v32, v32, 23, 0x37800000
	s_delay_alu instid0(VALU_DEP_2) | instskip(SKIP_1) | instid1(VALU_DEP_2)
	v_cndmask_b32_e64 v29, v29, v33, s7
	v_and_b32_e32 v33, 0x80000000, v35
	v_lshlrev_b32_e32 v29, 21, v29
	s_delay_alu instid0(VALU_DEP_1)
	v_or3_b32 v29, v33, v32, v29
.LBB6_4609:                             ;   in Loop: Header=BB6_4601 Depth=2
	s_or_b32 exec_lo, exec_lo, s24
	s_delay_alu instid0(VALU_DEP_1) | instskip(NEXT) | instid1(VALU_DEP_1)
	v_mul_f32_e32 v29, v28, v29
	v_and_b32_e32 v28, 0x7f800000, v29
	s_delay_alu instid0(VALU_DEP_1) | instskip(SKIP_1) | instid1(VALU_DEP_2)
	v_cmp_ne_u32_e64 s7, 0x7f800000, v28
	v_mov_b32_e32 v28, 0x80
	s_and_saveexec_b32 s24, s7
	s_cbranch_execz .LBB6_4617
; %bb.4610:                             ;   in Loop: Header=BB6_4601 Depth=2
	v_mov_b32_e32 v28, 0
	s_mov_b32 s25, exec_lo
	v_cmpx_ne_u32_e32 0, v29
	s_cbranch_execz .LBB6_4616
; %bb.4611:                             ;   in Loop: Header=BB6_4601 Depth=2
	v_bfe_u32 v28, v29, 23, 8
	v_and_b32_e32 v32, 0x7fffff, v29
	s_delay_alu instid0(VALU_DEP_2) | instskip(SKIP_1) | instid1(VALU_DEP_3)
	v_sub_nc_u32_e32 v33, 0x70, v28
	v_cmp_gt_u32_e64 s7, 0x71, v28
	v_or_b32_e32 v34, 0x800000, v32
	s_delay_alu instid0(VALU_DEP_2) | instskip(SKIP_2) | instid1(VALU_DEP_2)
	v_cndmask_b32_e64 v33, 0, v33, s7
	v_cmp_eq_u32_e64 s7, 0, v28
	v_add_nc_u32_e32 v28, 0xffffff91, v28
	v_cndmask_b32_e64 v33, v33, 0x6f, s7
	v_cndmask_b32_e64 v32, v34, v32, s7
	s_delay_alu instid0(VALU_DEP_3) | instskip(NEXT) | instid1(VALU_DEP_3)
	v_cndmask_b32_e64 v28, v28, 0xffffff92, s7
	v_lshl_add_u32 v34, 0x200000, v33, -1
	s_delay_alu instid0(VALU_DEP_3) | instskip(SKIP_1) | instid1(VALU_DEP_4)
	v_lshrrev_b32_e32 v35, v33, v32
	v_lshlrev_b32_e64 v37, v33, 0x100000
	v_add_nc_u32_e32 v33, v33, v28
	s_delay_alu instid0(VALU_DEP_4) | instskip(NEXT) | instid1(VALU_DEP_4)
	v_and_b32_e32 v32, v34, v32
	v_bfe_u32 v36, v35, 21, 1
	s_delay_alu instid0(VALU_DEP_2) | instskip(NEXT) | instid1(VALU_DEP_2)
	v_cmp_eq_u32_e64 s10, v32, v37
	v_add_nc_u32_e32 v34, -1, v36
	s_delay_alu instid0(VALU_DEP_1) | instskip(SKIP_2) | instid1(VALU_DEP_2)
	v_cndmask_b32_e64 v32, 0, v34, s10
	v_lshrrev_b32_e32 v34, 23, v35
	s_mov_b32 s10, exec_lo
	v_add_nc_u32_e32 v32, v32, v35
	s_delay_alu instid0(VALU_DEP_2) | instskip(NEXT) | instid1(VALU_DEP_2)
	v_xor_b32_e32 v34, 1, v34
	v_and_b32_e32 v28, 0x1fffff, v32
	s_delay_alu instid0(VALU_DEP_1) | instskip(NEXT) | instid1(VALU_DEP_3)
	v_add_nc_u32_e32 v32, v28, v35
                                        ; implicit-def: $vgpr28
	v_cmpx_ne_u32_e64 v33, v34
	s_xor_b32 s10, exec_lo, s10
; %bb.4612:                             ;   in Loop: Header=BB6_4601 Depth=2
	s_delay_alu instid0(VALU_DEP_2) | instskip(SKIP_1) | instid1(VALU_DEP_2)
	v_cmp_lt_u32_e64 s7, 0xffffff, v32
	v_sub_nc_u32_e32 v28, v33, v34
	v_cndmask_b32_e64 v33, 0, 1, s7
	s_delay_alu instid0(VALU_DEP_2) | instskip(NEXT) | instid1(VALU_DEP_2)
	v_add_co_ci_u32_e64 v28, s7, 0, v28, s7
	v_lshrrev_b32_e32 v32, v33, v32
; %bb.4613:                             ;   in Loop: Header=BB6_4601 Depth=2
	s_and_not1_saveexec_b32 s7, s10
; %bb.4614:                             ;   in Loop: Header=BB6_4601 Depth=2
	s_delay_alu instid0(VALU_DEP_1)
	v_bfe_u32 v28, v32, 23, 1
; %bb.4615:                             ;   in Loop: Header=BB6_4601 Depth=2
	s_or_b32 exec_lo, exec_lo, s7
	v_lshrrev_b32_e32 v32, 21, v32
	s_delay_alu instid0(VALU_DEP_2) | instskip(SKIP_2) | instid1(VALU_DEP_3)
	v_cmp_gt_i32_e64 s7, 32, v28
	v_lshrrev_b32_e32 v29, 24, v29
	v_min_i32_e32 v33, 31, v28
	v_cndmask_b32_e64 v32, 3, v32, s7
	s_delay_alu instid0(VALU_DEP_3) | instskip(NEXT) | instid1(VALU_DEP_3)
	v_and_b32_e32 v29, 0x80, v29
	v_lshlrev_b32_e32 v33, 2, v33
	s_delay_alu instid0(VALU_DEP_3) | instskip(SKIP_1) | instid1(VALU_DEP_2)
	v_and_b32_e32 v34, 3, v32
	v_or_b32_e32 v28, v28, v32
	v_or3_b32 v29, v33, v29, v34
	s_delay_alu instid0(VALU_DEP_2) | instskip(NEXT) | instid1(VALU_DEP_1)
	v_cmp_ne_u32_e64 s7, 0, v28
	v_cndmask_b32_e64 v28, 0, v29, s7
.LBB6_4616:                             ;   in Loop: Header=BB6_4601 Depth=2
	s_or_b32 exec_lo, exec_lo, s25
.LBB6_4617:                             ;   in Loop: Header=BB6_4601 Depth=2
	s_delay_alu instid0(SALU_CYCLE_1) | instskip(SKIP_3) | instid1(VALU_DEP_1)
	s_or_b32 exec_lo, exec_lo, s24
	v_lshrrev_b16 v32, 8, v14
	s_mov_b32 s10, 0
	s_mov_b32 s25, exec_lo
                                        ; implicit-def: $sgpr24
	v_cmpx_lt_i16_e32 0x7f, v32
	s_xor_b32 s25, exec_lo, s25
	s_cbranch_execnz .LBB6_4863
; %bb.4618:                             ;   in Loop: Header=BB6_4601 Depth=2
	s_or_saveexec_b32 s25, s25
	v_mov_b32_e32 v29, s24
	s_xor_b32 exec_lo, exec_lo, s25
	s_cbranch_execnz .LBB6_4866
.LBB6_4619:                             ;   in Loop: Header=BB6_4601 Depth=2
	s_or_b32 exec_lo, exec_lo, s25
	s_and_saveexec_b32 s24, s10
	s_cbranch_execz .LBB6_4621
.LBB6_4620:                             ;   in Loop: Header=BB6_4601 Depth=2
	v_and_b32_e32 v29, 0xffff, v32
	v_lshlrev_b32_e32 v32, 24, v32
	s_delay_alu instid0(VALU_DEP_2) | instskip(NEXT) | instid1(VALU_DEP_2)
	v_and_b32_e32 v33, 3, v29
	v_and_b32_e32 v32, 0x80000000, v32
	s_delay_alu instid0(VALU_DEP_2) | instskip(NEXT) | instid1(VALU_DEP_1)
	v_clz_i32_u32_e32 v34, v33
	v_min_u32_e32 v34, 32, v34
	s_delay_alu instid0(VALU_DEP_1) | instskip(SKIP_1) | instid1(VALU_DEP_2)
	v_subrev_nc_u32_e32 v35, 29, v34
	v_sub_nc_u32_e32 v34, 30, v34
	v_lshlrev_b32_e32 v35, v35, v29
	v_bfe_u32 v29, v29, 2, 5
	s_delay_alu instid0(VALU_DEP_2) | instskip(NEXT) | instid1(VALU_DEP_2)
	v_and_b32_e32 v35, 3, v35
	v_cmp_eq_u32_e64 s7, 0, v29
	s_delay_alu instid0(VALU_DEP_1) | instskip(NEXT) | instid1(VALU_DEP_3)
	v_cndmask_b32_e64 v29, v29, v34, s7
	v_cndmask_b32_e64 v33, v33, v35, s7
	s_delay_alu instid0(VALU_DEP_2) | instskip(NEXT) | instid1(VALU_DEP_2)
	v_lshl_add_u32 v29, v29, 23, 0x37800000
	v_lshlrev_b32_e32 v33, 21, v33
	s_delay_alu instid0(VALU_DEP_1)
	v_or3_b32 v29, v32, v29, v33
.LBB6_4621:                             ;   in Loop: Header=BB6_4601 Depth=2
	s_or_b32 exec_lo, exec_lo, s24
	v_lshrrev_b16 v32, 8, v10
	s_mov_b32 s10, 0
	s_mov_b32 s25, exec_lo
                                        ; implicit-def: $sgpr24
	s_delay_alu instid0(VALU_DEP_1)
	v_cmpx_lt_i16_e32 0x7f, v32
	s_xor_b32 s25, exec_lo, s25
	s_cbranch_execnz .LBB6_4867
; %bb.4622:                             ;   in Loop: Header=BB6_4601 Depth=2
	s_or_saveexec_b32 s25, s25
	v_mov_b32_e32 v33, s24
	s_xor_b32 exec_lo, exec_lo, s25
	s_cbranch_execnz .LBB6_4870
.LBB6_4623:                             ;   in Loop: Header=BB6_4601 Depth=2
	s_or_b32 exec_lo, exec_lo, s25
	s_and_saveexec_b32 s24, s10
	s_cbranch_execz .LBB6_4625
.LBB6_4624:                             ;   in Loop: Header=BB6_4601 Depth=2
	v_and_b32_e32 v33, 0xffff, v32
	v_lshlrev_b32_e32 v32, 24, v32
	s_delay_alu instid0(VALU_DEP_2) | instskip(NEXT) | instid1(VALU_DEP_2)
	v_and_b32_e32 v34, 3, v33
	v_and_b32_e32 v32, 0x80000000, v32
	s_delay_alu instid0(VALU_DEP_2) | instskip(NEXT) | instid1(VALU_DEP_1)
	v_clz_i32_u32_e32 v35, v34
	v_min_u32_e32 v35, 32, v35
	s_delay_alu instid0(VALU_DEP_1) | instskip(SKIP_1) | instid1(VALU_DEP_2)
	v_subrev_nc_u32_e32 v36, 29, v35
	v_sub_nc_u32_e32 v35, 30, v35
	v_lshlrev_b32_e32 v36, v36, v33
	v_bfe_u32 v33, v33, 2, 5
	s_delay_alu instid0(VALU_DEP_2) | instskip(NEXT) | instid1(VALU_DEP_2)
	v_and_b32_e32 v36, 3, v36
	v_cmp_eq_u32_e64 s7, 0, v33
	s_delay_alu instid0(VALU_DEP_1) | instskip(NEXT) | instid1(VALU_DEP_3)
	v_cndmask_b32_e64 v33, v33, v35, s7
	v_cndmask_b32_e64 v34, v34, v36, s7
	s_delay_alu instid0(VALU_DEP_2) | instskip(NEXT) | instid1(VALU_DEP_2)
	v_lshl_add_u32 v33, v33, 23, 0x37800000
	v_lshlrev_b32_e32 v34, 21, v34
	s_delay_alu instid0(VALU_DEP_1)
	v_or3_b32 v33, v32, v33, v34
.LBB6_4625:                             ;   in Loop: Header=BB6_4601 Depth=2
	s_or_b32 exec_lo, exec_lo, s24
	s_delay_alu instid0(VALU_DEP_1) | instskip(NEXT) | instid1(VALU_DEP_1)
	v_mul_f32_e32 v32, v29, v33
	v_and_b32_e32 v29, 0x7f800000, v32
	s_delay_alu instid0(VALU_DEP_1) | instskip(SKIP_1) | instid1(VALU_DEP_2)
	v_cmp_ne_u32_e64 s7, 0x7f800000, v29
	v_mov_b32_e32 v29, 0x80
	s_and_saveexec_b32 s24, s7
	s_cbranch_execz .LBB6_4633
; %bb.4626:                             ;   in Loop: Header=BB6_4601 Depth=2
	v_mov_b32_e32 v29, 0
	s_mov_b32 s25, exec_lo
	v_cmpx_ne_u32_e32 0, v32
	s_cbranch_execz .LBB6_4632
; %bb.4627:                             ;   in Loop: Header=BB6_4601 Depth=2
	v_bfe_u32 v29, v32, 23, 8
	v_and_b32_e32 v33, 0x7fffff, v32
	s_delay_alu instid0(VALU_DEP_2) | instskip(SKIP_1) | instid1(VALU_DEP_3)
	v_sub_nc_u32_e32 v34, 0x70, v29
	v_cmp_gt_u32_e64 s7, 0x71, v29
	v_or_b32_e32 v35, 0x800000, v33
	s_delay_alu instid0(VALU_DEP_2) | instskip(SKIP_2) | instid1(VALU_DEP_2)
	v_cndmask_b32_e64 v34, 0, v34, s7
	v_cmp_eq_u32_e64 s7, 0, v29
	v_add_nc_u32_e32 v29, 0xffffff91, v29
	v_cndmask_b32_e64 v34, v34, 0x6f, s7
	v_cndmask_b32_e64 v33, v35, v33, s7
	s_delay_alu instid0(VALU_DEP_3) | instskip(NEXT) | instid1(VALU_DEP_3)
	v_cndmask_b32_e64 v29, v29, 0xffffff92, s7
	v_lshl_add_u32 v35, 0x200000, v34, -1
	s_delay_alu instid0(VALU_DEP_3) | instskip(SKIP_1) | instid1(VALU_DEP_4)
	v_lshrrev_b32_e32 v36, v34, v33
	v_lshlrev_b32_e64 v38, v34, 0x100000
	v_add_nc_u32_e32 v34, v34, v29
	s_delay_alu instid0(VALU_DEP_4) | instskip(NEXT) | instid1(VALU_DEP_4)
	v_and_b32_e32 v33, v35, v33
	v_bfe_u32 v37, v36, 21, 1
	s_delay_alu instid0(VALU_DEP_2) | instskip(NEXT) | instid1(VALU_DEP_2)
	v_cmp_eq_u32_e64 s10, v33, v38
	v_add_nc_u32_e32 v35, -1, v37
	s_delay_alu instid0(VALU_DEP_1) | instskip(SKIP_2) | instid1(VALU_DEP_2)
	v_cndmask_b32_e64 v33, 0, v35, s10
	v_lshrrev_b32_e32 v35, 23, v36
	s_mov_b32 s10, exec_lo
	v_add_nc_u32_e32 v33, v33, v36
	s_delay_alu instid0(VALU_DEP_2) | instskip(NEXT) | instid1(VALU_DEP_2)
	v_xor_b32_e32 v35, 1, v35
	v_and_b32_e32 v29, 0x1fffff, v33
	s_delay_alu instid0(VALU_DEP_1) | instskip(NEXT) | instid1(VALU_DEP_3)
	v_add_nc_u32_e32 v33, v29, v36
                                        ; implicit-def: $vgpr29
	v_cmpx_ne_u32_e64 v34, v35
	s_xor_b32 s10, exec_lo, s10
; %bb.4628:                             ;   in Loop: Header=BB6_4601 Depth=2
	s_delay_alu instid0(VALU_DEP_2) | instskip(SKIP_1) | instid1(VALU_DEP_2)
	v_cmp_lt_u32_e64 s7, 0xffffff, v33
	v_sub_nc_u32_e32 v29, v34, v35
	v_cndmask_b32_e64 v34, 0, 1, s7
	s_delay_alu instid0(VALU_DEP_2) | instskip(NEXT) | instid1(VALU_DEP_2)
	v_add_co_ci_u32_e64 v29, s7, 0, v29, s7
	v_lshrrev_b32_e32 v33, v34, v33
; %bb.4629:                             ;   in Loop: Header=BB6_4601 Depth=2
	s_and_not1_saveexec_b32 s7, s10
; %bb.4630:                             ;   in Loop: Header=BB6_4601 Depth=2
	s_delay_alu instid0(VALU_DEP_1)
	v_bfe_u32 v29, v33, 23, 1
; %bb.4631:                             ;   in Loop: Header=BB6_4601 Depth=2
	s_or_b32 exec_lo, exec_lo, s7
	v_lshrrev_b32_e32 v33, 21, v33
	s_delay_alu instid0(VALU_DEP_2) | instskip(SKIP_2) | instid1(VALU_DEP_3)
	v_cmp_gt_i32_e64 s7, 32, v29
	v_lshrrev_b32_e32 v32, 24, v32
	v_min_i32_e32 v34, 31, v29
	v_cndmask_b32_e64 v33, 3, v33, s7
	s_delay_alu instid0(VALU_DEP_3) | instskip(NEXT) | instid1(VALU_DEP_3)
	v_and_b32_e32 v32, 0x80, v32
	v_lshlrev_b32_e32 v34, 2, v34
	s_delay_alu instid0(VALU_DEP_3) | instskip(SKIP_1) | instid1(VALU_DEP_2)
	v_and_b32_e32 v35, 3, v33
	v_or_b32_e32 v29, v29, v33
	v_or3_b32 v32, v34, v32, v35
	s_delay_alu instid0(VALU_DEP_2) | instskip(NEXT) | instid1(VALU_DEP_1)
	v_cmp_ne_u32_e64 s7, 0, v29
	v_cndmask_b32_e64 v29, 0, v32, s7
.LBB6_4632:                             ;   in Loop: Header=BB6_4601 Depth=2
	s_or_b32 exec_lo, exec_lo, s25
.LBB6_4633:                             ;   in Loop: Header=BB6_4601 Depth=2
	s_delay_alu instid0(SALU_CYCLE_1) | instskip(SKIP_3) | instid1(VALU_DEP_1)
	s_or_b32 exec_lo, exec_lo, s24
	v_lshrrev_b32_e32 v33, 16, v14
	s_mov_b32 s10, 0
	s_mov_b32 s25, exec_lo
                                        ; implicit-def: $sgpr24
	v_and_b32_e32 v34, 0xff, v33
	s_delay_alu instid0(VALU_DEP_1)
	v_cmpx_lt_i16_e32 0x7f, v34
	s_xor_b32 s25, exec_lo, s25
	s_cbranch_execnz .LBB6_4871
; %bb.4634:                             ;   in Loop: Header=BB6_4601 Depth=2
	s_or_saveexec_b32 s25, s25
	v_mov_b32_e32 v32, s24
	s_xor_b32 exec_lo, exec_lo, s25
	s_cbranch_execnz .LBB6_4874
.LBB6_4635:                             ;   in Loop: Header=BB6_4601 Depth=2
	s_or_b32 exec_lo, exec_lo, s25
	s_and_saveexec_b32 s24, s10
	s_cbranch_execz .LBB6_4637
.LBB6_4636:                             ;   in Loop: Header=BB6_4601 Depth=2
	v_bfe_u32 v32, v14, 16, 2
	v_lshlrev_b32_e32 v36, 8, v14
	s_delay_alu instid0(VALU_DEP_2) | instskip(NEXT) | instid1(VALU_DEP_1)
	v_clz_i32_u32_e32 v34, v32
	v_min_u32_e32 v34, 32, v34
	s_delay_alu instid0(VALU_DEP_1) | instskip(SKIP_1) | instid1(VALU_DEP_2)
	v_subrev_nc_u32_e32 v35, 29, v34
	v_sub_nc_u32_e32 v34, 30, v34
	v_lshlrev_b32_e32 v33, v35, v33
	v_bfe_u32 v35, v14, 18, 5
	s_delay_alu instid0(VALU_DEP_2) | instskip(NEXT) | instid1(VALU_DEP_2)
	v_and_b32_e32 v33, 3, v33
	v_cmp_eq_u32_e64 s7, 0, v35
	s_delay_alu instid0(VALU_DEP_1) | instskip(NEXT) | instid1(VALU_DEP_3)
	v_cndmask_b32_e64 v34, v35, v34, s7
	v_cndmask_b32_e64 v32, v32, v33, s7
	v_and_b32_e32 v33, 0x80000000, v36
	s_delay_alu instid0(VALU_DEP_3) | instskip(NEXT) | instid1(VALU_DEP_3)
	v_lshl_add_u32 v34, v34, 23, 0x37800000
	v_lshlrev_b32_e32 v32, 21, v32
	s_delay_alu instid0(VALU_DEP_1)
	v_or3_b32 v32, v33, v34, v32
.LBB6_4637:                             ;   in Loop: Header=BB6_4601 Depth=2
	s_or_b32 exec_lo, exec_lo, s24
	v_lshrrev_b32_e32 v33, 16, v10
	s_mov_b32 s10, 0
	s_mov_b32 s25, exec_lo
                                        ; implicit-def: $sgpr24
	s_delay_alu instid0(VALU_DEP_1) | instskip(NEXT) | instid1(VALU_DEP_1)
	v_and_b32_e32 v35, 0xff, v33
	v_cmpx_lt_i16_e32 0x7f, v35
	s_xor_b32 s25, exec_lo, s25
	s_cbranch_execnz .LBB6_4875
; %bb.4638:                             ;   in Loop: Header=BB6_4601 Depth=2
	s_or_saveexec_b32 s25, s25
	v_mov_b32_e32 v34, s24
	s_xor_b32 exec_lo, exec_lo, s25
	s_cbranch_execnz .LBB6_4878
.LBB6_4639:                             ;   in Loop: Header=BB6_4601 Depth=2
	s_or_b32 exec_lo, exec_lo, s25
	s_and_saveexec_b32 s24, s10
	s_cbranch_execz .LBB6_4641
.LBB6_4640:                             ;   in Loop: Header=BB6_4601 Depth=2
	v_bfe_u32 v34, v10, 16, 2
	v_lshlrev_b32_e32 v37, 8, v10
	s_delay_alu instid0(VALU_DEP_2) | instskip(NEXT) | instid1(VALU_DEP_1)
	v_clz_i32_u32_e32 v35, v34
	v_min_u32_e32 v35, 32, v35
	s_delay_alu instid0(VALU_DEP_1) | instskip(SKIP_1) | instid1(VALU_DEP_2)
	v_subrev_nc_u32_e32 v36, 29, v35
	v_sub_nc_u32_e32 v35, 30, v35
	v_lshlrev_b32_e32 v33, v36, v33
	v_bfe_u32 v36, v10, 18, 5
	s_delay_alu instid0(VALU_DEP_2) | instskip(NEXT) | instid1(VALU_DEP_2)
	v_and_b32_e32 v33, 3, v33
	v_cmp_eq_u32_e64 s7, 0, v36
	s_delay_alu instid0(VALU_DEP_1) | instskip(NEXT) | instid1(VALU_DEP_3)
	v_cndmask_b32_e64 v35, v36, v35, s7
	v_cndmask_b32_e64 v33, v34, v33, s7
	v_and_b32_e32 v34, 0x80000000, v37
	s_delay_alu instid0(VALU_DEP_3) | instskip(NEXT) | instid1(VALU_DEP_3)
	v_lshl_add_u32 v35, v35, 23, 0x37800000
	v_lshlrev_b32_e32 v33, 21, v33
	s_delay_alu instid0(VALU_DEP_1)
	v_or3_b32 v34, v34, v35, v33
.LBB6_4641:                             ;   in Loop: Header=BB6_4601 Depth=2
	s_or_b32 exec_lo, exec_lo, s24
	s_delay_alu instid0(VALU_DEP_1) | instskip(NEXT) | instid1(VALU_DEP_1)
	v_mul_f32_e32 v33, v32, v34
	v_and_b32_e32 v32, 0x7f800000, v33
	s_delay_alu instid0(VALU_DEP_1) | instskip(SKIP_1) | instid1(VALU_DEP_2)
	v_cmp_ne_u32_e64 s7, 0x7f800000, v32
	v_mov_b32_e32 v32, 0x80
	s_and_saveexec_b32 s24, s7
	s_cbranch_execz .LBB6_4649
; %bb.4642:                             ;   in Loop: Header=BB6_4601 Depth=2
	v_mov_b32_e32 v32, 0
	s_mov_b32 s25, exec_lo
	v_cmpx_ne_u32_e32 0, v33
	s_cbranch_execz .LBB6_4648
; %bb.4643:                             ;   in Loop: Header=BB6_4601 Depth=2
	v_bfe_u32 v32, v33, 23, 8
	v_and_b32_e32 v34, 0x7fffff, v33
	s_delay_alu instid0(VALU_DEP_2) | instskip(SKIP_1) | instid1(VALU_DEP_3)
	v_sub_nc_u32_e32 v35, 0x70, v32
	v_cmp_gt_u32_e64 s7, 0x71, v32
	v_or_b32_e32 v36, 0x800000, v34
	s_delay_alu instid0(VALU_DEP_2) | instskip(SKIP_2) | instid1(VALU_DEP_2)
	v_cndmask_b32_e64 v35, 0, v35, s7
	v_cmp_eq_u32_e64 s7, 0, v32
	v_add_nc_u32_e32 v32, 0xffffff91, v32
	v_cndmask_b32_e64 v35, v35, 0x6f, s7
	v_cndmask_b32_e64 v34, v36, v34, s7
	s_delay_alu instid0(VALU_DEP_3) | instskip(NEXT) | instid1(VALU_DEP_3)
	v_cndmask_b32_e64 v32, v32, 0xffffff92, s7
	v_lshl_add_u32 v36, 0x200000, v35, -1
	s_delay_alu instid0(VALU_DEP_3) | instskip(SKIP_1) | instid1(VALU_DEP_4)
	v_lshrrev_b32_e32 v37, v35, v34
	v_lshlrev_b32_e64 v39, v35, 0x100000
	v_add_nc_u32_e32 v35, v35, v32
	s_delay_alu instid0(VALU_DEP_4) | instskip(NEXT) | instid1(VALU_DEP_4)
	v_and_b32_e32 v34, v36, v34
	v_bfe_u32 v38, v37, 21, 1
	s_delay_alu instid0(VALU_DEP_2) | instskip(NEXT) | instid1(VALU_DEP_2)
	v_cmp_eq_u32_e64 s10, v34, v39
	v_add_nc_u32_e32 v36, -1, v38
	s_delay_alu instid0(VALU_DEP_1) | instskip(SKIP_2) | instid1(VALU_DEP_2)
	v_cndmask_b32_e64 v34, 0, v36, s10
	v_lshrrev_b32_e32 v36, 23, v37
	s_mov_b32 s10, exec_lo
	v_add_nc_u32_e32 v34, v34, v37
	s_delay_alu instid0(VALU_DEP_2) | instskip(NEXT) | instid1(VALU_DEP_2)
	v_xor_b32_e32 v36, 1, v36
	v_and_b32_e32 v32, 0x1fffff, v34
	s_delay_alu instid0(VALU_DEP_1) | instskip(NEXT) | instid1(VALU_DEP_3)
	v_add_nc_u32_e32 v34, v32, v37
                                        ; implicit-def: $vgpr32
	v_cmpx_ne_u32_e64 v35, v36
	s_xor_b32 s10, exec_lo, s10
; %bb.4644:                             ;   in Loop: Header=BB6_4601 Depth=2
	s_delay_alu instid0(VALU_DEP_2) | instskip(SKIP_1) | instid1(VALU_DEP_2)
	v_cmp_lt_u32_e64 s7, 0xffffff, v34
	v_sub_nc_u32_e32 v32, v35, v36
	v_cndmask_b32_e64 v35, 0, 1, s7
	s_delay_alu instid0(VALU_DEP_2) | instskip(NEXT) | instid1(VALU_DEP_2)
	v_add_co_ci_u32_e64 v32, s7, 0, v32, s7
	v_lshrrev_b32_e32 v34, v35, v34
; %bb.4645:                             ;   in Loop: Header=BB6_4601 Depth=2
	s_and_not1_saveexec_b32 s7, s10
; %bb.4646:                             ;   in Loop: Header=BB6_4601 Depth=2
	s_delay_alu instid0(VALU_DEP_1)
	v_bfe_u32 v32, v34, 23, 1
; %bb.4647:                             ;   in Loop: Header=BB6_4601 Depth=2
	s_or_b32 exec_lo, exec_lo, s7
	v_lshrrev_b32_e32 v34, 21, v34
	s_delay_alu instid0(VALU_DEP_2) | instskip(SKIP_2) | instid1(VALU_DEP_3)
	v_cmp_gt_i32_e64 s7, 32, v32
	v_lshrrev_b32_e32 v33, 24, v33
	v_min_i32_e32 v35, 31, v32
	v_cndmask_b32_e64 v34, 3, v34, s7
	s_delay_alu instid0(VALU_DEP_3) | instskip(NEXT) | instid1(VALU_DEP_3)
	v_and_b32_e32 v33, 0x80, v33
	v_lshlrev_b32_e32 v35, 2, v35
	s_delay_alu instid0(VALU_DEP_3) | instskip(SKIP_1) | instid1(VALU_DEP_2)
	v_and_b32_e32 v36, 3, v34
	v_or_b32_e32 v32, v32, v34
	v_or3_b32 v33, v35, v33, v36
	s_delay_alu instid0(VALU_DEP_2) | instskip(NEXT) | instid1(VALU_DEP_1)
	v_cmp_ne_u32_e64 s7, 0, v32
	v_cndmask_b32_e64 v32, 0, v33, s7
.LBB6_4648:                             ;   in Loop: Header=BB6_4601 Depth=2
	s_or_b32 exec_lo, exec_lo, s25
.LBB6_4649:                             ;   in Loop: Header=BB6_4601 Depth=2
	s_delay_alu instid0(SALU_CYCLE_1) | instskip(SKIP_3) | instid1(VALU_DEP_1)
	s_or_b32 exec_lo, exec_lo, s24
	v_lshrrev_b32_e32 v34, 24, v14
	s_mov_b32 s10, 0
	s_mov_b32 s25, exec_lo
                                        ; implicit-def: $sgpr24
	v_cmpx_lt_i16_e32 0x7f, v34
	s_xor_b32 s25, exec_lo, s25
	s_cbranch_execnz .LBB6_4879
; %bb.4650:                             ;   in Loop: Header=BB6_4601 Depth=2
	s_or_saveexec_b32 s25, s25
	v_mov_b32_e32 v33, s24
	s_xor_b32 exec_lo, exec_lo, s25
	s_cbranch_execnz .LBB6_4882
.LBB6_4651:                             ;   in Loop: Header=BB6_4601 Depth=2
	s_or_b32 exec_lo, exec_lo, s25
	s_and_saveexec_b32 s24, s10
	s_cbranch_execz .LBB6_4653
.LBB6_4652:                             ;   in Loop: Header=BB6_4601 Depth=2
	v_bfe_u32 v33, v14, 24, 2
	s_delay_alu instid0(VALU_DEP_1) | instskip(NEXT) | instid1(VALU_DEP_1)
	v_clz_i32_u32_e32 v35, v33
	v_min_u32_e32 v35, 32, v35
	s_delay_alu instid0(VALU_DEP_1) | instskip(SKIP_1) | instid1(VALU_DEP_2)
	v_subrev_nc_u32_e32 v36, 29, v35
	v_sub_nc_u32_e32 v35, 30, v35
	v_lshlrev_b32_e32 v34, v36, v34
	v_bfe_u32 v36, v14, 26, 5
	v_and_b32_e32 v14, 0x80000000, v14
	s_delay_alu instid0(VALU_DEP_3) | instskip(NEXT) | instid1(VALU_DEP_3)
	v_and_b32_e32 v34, 3, v34
	v_cmp_eq_u32_e64 s7, 0, v36
	s_delay_alu instid0(VALU_DEP_1) | instskip(NEXT) | instid1(VALU_DEP_3)
	v_cndmask_b32_e64 v35, v36, v35, s7
	v_cndmask_b32_e64 v33, v33, v34, s7
	s_delay_alu instid0(VALU_DEP_2) | instskip(NEXT) | instid1(VALU_DEP_2)
	v_lshl_add_u32 v34, v35, 23, 0x37800000
	v_lshlrev_b32_e32 v33, 21, v33
	s_delay_alu instid0(VALU_DEP_1)
	v_or3_b32 v33, v14, v34, v33
.LBB6_4653:                             ;   in Loop: Header=BB6_4601 Depth=2
	s_or_b32 exec_lo, exec_lo, s24
	v_lshrrev_b32_e32 v14, 24, v10
	s_mov_b32 s10, 0
	s_mov_b32 s25, exec_lo
                                        ; implicit-def: $sgpr24
	s_delay_alu instid0(VALU_DEP_1)
	v_cmpx_lt_i16_e32 0x7f, v14
	s_xor_b32 s25, exec_lo, s25
	s_cbranch_execnz .LBB6_4883
; %bb.4654:                             ;   in Loop: Header=BB6_4601 Depth=2
	s_or_saveexec_b32 s25, s25
	v_mov_b32_e32 v34, s24
	s_xor_b32 exec_lo, exec_lo, s25
	s_cbranch_execnz .LBB6_4886
.LBB6_4655:                             ;   in Loop: Header=BB6_4601 Depth=2
	s_or_b32 exec_lo, exec_lo, s25
	s_and_saveexec_b32 s24, s10
	s_cbranch_execz .LBB6_4657
.LBB6_4656:                             ;   in Loop: Header=BB6_4601 Depth=2
	v_bfe_u32 v34, v10, 24, 2
	s_delay_alu instid0(VALU_DEP_1) | instskip(NEXT) | instid1(VALU_DEP_1)
	v_clz_i32_u32_e32 v35, v34
	v_min_u32_e32 v35, 32, v35
	s_delay_alu instid0(VALU_DEP_1) | instskip(SKIP_1) | instid1(VALU_DEP_2)
	v_subrev_nc_u32_e32 v36, 29, v35
	v_sub_nc_u32_e32 v35, 30, v35
	v_lshlrev_b32_e32 v14, v36, v14
	v_bfe_u32 v36, v10, 26, 5
	v_and_b32_e32 v10, 0x80000000, v10
	s_delay_alu instid0(VALU_DEP_3) | instskip(NEXT) | instid1(VALU_DEP_3)
	v_and_b32_e32 v14, 3, v14
	v_cmp_eq_u32_e64 s7, 0, v36
	s_delay_alu instid0(VALU_DEP_1) | instskip(NEXT) | instid1(VALU_DEP_3)
	v_cndmask_b32_e64 v35, v36, v35, s7
	v_cndmask_b32_e64 v14, v34, v14, s7
	s_delay_alu instid0(VALU_DEP_2) | instskip(NEXT) | instid1(VALU_DEP_2)
	v_lshl_add_u32 v34, v35, 23, 0x37800000
	v_lshlrev_b32_e32 v14, 21, v14
	s_delay_alu instid0(VALU_DEP_1)
	v_or3_b32 v34, v10, v34, v14
.LBB6_4657:                             ;   in Loop: Header=BB6_4601 Depth=2
	s_or_b32 exec_lo, exec_lo, s24
	s_delay_alu instid0(VALU_DEP_1) | instskip(NEXT) | instid1(VALU_DEP_1)
	v_mul_f32_e32 v14, v33, v34
	v_and_b32_e32 v10, 0x7f800000, v14
	s_delay_alu instid0(VALU_DEP_1) | instskip(SKIP_1) | instid1(VALU_DEP_2)
	v_cmp_ne_u32_e64 s7, 0x7f800000, v10
	v_mov_b32_e32 v10, 0x80
	s_and_saveexec_b32 s24, s7
	s_cbranch_execz .LBB6_4665
; %bb.4658:                             ;   in Loop: Header=BB6_4601 Depth=2
	v_mov_b32_e32 v10, 0
	s_mov_b32 s25, exec_lo
	v_cmpx_ne_u32_e32 0, v14
	s_cbranch_execz .LBB6_4664
; %bb.4659:                             ;   in Loop: Header=BB6_4601 Depth=2
	v_bfe_u32 v10, v14, 23, 8
	v_and_b32_e32 v33, 0x7fffff, v14
	s_delay_alu instid0(VALU_DEP_2) | instskip(SKIP_1) | instid1(VALU_DEP_3)
	v_sub_nc_u32_e32 v34, 0x70, v10
	v_cmp_gt_u32_e64 s7, 0x71, v10
	v_or_b32_e32 v35, 0x800000, v33
	s_delay_alu instid0(VALU_DEP_2) | instskip(SKIP_2) | instid1(VALU_DEP_2)
	v_cndmask_b32_e64 v34, 0, v34, s7
	v_cmp_eq_u32_e64 s7, 0, v10
	v_add_nc_u32_e32 v10, 0xffffff91, v10
	v_cndmask_b32_e64 v34, v34, 0x6f, s7
	v_cndmask_b32_e64 v33, v35, v33, s7
	s_delay_alu instid0(VALU_DEP_3) | instskip(NEXT) | instid1(VALU_DEP_3)
	v_cndmask_b32_e64 v10, v10, 0xffffff92, s7
	v_lshl_add_u32 v35, 0x200000, v34, -1
	s_delay_alu instid0(VALU_DEP_3) | instskip(SKIP_1) | instid1(VALU_DEP_4)
	v_lshrrev_b32_e32 v36, v34, v33
	v_lshlrev_b32_e64 v38, v34, 0x100000
	v_add_nc_u32_e32 v34, v34, v10
	s_delay_alu instid0(VALU_DEP_4) | instskip(NEXT) | instid1(VALU_DEP_4)
	v_and_b32_e32 v33, v35, v33
	v_bfe_u32 v37, v36, 21, 1
	s_delay_alu instid0(VALU_DEP_2) | instskip(NEXT) | instid1(VALU_DEP_2)
	v_cmp_eq_u32_e64 s10, v33, v38
	v_add_nc_u32_e32 v35, -1, v37
	s_delay_alu instid0(VALU_DEP_1) | instskip(SKIP_2) | instid1(VALU_DEP_2)
	v_cndmask_b32_e64 v33, 0, v35, s10
	v_lshrrev_b32_e32 v35, 23, v36
	s_mov_b32 s10, exec_lo
	v_add_nc_u32_e32 v33, v33, v36
	s_delay_alu instid0(VALU_DEP_2) | instskip(NEXT) | instid1(VALU_DEP_2)
	v_xor_b32_e32 v35, 1, v35
	v_and_b32_e32 v10, 0x1fffff, v33
	s_delay_alu instid0(VALU_DEP_1) | instskip(NEXT) | instid1(VALU_DEP_3)
	v_add_nc_u32_e32 v33, v10, v36
                                        ; implicit-def: $vgpr10
	v_cmpx_ne_u32_e64 v34, v35
	s_xor_b32 s10, exec_lo, s10
; %bb.4660:                             ;   in Loop: Header=BB6_4601 Depth=2
	s_delay_alu instid0(VALU_DEP_2) | instskip(SKIP_1) | instid1(VALU_DEP_2)
	v_cmp_lt_u32_e64 s7, 0xffffff, v33
	v_sub_nc_u32_e32 v10, v34, v35
	v_cndmask_b32_e64 v34, 0, 1, s7
	s_delay_alu instid0(VALU_DEP_2) | instskip(NEXT) | instid1(VALU_DEP_2)
	v_add_co_ci_u32_e64 v10, s7, 0, v10, s7
	v_lshrrev_b32_e32 v33, v34, v33
; %bb.4661:                             ;   in Loop: Header=BB6_4601 Depth=2
	s_and_not1_saveexec_b32 s7, s10
; %bb.4662:                             ;   in Loop: Header=BB6_4601 Depth=2
	s_delay_alu instid0(VALU_DEP_1)
	v_bfe_u32 v10, v33, 23, 1
; %bb.4663:                             ;   in Loop: Header=BB6_4601 Depth=2
	s_or_b32 exec_lo, exec_lo, s7
	v_lshrrev_b32_e32 v33, 21, v33
	s_delay_alu instid0(VALU_DEP_2) | instskip(SKIP_2) | instid1(VALU_DEP_3)
	v_cmp_gt_i32_e64 s7, 32, v10
	v_lshrrev_b32_e32 v14, 24, v14
	v_min_i32_e32 v34, 31, v10
	v_cndmask_b32_e64 v33, 3, v33, s7
	s_delay_alu instid0(VALU_DEP_3) | instskip(NEXT) | instid1(VALU_DEP_3)
	v_and_b32_e32 v14, 0x80, v14
	v_lshlrev_b32_e32 v34, 2, v34
	s_delay_alu instid0(VALU_DEP_3) | instskip(SKIP_1) | instid1(VALU_DEP_2)
	v_and_b32_e32 v35, 3, v33
	v_or_b32_e32 v10, v10, v33
	v_or3_b32 v14, v34, v14, v35
	s_delay_alu instid0(VALU_DEP_2) | instskip(NEXT) | instid1(VALU_DEP_1)
	v_cmp_ne_u32_e64 s7, 0, v10
	v_cndmask_b32_e64 v10, 0, v14, s7
.LBB6_4664:                             ;   in Loop: Header=BB6_4601 Depth=2
	s_or_b32 exec_lo, exec_lo, s25
.LBB6_4665:                             ;   in Loop: Header=BB6_4601 Depth=2
	s_delay_alu instid0(SALU_CYCLE_1) | instskip(SKIP_3) | instid1(VALU_DEP_1)
	s_or_b32 exec_lo, exec_lo, s24
	v_and_b32_e32 v33, 0xff, v15
	s_mov_b32 s10, 0
	s_mov_b32 s25, exec_lo
                                        ; implicit-def: $sgpr24
	v_cmpx_lt_i16_e32 0x7f, v33
	s_xor_b32 s25, exec_lo, s25
	s_cbranch_execnz .LBB6_4887
; %bb.4666:                             ;   in Loop: Header=BB6_4601 Depth=2
	s_or_saveexec_b32 s25, s25
	v_mov_b32_e32 v14, s24
	s_xor_b32 exec_lo, exec_lo, s25
	s_cbranch_execnz .LBB6_4890
.LBB6_4667:                             ;   in Loop: Header=BB6_4601 Depth=2
	s_or_b32 exec_lo, exec_lo, s25
	s_and_saveexec_b32 s24, s10
	s_cbranch_execz .LBB6_4669
.LBB6_4668:                             ;   in Loop: Header=BB6_4601 Depth=2
	v_and_b32_e32 v14, 3, v15
	v_bfe_u32 v35, v15, 2, 5
	v_lshlrev_b32_e32 v36, 24, v15
	s_delay_alu instid0(VALU_DEP_3) | instskip(NEXT) | instid1(VALU_DEP_3)
	v_clz_i32_u32_e32 v33, v14
	v_cmp_eq_u32_e64 s7, 0, v35
	s_delay_alu instid0(VALU_DEP_2) | instskip(NEXT) | instid1(VALU_DEP_1)
	v_min_u32_e32 v33, 32, v33
	v_subrev_nc_u32_e32 v34, 29, v33
	v_sub_nc_u32_e32 v33, 30, v33
	s_delay_alu instid0(VALU_DEP_2) | instskip(NEXT) | instid1(VALU_DEP_2)
	v_lshlrev_b32_e32 v34, v34, v15
	v_cndmask_b32_e64 v33, v35, v33, s7
	s_delay_alu instid0(VALU_DEP_2) | instskip(NEXT) | instid1(VALU_DEP_2)
	v_and_b32_e32 v34, 3, v34
	v_lshl_add_u32 v33, v33, 23, 0x37800000
	s_delay_alu instid0(VALU_DEP_2) | instskip(SKIP_1) | instid1(VALU_DEP_2)
	v_cndmask_b32_e64 v14, v14, v34, s7
	v_and_b32_e32 v34, 0x80000000, v36
	v_lshlrev_b32_e32 v14, 21, v14
	s_delay_alu instid0(VALU_DEP_1)
	v_or3_b32 v14, v34, v33, v14
.LBB6_4669:                             ;   in Loop: Header=BB6_4601 Depth=2
	s_or_b32 exec_lo, exec_lo, s24
	v_and_b32_e32 v34, 0xff, v11
	s_mov_b32 s10, 0
	s_mov_b32 s25, exec_lo
                                        ; implicit-def: $sgpr24
	s_delay_alu instid0(VALU_DEP_1)
	v_cmpx_lt_i16_e32 0x7f, v34
	s_xor_b32 s25, exec_lo, s25
	s_cbranch_execnz .LBB6_4891
; %bb.4670:                             ;   in Loop: Header=BB6_4601 Depth=2
	s_or_saveexec_b32 s25, s25
	v_mov_b32_e32 v33, s24
	s_xor_b32 exec_lo, exec_lo, s25
	s_cbranch_execnz .LBB6_4894
.LBB6_4671:                             ;   in Loop: Header=BB6_4601 Depth=2
	s_or_b32 exec_lo, exec_lo, s25
	s_and_saveexec_b32 s24, s10
	s_cbranch_execz .LBB6_4673
.LBB6_4672:                             ;   in Loop: Header=BB6_4601 Depth=2
	v_and_b32_e32 v33, 3, v11
	v_bfe_u32 v36, v11, 2, 5
	v_lshlrev_b32_e32 v37, 24, v11
	s_delay_alu instid0(VALU_DEP_3) | instskip(NEXT) | instid1(VALU_DEP_3)
	v_clz_i32_u32_e32 v34, v33
	v_cmp_eq_u32_e64 s7, 0, v36
	s_delay_alu instid0(VALU_DEP_2) | instskip(NEXT) | instid1(VALU_DEP_1)
	v_min_u32_e32 v34, 32, v34
	v_subrev_nc_u32_e32 v35, 29, v34
	v_sub_nc_u32_e32 v34, 30, v34
	s_delay_alu instid0(VALU_DEP_2) | instskip(NEXT) | instid1(VALU_DEP_2)
	v_lshlrev_b32_e32 v35, v35, v11
	v_cndmask_b32_e64 v34, v36, v34, s7
	s_delay_alu instid0(VALU_DEP_2) | instskip(NEXT) | instid1(VALU_DEP_2)
	v_and_b32_e32 v35, 3, v35
	v_lshl_add_u32 v34, v34, 23, 0x37800000
	s_delay_alu instid0(VALU_DEP_2) | instskip(SKIP_1) | instid1(VALU_DEP_2)
	v_cndmask_b32_e64 v33, v33, v35, s7
	v_and_b32_e32 v35, 0x80000000, v37
	v_lshlrev_b32_e32 v33, 21, v33
	s_delay_alu instid0(VALU_DEP_1)
	v_or3_b32 v33, v35, v34, v33
.LBB6_4673:                             ;   in Loop: Header=BB6_4601 Depth=2
	s_or_b32 exec_lo, exec_lo, s24
	s_delay_alu instid0(VALU_DEP_1) | instskip(NEXT) | instid1(VALU_DEP_1)
	v_mul_f32_e32 v33, v14, v33
	v_and_b32_e32 v14, 0x7f800000, v33
	s_delay_alu instid0(VALU_DEP_1) | instskip(SKIP_1) | instid1(VALU_DEP_2)
	v_cmp_ne_u32_e64 s7, 0x7f800000, v14
	v_mov_b32_e32 v14, 0x80
	s_and_saveexec_b32 s24, s7
	s_cbranch_execz .LBB6_4681
; %bb.4674:                             ;   in Loop: Header=BB6_4601 Depth=2
	v_mov_b32_e32 v14, 0
	s_mov_b32 s25, exec_lo
	v_cmpx_ne_u32_e32 0, v33
	s_cbranch_execz .LBB6_4680
; %bb.4675:                             ;   in Loop: Header=BB6_4601 Depth=2
	v_bfe_u32 v14, v33, 23, 8
	v_and_b32_e32 v34, 0x7fffff, v33
	s_delay_alu instid0(VALU_DEP_2) | instskip(SKIP_1) | instid1(VALU_DEP_3)
	v_sub_nc_u32_e32 v35, 0x70, v14
	v_cmp_gt_u32_e64 s7, 0x71, v14
	v_or_b32_e32 v36, 0x800000, v34
	s_delay_alu instid0(VALU_DEP_2) | instskip(SKIP_2) | instid1(VALU_DEP_2)
	v_cndmask_b32_e64 v35, 0, v35, s7
	v_cmp_eq_u32_e64 s7, 0, v14
	v_add_nc_u32_e32 v14, 0xffffff91, v14
	v_cndmask_b32_e64 v35, v35, 0x6f, s7
	v_cndmask_b32_e64 v34, v36, v34, s7
	s_delay_alu instid0(VALU_DEP_3) | instskip(NEXT) | instid1(VALU_DEP_3)
	v_cndmask_b32_e64 v14, v14, 0xffffff92, s7
	v_lshl_add_u32 v36, 0x200000, v35, -1
	s_delay_alu instid0(VALU_DEP_3) | instskip(SKIP_1) | instid1(VALU_DEP_4)
	v_lshrrev_b32_e32 v37, v35, v34
	v_lshlrev_b32_e64 v39, v35, 0x100000
	v_add_nc_u32_e32 v35, v35, v14
	s_delay_alu instid0(VALU_DEP_4) | instskip(NEXT) | instid1(VALU_DEP_4)
	v_and_b32_e32 v34, v36, v34
	v_bfe_u32 v38, v37, 21, 1
	s_delay_alu instid0(VALU_DEP_2) | instskip(NEXT) | instid1(VALU_DEP_2)
	v_cmp_eq_u32_e64 s10, v34, v39
	v_add_nc_u32_e32 v36, -1, v38
	s_delay_alu instid0(VALU_DEP_1) | instskip(SKIP_2) | instid1(VALU_DEP_2)
	v_cndmask_b32_e64 v34, 0, v36, s10
	v_lshrrev_b32_e32 v36, 23, v37
	s_mov_b32 s10, exec_lo
	v_add_nc_u32_e32 v34, v34, v37
	s_delay_alu instid0(VALU_DEP_2) | instskip(NEXT) | instid1(VALU_DEP_2)
	v_xor_b32_e32 v36, 1, v36
	v_and_b32_e32 v14, 0x1fffff, v34
	s_delay_alu instid0(VALU_DEP_1) | instskip(NEXT) | instid1(VALU_DEP_3)
	v_add_nc_u32_e32 v34, v14, v37
                                        ; implicit-def: $vgpr14
	v_cmpx_ne_u32_e64 v35, v36
	s_xor_b32 s10, exec_lo, s10
; %bb.4676:                             ;   in Loop: Header=BB6_4601 Depth=2
	s_delay_alu instid0(VALU_DEP_2) | instskip(SKIP_1) | instid1(VALU_DEP_2)
	v_cmp_lt_u32_e64 s7, 0xffffff, v34
	v_sub_nc_u32_e32 v14, v35, v36
	v_cndmask_b32_e64 v35, 0, 1, s7
	s_delay_alu instid0(VALU_DEP_2) | instskip(NEXT) | instid1(VALU_DEP_2)
	v_add_co_ci_u32_e64 v14, s7, 0, v14, s7
	v_lshrrev_b32_e32 v34, v35, v34
; %bb.4677:                             ;   in Loop: Header=BB6_4601 Depth=2
	s_and_not1_saveexec_b32 s7, s10
; %bb.4678:                             ;   in Loop: Header=BB6_4601 Depth=2
	s_delay_alu instid0(VALU_DEP_1)
	v_bfe_u32 v14, v34, 23, 1
; %bb.4679:                             ;   in Loop: Header=BB6_4601 Depth=2
	s_or_b32 exec_lo, exec_lo, s7
	v_lshrrev_b32_e32 v34, 21, v34
	s_delay_alu instid0(VALU_DEP_2) | instskip(SKIP_2) | instid1(VALU_DEP_3)
	v_cmp_gt_i32_e64 s7, 32, v14
	v_lshrrev_b32_e32 v33, 24, v33
	v_min_i32_e32 v35, 31, v14
	v_cndmask_b32_e64 v34, 3, v34, s7
	s_delay_alu instid0(VALU_DEP_3) | instskip(NEXT) | instid1(VALU_DEP_3)
	v_and_b32_e32 v33, 0x80, v33
	v_lshlrev_b32_e32 v35, 2, v35
	s_delay_alu instid0(VALU_DEP_3) | instskip(SKIP_1) | instid1(VALU_DEP_2)
	v_and_b32_e32 v36, 3, v34
	v_or_b32_e32 v14, v14, v34
	v_or3_b32 v33, v35, v33, v36
	s_delay_alu instid0(VALU_DEP_2) | instskip(NEXT) | instid1(VALU_DEP_1)
	v_cmp_ne_u32_e64 s7, 0, v14
	v_cndmask_b32_e64 v14, 0, v33, s7
.LBB6_4680:                             ;   in Loop: Header=BB6_4601 Depth=2
	s_or_b32 exec_lo, exec_lo, s25
.LBB6_4681:                             ;   in Loop: Header=BB6_4601 Depth=2
	s_delay_alu instid0(SALU_CYCLE_1) | instskip(SKIP_3) | instid1(VALU_DEP_1)
	s_or_b32 exec_lo, exec_lo, s24
	v_lshrrev_b16 v34, 8, v15
	s_mov_b32 s10, 0
	s_mov_b32 s25, exec_lo
                                        ; implicit-def: $sgpr24
	v_cmpx_lt_i16_e32 0x7f, v34
	s_xor_b32 s25, exec_lo, s25
	s_cbranch_execnz .LBB6_4895
; %bb.4682:                             ;   in Loop: Header=BB6_4601 Depth=2
	s_or_saveexec_b32 s25, s25
	v_mov_b32_e32 v33, s24
	s_xor_b32 exec_lo, exec_lo, s25
	s_cbranch_execnz .LBB6_4898
.LBB6_4683:                             ;   in Loop: Header=BB6_4601 Depth=2
	s_or_b32 exec_lo, exec_lo, s25
	s_and_saveexec_b32 s24, s10
	s_cbranch_execz .LBB6_4685
.LBB6_4684:                             ;   in Loop: Header=BB6_4601 Depth=2
	v_and_b32_e32 v33, 0xffff, v34
	v_lshlrev_b32_e32 v34, 24, v34
	s_delay_alu instid0(VALU_DEP_2) | instskip(NEXT) | instid1(VALU_DEP_2)
	v_and_b32_e32 v35, 3, v33
	v_and_b32_e32 v34, 0x80000000, v34
	s_delay_alu instid0(VALU_DEP_2) | instskip(NEXT) | instid1(VALU_DEP_1)
	v_clz_i32_u32_e32 v36, v35
	v_min_u32_e32 v36, 32, v36
	s_delay_alu instid0(VALU_DEP_1) | instskip(SKIP_1) | instid1(VALU_DEP_2)
	v_subrev_nc_u32_e32 v37, 29, v36
	v_sub_nc_u32_e32 v36, 30, v36
	v_lshlrev_b32_e32 v37, v37, v33
	v_bfe_u32 v33, v33, 2, 5
	s_delay_alu instid0(VALU_DEP_2) | instskip(NEXT) | instid1(VALU_DEP_2)
	v_and_b32_e32 v37, 3, v37
	v_cmp_eq_u32_e64 s7, 0, v33
	s_delay_alu instid0(VALU_DEP_1) | instskip(NEXT) | instid1(VALU_DEP_3)
	v_cndmask_b32_e64 v33, v33, v36, s7
	v_cndmask_b32_e64 v35, v35, v37, s7
	s_delay_alu instid0(VALU_DEP_2) | instskip(NEXT) | instid1(VALU_DEP_2)
	v_lshl_add_u32 v33, v33, 23, 0x37800000
	v_lshlrev_b32_e32 v35, 21, v35
	s_delay_alu instid0(VALU_DEP_1)
	v_or3_b32 v33, v34, v33, v35
.LBB6_4685:                             ;   in Loop: Header=BB6_4601 Depth=2
	s_or_b32 exec_lo, exec_lo, s24
	v_lshrrev_b16 v34, 8, v11
	s_mov_b32 s10, 0
	s_mov_b32 s25, exec_lo
                                        ; implicit-def: $sgpr24
	s_delay_alu instid0(VALU_DEP_1)
	v_cmpx_lt_i16_e32 0x7f, v34
	s_xor_b32 s25, exec_lo, s25
	s_cbranch_execnz .LBB6_4899
; %bb.4686:                             ;   in Loop: Header=BB6_4601 Depth=2
	s_or_saveexec_b32 s25, s25
	v_mov_b32_e32 v35, s24
	s_xor_b32 exec_lo, exec_lo, s25
	s_cbranch_execnz .LBB6_4902
.LBB6_4687:                             ;   in Loop: Header=BB6_4601 Depth=2
	s_or_b32 exec_lo, exec_lo, s25
	s_and_saveexec_b32 s24, s10
	s_cbranch_execz .LBB6_4689
.LBB6_4688:                             ;   in Loop: Header=BB6_4601 Depth=2
	v_and_b32_e32 v35, 0xffff, v34
	v_lshlrev_b32_e32 v34, 24, v34
	s_delay_alu instid0(VALU_DEP_2) | instskip(NEXT) | instid1(VALU_DEP_2)
	v_and_b32_e32 v36, 3, v35
	v_and_b32_e32 v34, 0x80000000, v34
	s_delay_alu instid0(VALU_DEP_2) | instskip(NEXT) | instid1(VALU_DEP_1)
	v_clz_i32_u32_e32 v37, v36
	v_min_u32_e32 v37, 32, v37
	s_delay_alu instid0(VALU_DEP_1) | instskip(SKIP_1) | instid1(VALU_DEP_2)
	v_subrev_nc_u32_e32 v38, 29, v37
	v_sub_nc_u32_e32 v37, 30, v37
	v_lshlrev_b32_e32 v38, v38, v35
	v_bfe_u32 v35, v35, 2, 5
	s_delay_alu instid0(VALU_DEP_2) | instskip(NEXT) | instid1(VALU_DEP_2)
	v_and_b32_e32 v38, 3, v38
	v_cmp_eq_u32_e64 s7, 0, v35
	s_delay_alu instid0(VALU_DEP_1) | instskip(NEXT) | instid1(VALU_DEP_3)
	v_cndmask_b32_e64 v35, v35, v37, s7
	v_cndmask_b32_e64 v36, v36, v38, s7
	s_delay_alu instid0(VALU_DEP_2) | instskip(NEXT) | instid1(VALU_DEP_2)
	v_lshl_add_u32 v35, v35, 23, 0x37800000
	v_lshlrev_b32_e32 v36, 21, v36
	s_delay_alu instid0(VALU_DEP_1)
	v_or3_b32 v35, v34, v35, v36
.LBB6_4689:                             ;   in Loop: Header=BB6_4601 Depth=2
	s_or_b32 exec_lo, exec_lo, s24
	s_delay_alu instid0(VALU_DEP_1) | instskip(NEXT) | instid1(VALU_DEP_1)
	v_mul_f32_e32 v34, v33, v35
	v_and_b32_e32 v33, 0x7f800000, v34
	s_delay_alu instid0(VALU_DEP_1) | instskip(SKIP_1) | instid1(VALU_DEP_2)
	v_cmp_ne_u32_e64 s7, 0x7f800000, v33
	v_mov_b32_e32 v33, 0x8000
	s_and_saveexec_b32 s24, s7
	s_cbranch_execz .LBB6_4697
; %bb.4690:                             ;   in Loop: Header=BB6_4601 Depth=2
	v_mov_b32_e32 v33, 0
	s_mov_b32 s25, exec_lo
	v_cmpx_ne_u32_e32 0, v34
	s_cbranch_execz .LBB6_4696
; %bb.4691:                             ;   in Loop: Header=BB6_4601 Depth=2
	v_bfe_u32 v33, v34, 23, 8
	v_and_b32_e32 v35, 0x7fffff, v34
	s_delay_alu instid0(VALU_DEP_2) | instskip(SKIP_1) | instid1(VALU_DEP_3)
	v_sub_nc_u32_e32 v36, 0x70, v33
	v_cmp_gt_u32_e64 s7, 0x71, v33
	v_or_b32_e32 v37, 0x800000, v35
	s_delay_alu instid0(VALU_DEP_2) | instskip(SKIP_2) | instid1(VALU_DEP_2)
	v_cndmask_b32_e64 v36, 0, v36, s7
	v_cmp_eq_u32_e64 s7, 0, v33
	v_add_nc_u32_e32 v33, 0xffffff91, v33
	v_cndmask_b32_e64 v36, v36, 0x6f, s7
	v_cndmask_b32_e64 v35, v37, v35, s7
	s_delay_alu instid0(VALU_DEP_3) | instskip(NEXT) | instid1(VALU_DEP_3)
	v_cndmask_b32_e64 v33, v33, 0xffffff92, s7
	v_lshl_add_u32 v37, 0x200000, v36, -1
	s_delay_alu instid0(VALU_DEP_3) | instskip(SKIP_1) | instid1(VALU_DEP_4)
	v_lshrrev_b32_e32 v38, v36, v35
	v_lshlrev_b32_e64 v48, v36, 0x100000
	v_add_nc_u32_e32 v36, v36, v33
	s_delay_alu instid0(VALU_DEP_4) | instskip(NEXT) | instid1(VALU_DEP_4)
	v_and_b32_e32 v35, v37, v35
	v_bfe_u32 v39, v38, 21, 1
	s_delay_alu instid0(VALU_DEP_2) | instskip(NEXT) | instid1(VALU_DEP_2)
	v_cmp_eq_u32_e64 s10, v35, v48
	v_add_nc_u32_e32 v37, -1, v39
	s_delay_alu instid0(VALU_DEP_1) | instskip(SKIP_2) | instid1(VALU_DEP_2)
	v_cndmask_b32_e64 v35, 0, v37, s10
	v_lshrrev_b32_e32 v37, 23, v38
	s_mov_b32 s10, exec_lo
	v_add_nc_u32_e32 v35, v35, v38
	s_delay_alu instid0(VALU_DEP_2) | instskip(NEXT) | instid1(VALU_DEP_2)
	v_xor_b32_e32 v37, 1, v37
	v_and_b32_e32 v33, 0x1fffff, v35
	s_delay_alu instid0(VALU_DEP_1) | instskip(NEXT) | instid1(VALU_DEP_3)
	v_add_nc_u32_e32 v35, v33, v38
                                        ; implicit-def: $vgpr33
	v_cmpx_ne_u32_e64 v36, v37
	s_xor_b32 s10, exec_lo, s10
; %bb.4692:                             ;   in Loop: Header=BB6_4601 Depth=2
	s_delay_alu instid0(VALU_DEP_2) | instskip(SKIP_1) | instid1(VALU_DEP_2)
	v_cmp_lt_u32_e64 s7, 0xffffff, v35
	v_sub_nc_u32_e32 v33, v36, v37
	v_cndmask_b32_e64 v36, 0, 1, s7
	s_delay_alu instid0(VALU_DEP_2) | instskip(NEXT) | instid1(VALU_DEP_2)
	v_add_co_ci_u32_e64 v33, s7, 0, v33, s7
	v_lshrrev_b32_e32 v35, v36, v35
; %bb.4693:                             ;   in Loop: Header=BB6_4601 Depth=2
	s_and_not1_saveexec_b32 s7, s10
; %bb.4694:                             ;   in Loop: Header=BB6_4601 Depth=2
	s_delay_alu instid0(VALU_DEP_1)
	v_bfe_u32 v33, v35, 23, 1
; %bb.4695:                             ;   in Loop: Header=BB6_4601 Depth=2
	s_or_b32 exec_lo, exec_lo, s7
	v_lshrrev_b32_e32 v35, 21, v35
	s_delay_alu instid0(VALU_DEP_2) | instskip(SKIP_2) | instid1(VALU_DEP_3)
	v_min_i32_e32 v36, 31, v33
	v_cmp_gt_i32_e64 s7, 32, v33
	v_lshrrev_b32_e32 v34, 24, v34
	v_lshlrev_b32_e32 v36, 2, v36
	s_delay_alu instid0(VALU_DEP_3) | instskip(NEXT) | instid1(VALU_DEP_3)
	v_cndmask_b32_e64 v35, 3, v35, s7
	v_and_b32_e32 v34, 0x80, v34
	s_delay_alu instid0(VALU_DEP_3) | instskip(NEXT) | instid1(VALU_DEP_3)
	v_and_b32_e32 v36, 0xfc, v36
	v_and_b32_e32 v37, 3, v35
	v_or_b32_e32 v33, v33, v35
	s_delay_alu instid0(VALU_DEP_2) | instskip(NEXT) | instid1(VALU_DEP_2)
	v_or3_b32 v34, v34, v36, v37
	v_cmp_ne_u32_e64 s7, 0, v33
	s_delay_alu instid0(VALU_DEP_2) | instskip(NEXT) | instid1(VALU_DEP_1)
	v_lshlrev_b32_e32 v34, 8, v34
	v_cndmask_b32_e64 v33, 0, v34, s7
.LBB6_4696:                             ;   in Loop: Header=BB6_4601 Depth=2
	s_or_b32 exec_lo, exec_lo, s25
.LBB6_4697:                             ;   in Loop: Header=BB6_4601 Depth=2
	s_delay_alu instid0(SALU_CYCLE_1) | instskip(SKIP_3) | instid1(VALU_DEP_1)
	s_or_b32 exec_lo, exec_lo, s24
	v_lshrrev_b32_e32 v35, 16, v15
	s_mov_b32 s10, 0
	s_mov_b32 s25, exec_lo
                                        ; implicit-def: $sgpr24
	v_and_b32_e32 v36, 0xff, v35
	s_delay_alu instid0(VALU_DEP_1)
	v_cmpx_lt_i16_e32 0x7f, v36
	s_xor_b32 s25, exec_lo, s25
	s_cbranch_execnz .LBB6_4903
; %bb.4698:                             ;   in Loop: Header=BB6_4601 Depth=2
	s_or_saveexec_b32 s25, s25
	v_mov_b32_e32 v34, s24
	s_xor_b32 exec_lo, exec_lo, s25
	s_cbranch_execnz .LBB6_4906
.LBB6_4699:                             ;   in Loop: Header=BB6_4601 Depth=2
	s_or_b32 exec_lo, exec_lo, s25
	s_and_saveexec_b32 s24, s10
	s_cbranch_execz .LBB6_4701
.LBB6_4700:                             ;   in Loop: Header=BB6_4601 Depth=2
	v_bfe_u32 v34, v15, 16, 2
	v_lshlrev_b32_e32 v38, 8, v15
	s_delay_alu instid0(VALU_DEP_2) | instskip(NEXT) | instid1(VALU_DEP_1)
	v_clz_i32_u32_e32 v36, v34
	v_min_u32_e32 v36, 32, v36
	s_delay_alu instid0(VALU_DEP_1) | instskip(SKIP_1) | instid1(VALU_DEP_2)
	v_subrev_nc_u32_e32 v37, 29, v36
	v_sub_nc_u32_e32 v36, 30, v36
	v_lshlrev_b32_e32 v35, v37, v35
	v_bfe_u32 v37, v15, 18, 5
	s_delay_alu instid0(VALU_DEP_2) | instskip(NEXT) | instid1(VALU_DEP_2)
	v_and_b32_e32 v35, 3, v35
	v_cmp_eq_u32_e64 s7, 0, v37
	s_delay_alu instid0(VALU_DEP_1) | instskip(NEXT) | instid1(VALU_DEP_3)
	v_cndmask_b32_e64 v36, v37, v36, s7
	v_cndmask_b32_e64 v34, v34, v35, s7
	v_and_b32_e32 v35, 0x80000000, v38
	s_delay_alu instid0(VALU_DEP_3) | instskip(NEXT) | instid1(VALU_DEP_3)
	v_lshl_add_u32 v36, v36, 23, 0x37800000
	v_lshlrev_b32_e32 v34, 21, v34
	s_delay_alu instid0(VALU_DEP_1)
	v_or3_b32 v34, v35, v36, v34
.LBB6_4701:                             ;   in Loop: Header=BB6_4601 Depth=2
	s_or_b32 exec_lo, exec_lo, s24
	v_lshrrev_b32_e32 v35, 16, v11
	s_mov_b32 s10, 0
	s_mov_b32 s25, exec_lo
                                        ; implicit-def: $sgpr24
	s_delay_alu instid0(VALU_DEP_1) | instskip(NEXT) | instid1(VALU_DEP_1)
	v_and_b32_e32 v37, 0xff, v35
	v_cmpx_lt_i16_e32 0x7f, v37
	s_xor_b32 s25, exec_lo, s25
	s_cbranch_execnz .LBB6_4907
; %bb.4702:                             ;   in Loop: Header=BB6_4601 Depth=2
	s_or_saveexec_b32 s25, s25
	v_mov_b32_e32 v36, s24
	s_xor_b32 exec_lo, exec_lo, s25
	s_cbranch_execnz .LBB6_4910
.LBB6_4703:                             ;   in Loop: Header=BB6_4601 Depth=2
	s_or_b32 exec_lo, exec_lo, s25
	s_and_saveexec_b32 s24, s10
	s_cbranch_execz .LBB6_4705
.LBB6_4704:                             ;   in Loop: Header=BB6_4601 Depth=2
	v_bfe_u32 v36, v11, 16, 2
	v_lshlrev_b32_e32 v39, 8, v11
	s_delay_alu instid0(VALU_DEP_2) | instskip(NEXT) | instid1(VALU_DEP_1)
	v_clz_i32_u32_e32 v37, v36
	v_min_u32_e32 v37, 32, v37
	s_delay_alu instid0(VALU_DEP_1) | instskip(SKIP_1) | instid1(VALU_DEP_2)
	v_subrev_nc_u32_e32 v38, 29, v37
	v_sub_nc_u32_e32 v37, 30, v37
	v_lshlrev_b32_e32 v35, v38, v35
	v_bfe_u32 v38, v11, 18, 5
	s_delay_alu instid0(VALU_DEP_2) | instskip(NEXT) | instid1(VALU_DEP_2)
	v_and_b32_e32 v35, 3, v35
	v_cmp_eq_u32_e64 s7, 0, v38
	s_delay_alu instid0(VALU_DEP_1) | instskip(NEXT) | instid1(VALU_DEP_3)
	v_cndmask_b32_e64 v37, v38, v37, s7
	v_cndmask_b32_e64 v35, v36, v35, s7
	v_and_b32_e32 v36, 0x80000000, v39
	s_delay_alu instid0(VALU_DEP_3) | instskip(NEXT) | instid1(VALU_DEP_3)
	v_lshl_add_u32 v37, v37, 23, 0x37800000
	v_lshlrev_b32_e32 v35, 21, v35
	s_delay_alu instid0(VALU_DEP_1)
	v_or3_b32 v36, v36, v37, v35
.LBB6_4705:                             ;   in Loop: Header=BB6_4601 Depth=2
	s_or_b32 exec_lo, exec_lo, s24
	s_delay_alu instid0(VALU_DEP_1) | instskip(NEXT) | instid1(VALU_DEP_1)
	v_mul_f32_e32 v35, v34, v36
	v_and_b32_e32 v34, 0x7f800000, v35
	s_delay_alu instid0(VALU_DEP_1) | instskip(SKIP_1) | instid1(VALU_DEP_2)
	v_cmp_ne_u32_e64 s7, 0x7f800000, v34
	v_mov_b32_e32 v34, 0x80
	s_and_saveexec_b32 s24, s7
	s_cbranch_execz .LBB6_4713
; %bb.4706:                             ;   in Loop: Header=BB6_4601 Depth=2
	v_mov_b32_e32 v34, 0
	s_mov_b32 s25, exec_lo
	v_cmpx_ne_u32_e32 0, v35
	s_cbranch_execz .LBB6_4712
; %bb.4707:                             ;   in Loop: Header=BB6_4601 Depth=2
	v_bfe_u32 v34, v35, 23, 8
	v_and_b32_e32 v36, 0x7fffff, v35
	s_delay_alu instid0(VALU_DEP_2) | instskip(SKIP_1) | instid1(VALU_DEP_3)
	v_sub_nc_u32_e32 v37, 0x70, v34
	v_cmp_gt_u32_e64 s7, 0x71, v34
	v_or_b32_e32 v38, 0x800000, v36
	s_delay_alu instid0(VALU_DEP_2) | instskip(SKIP_2) | instid1(VALU_DEP_2)
	v_cndmask_b32_e64 v37, 0, v37, s7
	v_cmp_eq_u32_e64 s7, 0, v34
	v_add_nc_u32_e32 v34, 0xffffff91, v34
	v_cndmask_b32_e64 v37, v37, 0x6f, s7
	v_cndmask_b32_e64 v36, v38, v36, s7
	s_delay_alu instid0(VALU_DEP_3) | instskip(NEXT) | instid1(VALU_DEP_3)
	v_cndmask_b32_e64 v34, v34, 0xffffff92, s7
	v_lshl_add_u32 v38, 0x200000, v37, -1
	s_delay_alu instid0(VALU_DEP_3) | instskip(SKIP_1) | instid1(VALU_DEP_4)
	v_lshrrev_b32_e32 v39, v37, v36
	v_lshlrev_b32_e64 v49, v37, 0x100000
	v_add_nc_u32_e32 v37, v37, v34
	s_delay_alu instid0(VALU_DEP_4) | instskip(NEXT) | instid1(VALU_DEP_4)
	v_and_b32_e32 v36, v38, v36
	v_bfe_u32 v48, v39, 21, 1
	s_delay_alu instid0(VALU_DEP_2) | instskip(NEXT) | instid1(VALU_DEP_2)
	v_cmp_eq_u32_e64 s10, v36, v49
	v_add_nc_u32_e32 v38, -1, v48
	s_delay_alu instid0(VALU_DEP_1) | instskip(SKIP_2) | instid1(VALU_DEP_2)
	v_cndmask_b32_e64 v36, 0, v38, s10
	v_lshrrev_b32_e32 v38, 23, v39
	s_mov_b32 s10, exec_lo
	v_add_nc_u32_e32 v36, v36, v39
	s_delay_alu instid0(VALU_DEP_2) | instskip(NEXT) | instid1(VALU_DEP_2)
	v_xor_b32_e32 v38, 1, v38
	v_and_b32_e32 v34, 0x1fffff, v36
	s_delay_alu instid0(VALU_DEP_1) | instskip(NEXT) | instid1(VALU_DEP_3)
	v_add_nc_u32_e32 v36, v34, v39
                                        ; implicit-def: $vgpr34
	v_cmpx_ne_u32_e64 v37, v38
	s_xor_b32 s10, exec_lo, s10
; %bb.4708:                             ;   in Loop: Header=BB6_4601 Depth=2
	s_delay_alu instid0(VALU_DEP_2) | instskip(SKIP_1) | instid1(VALU_DEP_2)
	v_cmp_lt_u32_e64 s7, 0xffffff, v36
	v_sub_nc_u32_e32 v34, v37, v38
	v_cndmask_b32_e64 v37, 0, 1, s7
	s_delay_alu instid0(VALU_DEP_2) | instskip(NEXT) | instid1(VALU_DEP_2)
	v_add_co_ci_u32_e64 v34, s7, 0, v34, s7
	v_lshrrev_b32_e32 v36, v37, v36
; %bb.4709:                             ;   in Loop: Header=BB6_4601 Depth=2
	s_and_not1_saveexec_b32 s7, s10
; %bb.4710:                             ;   in Loop: Header=BB6_4601 Depth=2
	s_delay_alu instid0(VALU_DEP_1)
	v_bfe_u32 v34, v36, 23, 1
; %bb.4711:                             ;   in Loop: Header=BB6_4601 Depth=2
	s_or_b32 exec_lo, exec_lo, s7
	v_lshrrev_b32_e32 v36, 21, v36
	s_delay_alu instid0(VALU_DEP_2) | instskip(SKIP_2) | instid1(VALU_DEP_3)
	v_min_i32_e32 v37, 31, v34
	v_cmp_gt_i32_e64 s7, 32, v34
	v_lshrrev_b32_e32 v35, 24, v35
	v_lshlrev_b32_e32 v37, 2, v37
	s_delay_alu instid0(VALU_DEP_3) | instskip(NEXT) | instid1(VALU_DEP_3)
	v_cndmask_b32_e64 v36, 3, v36, s7
	v_and_b32_e32 v35, 0x80, v35
	s_delay_alu instid0(VALU_DEP_3) | instskip(NEXT) | instid1(VALU_DEP_3)
	v_and_b32_e32 v37, 0xfc, v37
	v_and_b32_e32 v38, 3, v36
	v_or_b32_e32 v34, v34, v36
	s_delay_alu instid0(VALU_DEP_2) | instskip(NEXT) | instid1(VALU_DEP_2)
	v_or3_b32 v35, v37, v35, v38
	v_cmp_ne_u32_e64 s7, 0, v34
	s_delay_alu instid0(VALU_DEP_1)
	v_cndmask_b32_e64 v34, 0, v35, s7
.LBB6_4712:                             ;   in Loop: Header=BB6_4601 Depth=2
	s_or_b32 exec_lo, exec_lo, s25
.LBB6_4713:                             ;   in Loop: Header=BB6_4601 Depth=2
	s_delay_alu instid0(SALU_CYCLE_1) | instskip(SKIP_3) | instid1(VALU_DEP_1)
	s_or_b32 exec_lo, exec_lo, s24
	v_lshrrev_b32_e32 v36, 24, v15
	s_mov_b32 s10, 0
	s_mov_b32 s25, exec_lo
                                        ; implicit-def: $sgpr24
	v_cmpx_lt_i16_e32 0x7f, v36
	s_xor_b32 s25, exec_lo, s25
	s_cbranch_execnz .LBB6_4911
; %bb.4714:                             ;   in Loop: Header=BB6_4601 Depth=2
	s_or_saveexec_b32 s25, s25
	v_mov_b32_e32 v35, s24
	s_xor_b32 exec_lo, exec_lo, s25
	s_cbranch_execnz .LBB6_4914
.LBB6_4715:                             ;   in Loop: Header=BB6_4601 Depth=2
	s_or_b32 exec_lo, exec_lo, s25
	s_and_saveexec_b32 s24, s10
	s_cbranch_execz .LBB6_4717
.LBB6_4716:                             ;   in Loop: Header=BB6_4601 Depth=2
	v_bfe_u32 v35, v15, 24, 2
	s_delay_alu instid0(VALU_DEP_1) | instskip(NEXT) | instid1(VALU_DEP_1)
	v_clz_i32_u32_e32 v37, v35
	v_min_u32_e32 v37, 32, v37
	s_delay_alu instid0(VALU_DEP_1) | instskip(SKIP_1) | instid1(VALU_DEP_2)
	v_subrev_nc_u32_e32 v38, 29, v37
	v_sub_nc_u32_e32 v37, 30, v37
	v_lshlrev_b32_e32 v36, v38, v36
	v_bfe_u32 v38, v15, 26, 5
	v_and_b32_e32 v15, 0x80000000, v15
	s_delay_alu instid0(VALU_DEP_3) | instskip(NEXT) | instid1(VALU_DEP_3)
	v_and_b32_e32 v36, 3, v36
	v_cmp_eq_u32_e64 s7, 0, v38
	s_delay_alu instid0(VALU_DEP_1) | instskip(NEXT) | instid1(VALU_DEP_3)
	v_cndmask_b32_e64 v37, v38, v37, s7
	v_cndmask_b32_e64 v35, v35, v36, s7
	s_delay_alu instid0(VALU_DEP_2) | instskip(NEXT) | instid1(VALU_DEP_2)
	v_lshl_add_u32 v36, v37, 23, 0x37800000
	v_lshlrev_b32_e32 v35, 21, v35
	s_delay_alu instid0(VALU_DEP_1)
	v_or3_b32 v35, v15, v36, v35
.LBB6_4717:                             ;   in Loop: Header=BB6_4601 Depth=2
	s_or_b32 exec_lo, exec_lo, s24
	v_lshrrev_b32_e32 v15, 24, v11
	s_mov_b32 s10, 0
	s_mov_b32 s25, exec_lo
                                        ; implicit-def: $sgpr24
	s_delay_alu instid0(VALU_DEP_1)
	v_cmpx_lt_i16_e32 0x7f, v15
	s_xor_b32 s25, exec_lo, s25
	s_cbranch_execnz .LBB6_4915
; %bb.4718:                             ;   in Loop: Header=BB6_4601 Depth=2
	s_or_saveexec_b32 s25, s25
	v_mov_b32_e32 v36, s24
	s_xor_b32 exec_lo, exec_lo, s25
	s_cbranch_execnz .LBB6_4918
.LBB6_4719:                             ;   in Loop: Header=BB6_4601 Depth=2
	s_or_b32 exec_lo, exec_lo, s25
	s_and_saveexec_b32 s24, s10
	s_cbranch_execz .LBB6_4721
.LBB6_4720:                             ;   in Loop: Header=BB6_4601 Depth=2
	v_bfe_u32 v36, v11, 24, 2
	s_delay_alu instid0(VALU_DEP_1) | instskip(NEXT) | instid1(VALU_DEP_1)
	v_clz_i32_u32_e32 v37, v36
	v_min_u32_e32 v37, 32, v37
	s_delay_alu instid0(VALU_DEP_1) | instskip(SKIP_1) | instid1(VALU_DEP_2)
	v_subrev_nc_u32_e32 v38, 29, v37
	v_sub_nc_u32_e32 v37, 30, v37
	v_lshlrev_b32_e32 v15, v38, v15
	v_bfe_u32 v38, v11, 26, 5
	v_and_b32_e32 v11, 0x80000000, v11
	s_delay_alu instid0(VALU_DEP_3) | instskip(NEXT) | instid1(VALU_DEP_3)
	v_and_b32_e32 v15, 3, v15
	v_cmp_eq_u32_e64 s7, 0, v38
	s_delay_alu instid0(VALU_DEP_1) | instskip(NEXT) | instid1(VALU_DEP_3)
	v_cndmask_b32_e64 v37, v38, v37, s7
	v_cndmask_b32_e64 v15, v36, v15, s7
	s_delay_alu instid0(VALU_DEP_2) | instskip(NEXT) | instid1(VALU_DEP_2)
	v_lshl_add_u32 v36, v37, 23, 0x37800000
	v_lshlrev_b32_e32 v15, 21, v15
	s_delay_alu instid0(VALU_DEP_1)
	v_or3_b32 v36, v11, v36, v15
.LBB6_4721:                             ;   in Loop: Header=BB6_4601 Depth=2
	s_or_b32 exec_lo, exec_lo, s24
	s_delay_alu instid0(VALU_DEP_1) | instskip(NEXT) | instid1(VALU_DEP_1)
	v_mul_f32_e32 v15, v35, v36
	v_and_b32_e32 v11, 0x7f800000, v15
	s_delay_alu instid0(VALU_DEP_1) | instskip(SKIP_1) | instid1(VALU_DEP_2)
	v_cmp_ne_u32_e64 s7, 0x7f800000, v11
	v_mov_b32_e32 v11, 0x8000
	s_and_saveexec_b32 s24, s7
	s_cbranch_execz .LBB6_4729
; %bb.4722:                             ;   in Loop: Header=BB6_4601 Depth=2
	v_mov_b32_e32 v11, 0
	s_mov_b32 s25, exec_lo
	v_cmpx_ne_u32_e32 0, v15
	s_cbranch_execz .LBB6_4728
; %bb.4723:                             ;   in Loop: Header=BB6_4601 Depth=2
	v_bfe_u32 v11, v15, 23, 8
	v_and_b32_e32 v35, 0x7fffff, v15
	s_delay_alu instid0(VALU_DEP_2) | instskip(SKIP_1) | instid1(VALU_DEP_3)
	v_sub_nc_u32_e32 v36, 0x70, v11
	v_cmp_gt_u32_e64 s7, 0x71, v11
	v_or_b32_e32 v37, 0x800000, v35
	s_delay_alu instid0(VALU_DEP_2) | instskip(SKIP_2) | instid1(VALU_DEP_2)
	v_cndmask_b32_e64 v36, 0, v36, s7
	v_cmp_eq_u32_e64 s7, 0, v11
	v_add_nc_u32_e32 v11, 0xffffff91, v11
	v_cndmask_b32_e64 v36, v36, 0x6f, s7
	v_cndmask_b32_e64 v35, v37, v35, s7
	s_delay_alu instid0(VALU_DEP_3) | instskip(NEXT) | instid1(VALU_DEP_3)
	v_cndmask_b32_e64 v11, v11, 0xffffff92, s7
	v_lshl_add_u32 v37, 0x200000, v36, -1
	s_delay_alu instid0(VALU_DEP_3) | instskip(SKIP_1) | instid1(VALU_DEP_4)
	v_lshrrev_b32_e32 v38, v36, v35
	v_lshlrev_b32_e64 v48, v36, 0x100000
	v_add_nc_u32_e32 v36, v36, v11
	s_delay_alu instid0(VALU_DEP_4) | instskip(NEXT) | instid1(VALU_DEP_4)
	v_and_b32_e32 v35, v37, v35
	v_bfe_u32 v39, v38, 21, 1
	s_delay_alu instid0(VALU_DEP_2) | instskip(NEXT) | instid1(VALU_DEP_2)
	v_cmp_eq_u32_e64 s10, v35, v48
	v_add_nc_u32_e32 v37, -1, v39
	s_delay_alu instid0(VALU_DEP_1) | instskip(SKIP_2) | instid1(VALU_DEP_2)
	v_cndmask_b32_e64 v35, 0, v37, s10
	v_lshrrev_b32_e32 v37, 23, v38
	s_mov_b32 s10, exec_lo
	v_add_nc_u32_e32 v35, v35, v38
	s_delay_alu instid0(VALU_DEP_2) | instskip(NEXT) | instid1(VALU_DEP_2)
	v_xor_b32_e32 v37, 1, v37
	v_and_b32_e32 v11, 0x1fffff, v35
	s_delay_alu instid0(VALU_DEP_1) | instskip(NEXT) | instid1(VALU_DEP_3)
	v_add_nc_u32_e32 v35, v11, v38
                                        ; implicit-def: $vgpr11
	v_cmpx_ne_u32_e64 v36, v37
	s_xor_b32 s10, exec_lo, s10
; %bb.4724:                             ;   in Loop: Header=BB6_4601 Depth=2
	s_delay_alu instid0(VALU_DEP_2) | instskip(SKIP_1) | instid1(VALU_DEP_2)
	v_cmp_lt_u32_e64 s7, 0xffffff, v35
	v_sub_nc_u32_e32 v11, v36, v37
	v_cndmask_b32_e64 v36, 0, 1, s7
	s_delay_alu instid0(VALU_DEP_2) | instskip(NEXT) | instid1(VALU_DEP_2)
	v_add_co_ci_u32_e64 v11, s7, 0, v11, s7
	v_lshrrev_b32_e32 v35, v36, v35
; %bb.4725:                             ;   in Loop: Header=BB6_4601 Depth=2
	s_and_not1_saveexec_b32 s7, s10
; %bb.4726:                             ;   in Loop: Header=BB6_4601 Depth=2
	s_delay_alu instid0(VALU_DEP_1)
	v_bfe_u32 v11, v35, 23, 1
; %bb.4727:                             ;   in Loop: Header=BB6_4601 Depth=2
	s_or_b32 exec_lo, exec_lo, s7
	v_lshrrev_b32_e32 v35, 21, v35
	s_delay_alu instid0(VALU_DEP_2) | instskip(SKIP_2) | instid1(VALU_DEP_3)
	v_min_i32_e32 v36, 31, v11
	v_cmp_gt_i32_e64 s7, 32, v11
	v_lshrrev_b32_e32 v15, 24, v15
	v_lshlrev_b32_e32 v36, 2, v36
	s_delay_alu instid0(VALU_DEP_3) | instskip(NEXT) | instid1(VALU_DEP_3)
	v_cndmask_b32_e64 v35, 3, v35, s7
	v_and_b32_e32 v15, 0x80, v15
	s_delay_alu instid0(VALU_DEP_3) | instskip(NEXT) | instid1(VALU_DEP_3)
	v_and_b32_e32 v36, 0xfc, v36
	v_and_b32_e32 v37, 3, v35
	v_or_b32_e32 v11, v11, v35
	s_delay_alu instid0(VALU_DEP_2) | instskip(NEXT) | instid1(VALU_DEP_2)
	v_or3_b32 v15, v15, v36, v37
	v_cmp_ne_u32_e64 s7, 0, v11
	s_delay_alu instid0(VALU_DEP_2) | instskip(NEXT) | instid1(VALU_DEP_1)
	v_lshlrev_b32_e32 v15, 8, v15
	v_cndmask_b32_e64 v11, 0, v15, s7
.LBB6_4728:                             ;   in Loop: Header=BB6_4601 Depth=2
	s_or_b32 exec_lo, exec_lo, s25
.LBB6_4729:                             ;   in Loop: Header=BB6_4601 Depth=2
	s_delay_alu instid0(SALU_CYCLE_1) | instskip(SKIP_3) | instid1(VALU_DEP_1)
	s_or_b32 exec_lo, exec_lo, s24
	v_and_b32_e32 v35, 0xff, v16
	s_mov_b32 s10, 0
	s_mov_b32 s25, exec_lo
                                        ; implicit-def: $sgpr24
	v_cmpx_lt_i16_e32 0x7f, v35
	s_xor_b32 s25, exec_lo, s25
	s_cbranch_execnz .LBB6_4919
; %bb.4730:                             ;   in Loop: Header=BB6_4601 Depth=2
	s_or_saveexec_b32 s25, s25
	v_mov_b32_e32 v15, s24
	s_xor_b32 exec_lo, exec_lo, s25
	s_cbranch_execnz .LBB6_4922
.LBB6_4731:                             ;   in Loop: Header=BB6_4601 Depth=2
	s_or_b32 exec_lo, exec_lo, s25
	s_and_saveexec_b32 s24, s10
	s_cbranch_execz .LBB6_4733
.LBB6_4732:                             ;   in Loop: Header=BB6_4601 Depth=2
	v_and_b32_e32 v15, 3, v16
	v_bfe_u32 v37, v16, 2, 5
	v_lshlrev_b32_e32 v38, 24, v16
	s_delay_alu instid0(VALU_DEP_3) | instskip(NEXT) | instid1(VALU_DEP_3)
	v_clz_i32_u32_e32 v35, v15
	v_cmp_eq_u32_e64 s7, 0, v37
	s_delay_alu instid0(VALU_DEP_2) | instskip(NEXT) | instid1(VALU_DEP_1)
	v_min_u32_e32 v35, 32, v35
	v_subrev_nc_u32_e32 v36, 29, v35
	v_sub_nc_u32_e32 v35, 30, v35
	s_delay_alu instid0(VALU_DEP_2) | instskip(NEXT) | instid1(VALU_DEP_2)
	v_lshlrev_b32_e32 v36, v36, v16
	v_cndmask_b32_e64 v35, v37, v35, s7
	s_delay_alu instid0(VALU_DEP_2) | instskip(NEXT) | instid1(VALU_DEP_2)
	v_and_b32_e32 v36, 3, v36
	v_lshl_add_u32 v35, v35, 23, 0x37800000
	s_delay_alu instid0(VALU_DEP_2) | instskip(SKIP_1) | instid1(VALU_DEP_2)
	v_cndmask_b32_e64 v15, v15, v36, s7
	v_and_b32_e32 v36, 0x80000000, v38
	v_lshlrev_b32_e32 v15, 21, v15
	s_delay_alu instid0(VALU_DEP_1)
	v_or3_b32 v15, v36, v35, v15
.LBB6_4733:                             ;   in Loop: Header=BB6_4601 Depth=2
	s_or_b32 exec_lo, exec_lo, s24
	v_and_b32_e32 v36, 0xff, v12
	s_mov_b32 s10, 0
	s_mov_b32 s25, exec_lo
                                        ; implicit-def: $sgpr24
	s_delay_alu instid0(VALU_DEP_1)
	v_cmpx_lt_i16_e32 0x7f, v36
	s_xor_b32 s25, exec_lo, s25
	s_cbranch_execnz .LBB6_4923
; %bb.4734:                             ;   in Loop: Header=BB6_4601 Depth=2
	s_or_saveexec_b32 s25, s25
	v_mov_b32_e32 v35, s24
	s_xor_b32 exec_lo, exec_lo, s25
	s_cbranch_execnz .LBB6_4926
.LBB6_4735:                             ;   in Loop: Header=BB6_4601 Depth=2
	s_or_b32 exec_lo, exec_lo, s25
	s_and_saveexec_b32 s24, s10
	s_cbranch_execz .LBB6_4737
.LBB6_4736:                             ;   in Loop: Header=BB6_4601 Depth=2
	v_and_b32_e32 v35, 3, v12
	v_bfe_u32 v38, v12, 2, 5
	v_lshlrev_b32_e32 v39, 24, v12
	s_delay_alu instid0(VALU_DEP_3) | instskip(NEXT) | instid1(VALU_DEP_3)
	v_clz_i32_u32_e32 v36, v35
	v_cmp_eq_u32_e64 s7, 0, v38
	s_delay_alu instid0(VALU_DEP_2) | instskip(NEXT) | instid1(VALU_DEP_1)
	v_min_u32_e32 v36, 32, v36
	v_subrev_nc_u32_e32 v37, 29, v36
	v_sub_nc_u32_e32 v36, 30, v36
	s_delay_alu instid0(VALU_DEP_2) | instskip(NEXT) | instid1(VALU_DEP_2)
	v_lshlrev_b32_e32 v37, v37, v12
	v_cndmask_b32_e64 v36, v38, v36, s7
	s_delay_alu instid0(VALU_DEP_2) | instskip(NEXT) | instid1(VALU_DEP_2)
	v_and_b32_e32 v37, 3, v37
	v_lshl_add_u32 v36, v36, 23, 0x37800000
	s_delay_alu instid0(VALU_DEP_2) | instskip(SKIP_1) | instid1(VALU_DEP_2)
	v_cndmask_b32_e64 v35, v35, v37, s7
	v_and_b32_e32 v37, 0x80000000, v39
	v_lshlrev_b32_e32 v35, 21, v35
	s_delay_alu instid0(VALU_DEP_1)
	v_or3_b32 v35, v37, v36, v35
.LBB6_4737:                             ;   in Loop: Header=BB6_4601 Depth=2
	s_or_b32 exec_lo, exec_lo, s24
	s_delay_alu instid0(VALU_DEP_1) | instskip(NEXT) | instid1(VALU_DEP_1)
	v_mul_f32_e32 v35, v15, v35
	v_and_b32_e32 v15, 0x7f800000, v35
	s_delay_alu instid0(VALU_DEP_1) | instskip(SKIP_1) | instid1(VALU_DEP_2)
	v_cmp_ne_u32_e64 s7, 0x7f800000, v15
	v_mov_b32_e32 v15, 0x80
	s_and_saveexec_b32 s24, s7
	s_cbranch_execz .LBB6_4745
; %bb.4738:                             ;   in Loop: Header=BB6_4601 Depth=2
	v_mov_b32_e32 v15, 0
	s_mov_b32 s25, exec_lo
	v_cmpx_ne_u32_e32 0, v35
	s_cbranch_execz .LBB6_4744
; %bb.4739:                             ;   in Loop: Header=BB6_4601 Depth=2
	v_bfe_u32 v15, v35, 23, 8
	v_and_b32_e32 v36, 0x7fffff, v35
	s_delay_alu instid0(VALU_DEP_2) | instskip(SKIP_1) | instid1(VALU_DEP_3)
	v_sub_nc_u32_e32 v37, 0x70, v15
	v_cmp_gt_u32_e64 s7, 0x71, v15
	v_or_b32_e32 v38, 0x800000, v36
	s_delay_alu instid0(VALU_DEP_2) | instskip(SKIP_2) | instid1(VALU_DEP_2)
	v_cndmask_b32_e64 v37, 0, v37, s7
	v_cmp_eq_u32_e64 s7, 0, v15
	v_add_nc_u32_e32 v15, 0xffffff91, v15
	v_cndmask_b32_e64 v37, v37, 0x6f, s7
	v_cndmask_b32_e64 v36, v38, v36, s7
	s_delay_alu instid0(VALU_DEP_3) | instskip(NEXT) | instid1(VALU_DEP_3)
	v_cndmask_b32_e64 v15, v15, 0xffffff92, s7
	v_lshl_add_u32 v38, 0x200000, v37, -1
	s_delay_alu instid0(VALU_DEP_3) | instskip(SKIP_1) | instid1(VALU_DEP_4)
	v_lshrrev_b32_e32 v39, v37, v36
	v_lshlrev_b32_e64 v49, v37, 0x100000
	v_add_nc_u32_e32 v37, v37, v15
	s_delay_alu instid0(VALU_DEP_4) | instskip(NEXT) | instid1(VALU_DEP_4)
	v_and_b32_e32 v36, v38, v36
	v_bfe_u32 v48, v39, 21, 1
	s_delay_alu instid0(VALU_DEP_2) | instskip(NEXT) | instid1(VALU_DEP_2)
	v_cmp_eq_u32_e64 s10, v36, v49
	v_add_nc_u32_e32 v38, -1, v48
	s_delay_alu instid0(VALU_DEP_1) | instskip(SKIP_2) | instid1(VALU_DEP_2)
	v_cndmask_b32_e64 v36, 0, v38, s10
	v_lshrrev_b32_e32 v38, 23, v39
	s_mov_b32 s10, exec_lo
	v_add_nc_u32_e32 v36, v36, v39
	s_delay_alu instid0(VALU_DEP_2) | instskip(NEXT) | instid1(VALU_DEP_2)
	v_xor_b32_e32 v38, 1, v38
	v_and_b32_e32 v15, 0x1fffff, v36
	s_delay_alu instid0(VALU_DEP_1) | instskip(NEXT) | instid1(VALU_DEP_3)
	v_add_nc_u32_e32 v36, v15, v39
                                        ; implicit-def: $vgpr15
	v_cmpx_ne_u32_e64 v37, v38
	s_xor_b32 s10, exec_lo, s10
; %bb.4740:                             ;   in Loop: Header=BB6_4601 Depth=2
	s_delay_alu instid0(VALU_DEP_2) | instskip(SKIP_1) | instid1(VALU_DEP_2)
	v_cmp_lt_u32_e64 s7, 0xffffff, v36
	v_sub_nc_u32_e32 v15, v37, v38
	v_cndmask_b32_e64 v37, 0, 1, s7
	s_delay_alu instid0(VALU_DEP_2) | instskip(NEXT) | instid1(VALU_DEP_2)
	v_add_co_ci_u32_e64 v15, s7, 0, v15, s7
	v_lshrrev_b32_e32 v36, v37, v36
; %bb.4741:                             ;   in Loop: Header=BB6_4601 Depth=2
	s_and_not1_saveexec_b32 s7, s10
; %bb.4742:                             ;   in Loop: Header=BB6_4601 Depth=2
	s_delay_alu instid0(VALU_DEP_1)
	v_bfe_u32 v15, v36, 23, 1
; %bb.4743:                             ;   in Loop: Header=BB6_4601 Depth=2
	s_or_b32 exec_lo, exec_lo, s7
	v_lshrrev_b32_e32 v36, 21, v36
	s_delay_alu instid0(VALU_DEP_2) | instskip(SKIP_2) | instid1(VALU_DEP_3)
	v_cmp_gt_i32_e64 s7, 32, v15
	v_lshrrev_b32_e32 v35, 24, v35
	v_min_i32_e32 v37, 31, v15
	v_cndmask_b32_e64 v36, 3, v36, s7
	s_delay_alu instid0(VALU_DEP_3) | instskip(NEXT) | instid1(VALU_DEP_3)
	v_and_b32_e32 v35, 0x80, v35
	v_lshlrev_b32_e32 v37, 2, v37
	s_delay_alu instid0(VALU_DEP_3) | instskip(SKIP_1) | instid1(VALU_DEP_2)
	v_and_b32_e32 v38, 3, v36
	v_or_b32_e32 v15, v15, v36
	v_or3_b32 v35, v37, v35, v38
	s_delay_alu instid0(VALU_DEP_2) | instskip(NEXT) | instid1(VALU_DEP_1)
	v_cmp_ne_u32_e64 s7, 0, v15
	v_cndmask_b32_e64 v15, 0, v35, s7
.LBB6_4744:                             ;   in Loop: Header=BB6_4601 Depth=2
	s_or_b32 exec_lo, exec_lo, s25
.LBB6_4745:                             ;   in Loop: Header=BB6_4601 Depth=2
	s_delay_alu instid0(SALU_CYCLE_1) | instskip(SKIP_3) | instid1(VALU_DEP_1)
	s_or_b32 exec_lo, exec_lo, s24
	v_lshrrev_b16 v36, 8, v16
	s_mov_b32 s10, 0
	s_mov_b32 s25, exec_lo
                                        ; implicit-def: $sgpr24
	v_cmpx_lt_i16_e32 0x7f, v36
	s_xor_b32 s25, exec_lo, s25
	s_cbranch_execnz .LBB6_4927
; %bb.4746:                             ;   in Loop: Header=BB6_4601 Depth=2
	s_or_saveexec_b32 s25, s25
	v_mov_b32_e32 v35, s24
	s_xor_b32 exec_lo, exec_lo, s25
	s_cbranch_execnz .LBB6_4930
.LBB6_4747:                             ;   in Loop: Header=BB6_4601 Depth=2
	s_or_b32 exec_lo, exec_lo, s25
	s_and_saveexec_b32 s24, s10
	s_cbranch_execz .LBB6_4749
.LBB6_4748:                             ;   in Loop: Header=BB6_4601 Depth=2
	v_and_b32_e32 v35, 0xffff, v36
	v_lshlrev_b32_e32 v36, 24, v36
	s_delay_alu instid0(VALU_DEP_2) | instskip(NEXT) | instid1(VALU_DEP_2)
	v_and_b32_e32 v37, 3, v35
	v_and_b32_e32 v36, 0x80000000, v36
	s_delay_alu instid0(VALU_DEP_2) | instskip(NEXT) | instid1(VALU_DEP_1)
	v_clz_i32_u32_e32 v38, v37
	v_min_u32_e32 v38, 32, v38
	s_delay_alu instid0(VALU_DEP_1) | instskip(SKIP_1) | instid1(VALU_DEP_2)
	v_subrev_nc_u32_e32 v39, 29, v38
	v_sub_nc_u32_e32 v38, 30, v38
	v_lshlrev_b32_e32 v39, v39, v35
	v_bfe_u32 v35, v35, 2, 5
	s_delay_alu instid0(VALU_DEP_2) | instskip(NEXT) | instid1(VALU_DEP_2)
	v_and_b32_e32 v39, 3, v39
	v_cmp_eq_u32_e64 s7, 0, v35
	s_delay_alu instid0(VALU_DEP_1) | instskip(NEXT) | instid1(VALU_DEP_3)
	v_cndmask_b32_e64 v35, v35, v38, s7
	v_cndmask_b32_e64 v37, v37, v39, s7
	s_delay_alu instid0(VALU_DEP_2) | instskip(NEXT) | instid1(VALU_DEP_2)
	v_lshl_add_u32 v35, v35, 23, 0x37800000
	v_lshlrev_b32_e32 v37, 21, v37
	s_delay_alu instid0(VALU_DEP_1)
	v_or3_b32 v35, v36, v35, v37
.LBB6_4749:                             ;   in Loop: Header=BB6_4601 Depth=2
	s_or_b32 exec_lo, exec_lo, s24
	v_lshrrev_b16 v36, 8, v12
	s_mov_b32 s10, 0
	s_mov_b32 s25, exec_lo
                                        ; implicit-def: $sgpr24
	s_delay_alu instid0(VALU_DEP_1)
	v_cmpx_lt_i16_e32 0x7f, v36
	s_xor_b32 s25, exec_lo, s25
	s_cbranch_execnz .LBB6_4931
; %bb.4750:                             ;   in Loop: Header=BB6_4601 Depth=2
	s_or_saveexec_b32 s25, s25
	v_mov_b32_e32 v37, s24
	s_xor_b32 exec_lo, exec_lo, s25
	s_cbranch_execnz .LBB6_4934
.LBB6_4751:                             ;   in Loop: Header=BB6_4601 Depth=2
	s_or_b32 exec_lo, exec_lo, s25
	s_and_saveexec_b32 s24, s10
	s_cbranch_execz .LBB6_4753
.LBB6_4752:                             ;   in Loop: Header=BB6_4601 Depth=2
	v_and_b32_e32 v37, 0xffff, v36
	v_lshlrev_b32_e32 v36, 24, v36
	s_delay_alu instid0(VALU_DEP_2) | instskip(NEXT) | instid1(VALU_DEP_2)
	v_and_b32_e32 v38, 3, v37
	v_and_b32_e32 v36, 0x80000000, v36
	s_delay_alu instid0(VALU_DEP_2) | instskip(NEXT) | instid1(VALU_DEP_1)
	v_clz_i32_u32_e32 v39, v38
	v_min_u32_e32 v39, 32, v39
	s_delay_alu instid0(VALU_DEP_1) | instskip(SKIP_1) | instid1(VALU_DEP_2)
	v_subrev_nc_u32_e32 v48, 29, v39
	v_sub_nc_u32_e32 v39, 30, v39
	v_lshlrev_b32_e32 v48, v48, v37
	v_bfe_u32 v37, v37, 2, 5
	s_delay_alu instid0(VALU_DEP_2) | instskip(NEXT) | instid1(VALU_DEP_2)
	v_and_b32_e32 v48, 3, v48
	v_cmp_eq_u32_e64 s7, 0, v37
	s_delay_alu instid0(VALU_DEP_1) | instskip(NEXT) | instid1(VALU_DEP_3)
	v_cndmask_b32_e64 v37, v37, v39, s7
	v_cndmask_b32_e64 v38, v38, v48, s7
	s_delay_alu instid0(VALU_DEP_2) | instskip(NEXT) | instid1(VALU_DEP_2)
	v_lshl_add_u32 v37, v37, 23, 0x37800000
	v_lshlrev_b32_e32 v38, 21, v38
	s_delay_alu instid0(VALU_DEP_1)
	v_or3_b32 v37, v36, v37, v38
.LBB6_4753:                             ;   in Loop: Header=BB6_4601 Depth=2
	s_or_b32 exec_lo, exec_lo, s24
	s_delay_alu instid0(VALU_DEP_1) | instskip(NEXT) | instid1(VALU_DEP_1)
	v_mul_f32_e32 v36, v35, v37
	v_and_b32_e32 v35, 0x7f800000, v36
	s_delay_alu instid0(VALU_DEP_1) | instskip(SKIP_1) | instid1(VALU_DEP_2)
	v_cmp_ne_u32_e64 s7, 0x7f800000, v35
	v_mov_b32_e32 v35, 0x80
	s_and_saveexec_b32 s24, s7
	s_cbranch_execz .LBB6_4761
; %bb.4754:                             ;   in Loop: Header=BB6_4601 Depth=2
	v_mov_b32_e32 v35, 0
	s_mov_b32 s25, exec_lo
	v_cmpx_ne_u32_e32 0, v36
	s_cbranch_execz .LBB6_4760
; %bb.4755:                             ;   in Loop: Header=BB6_4601 Depth=2
	v_bfe_u32 v35, v36, 23, 8
	v_and_b32_e32 v37, 0x7fffff, v36
	s_delay_alu instid0(VALU_DEP_2) | instskip(SKIP_1) | instid1(VALU_DEP_3)
	v_sub_nc_u32_e32 v38, 0x70, v35
	v_cmp_gt_u32_e64 s7, 0x71, v35
	v_or_b32_e32 v39, 0x800000, v37
	s_delay_alu instid0(VALU_DEP_2) | instskip(SKIP_2) | instid1(VALU_DEP_2)
	v_cndmask_b32_e64 v38, 0, v38, s7
	v_cmp_eq_u32_e64 s7, 0, v35
	v_add_nc_u32_e32 v35, 0xffffff91, v35
	v_cndmask_b32_e64 v38, v38, 0x6f, s7
	v_cndmask_b32_e64 v37, v39, v37, s7
	s_delay_alu instid0(VALU_DEP_3) | instskip(NEXT) | instid1(VALU_DEP_3)
	v_cndmask_b32_e64 v35, v35, 0xffffff92, s7
	v_lshl_add_u32 v39, 0x200000, v38, -1
	s_delay_alu instid0(VALU_DEP_3) | instskip(SKIP_1) | instid1(VALU_DEP_4)
	v_lshrrev_b32_e32 v48, v38, v37
	v_lshlrev_b32_e64 v50, v38, 0x100000
	v_add_nc_u32_e32 v38, v38, v35
	s_delay_alu instid0(VALU_DEP_4) | instskip(NEXT) | instid1(VALU_DEP_4)
	v_and_b32_e32 v37, v39, v37
	v_bfe_u32 v49, v48, 21, 1
	s_delay_alu instid0(VALU_DEP_2) | instskip(NEXT) | instid1(VALU_DEP_2)
	v_cmp_eq_u32_e64 s10, v37, v50
	v_add_nc_u32_e32 v39, -1, v49
	s_delay_alu instid0(VALU_DEP_1) | instskip(SKIP_2) | instid1(VALU_DEP_2)
	v_cndmask_b32_e64 v37, 0, v39, s10
	v_lshrrev_b32_e32 v39, 23, v48
	s_mov_b32 s10, exec_lo
	v_add_nc_u32_e32 v37, v37, v48
	s_delay_alu instid0(VALU_DEP_2) | instskip(NEXT) | instid1(VALU_DEP_2)
	v_xor_b32_e32 v39, 1, v39
	v_and_b32_e32 v35, 0x1fffff, v37
	s_delay_alu instid0(VALU_DEP_1) | instskip(NEXT) | instid1(VALU_DEP_3)
	v_add_nc_u32_e32 v37, v35, v48
                                        ; implicit-def: $vgpr35
	v_cmpx_ne_u32_e64 v38, v39
	s_xor_b32 s10, exec_lo, s10
; %bb.4756:                             ;   in Loop: Header=BB6_4601 Depth=2
	s_delay_alu instid0(VALU_DEP_2) | instskip(SKIP_1) | instid1(VALU_DEP_2)
	v_cmp_lt_u32_e64 s7, 0xffffff, v37
	v_sub_nc_u32_e32 v35, v38, v39
	v_cndmask_b32_e64 v38, 0, 1, s7
	s_delay_alu instid0(VALU_DEP_2) | instskip(NEXT) | instid1(VALU_DEP_2)
	v_add_co_ci_u32_e64 v35, s7, 0, v35, s7
	v_lshrrev_b32_e32 v37, v38, v37
; %bb.4757:                             ;   in Loop: Header=BB6_4601 Depth=2
	s_and_not1_saveexec_b32 s7, s10
; %bb.4758:                             ;   in Loop: Header=BB6_4601 Depth=2
	s_delay_alu instid0(VALU_DEP_1)
	v_bfe_u32 v35, v37, 23, 1
; %bb.4759:                             ;   in Loop: Header=BB6_4601 Depth=2
	s_or_b32 exec_lo, exec_lo, s7
	v_lshrrev_b32_e32 v37, 21, v37
	s_delay_alu instid0(VALU_DEP_2) | instskip(SKIP_2) | instid1(VALU_DEP_3)
	v_cmp_gt_i32_e64 s7, 32, v35
	v_lshrrev_b32_e32 v36, 24, v36
	v_min_i32_e32 v38, 31, v35
	v_cndmask_b32_e64 v37, 3, v37, s7
	s_delay_alu instid0(VALU_DEP_3) | instskip(NEXT) | instid1(VALU_DEP_3)
	v_and_b32_e32 v36, 0x80, v36
	v_lshlrev_b32_e32 v38, 2, v38
	s_delay_alu instid0(VALU_DEP_3) | instskip(SKIP_1) | instid1(VALU_DEP_2)
	v_and_b32_e32 v39, 3, v37
	v_or_b32_e32 v35, v35, v37
	v_or3_b32 v36, v38, v36, v39
	s_delay_alu instid0(VALU_DEP_2) | instskip(NEXT) | instid1(VALU_DEP_1)
	v_cmp_ne_u32_e64 s7, 0, v35
	v_cndmask_b32_e64 v35, 0, v36, s7
.LBB6_4760:                             ;   in Loop: Header=BB6_4601 Depth=2
	s_or_b32 exec_lo, exec_lo, s25
.LBB6_4761:                             ;   in Loop: Header=BB6_4601 Depth=2
	s_delay_alu instid0(SALU_CYCLE_1) | instskip(SKIP_3) | instid1(VALU_DEP_1)
	s_or_b32 exec_lo, exec_lo, s24
	v_lshrrev_b32_e32 v37, 16, v16
	s_mov_b32 s10, 0
	s_mov_b32 s25, exec_lo
                                        ; implicit-def: $sgpr24
	v_and_b32_e32 v38, 0xff, v37
	s_delay_alu instid0(VALU_DEP_1)
	v_cmpx_lt_i16_e32 0x7f, v38
	s_xor_b32 s25, exec_lo, s25
	s_cbranch_execnz .LBB6_4935
; %bb.4762:                             ;   in Loop: Header=BB6_4601 Depth=2
	s_or_saveexec_b32 s25, s25
	v_mov_b32_e32 v36, s24
	s_xor_b32 exec_lo, exec_lo, s25
	s_cbranch_execnz .LBB6_4938
.LBB6_4763:                             ;   in Loop: Header=BB6_4601 Depth=2
	s_or_b32 exec_lo, exec_lo, s25
	s_and_saveexec_b32 s24, s10
	s_cbranch_execz .LBB6_4765
.LBB6_4764:                             ;   in Loop: Header=BB6_4601 Depth=2
	v_bfe_u32 v36, v16, 16, 2
	v_lshlrev_b32_e32 v48, 8, v16
	s_delay_alu instid0(VALU_DEP_2) | instskip(NEXT) | instid1(VALU_DEP_1)
	v_clz_i32_u32_e32 v38, v36
	v_min_u32_e32 v38, 32, v38
	s_delay_alu instid0(VALU_DEP_1) | instskip(SKIP_1) | instid1(VALU_DEP_2)
	v_subrev_nc_u32_e32 v39, 29, v38
	v_sub_nc_u32_e32 v38, 30, v38
	v_lshlrev_b32_e32 v37, v39, v37
	v_bfe_u32 v39, v16, 18, 5
	s_delay_alu instid0(VALU_DEP_2) | instskip(NEXT) | instid1(VALU_DEP_2)
	v_and_b32_e32 v37, 3, v37
	v_cmp_eq_u32_e64 s7, 0, v39
	s_delay_alu instid0(VALU_DEP_1) | instskip(NEXT) | instid1(VALU_DEP_3)
	v_cndmask_b32_e64 v38, v39, v38, s7
	v_cndmask_b32_e64 v36, v36, v37, s7
	v_and_b32_e32 v37, 0x80000000, v48
	s_delay_alu instid0(VALU_DEP_3) | instskip(NEXT) | instid1(VALU_DEP_3)
	v_lshl_add_u32 v38, v38, 23, 0x37800000
	v_lshlrev_b32_e32 v36, 21, v36
	s_delay_alu instid0(VALU_DEP_1)
	v_or3_b32 v36, v37, v38, v36
.LBB6_4765:                             ;   in Loop: Header=BB6_4601 Depth=2
	s_or_b32 exec_lo, exec_lo, s24
	v_lshrrev_b32_e32 v37, 16, v12
	s_mov_b32 s10, 0
	s_mov_b32 s25, exec_lo
                                        ; implicit-def: $sgpr24
	s_delay_alu instid0(VALU_DEP_1) | instskip(NEXT) | instid1(VALU_DEP_1)
	v_and_b32_e32 v39, 0xff, v37
	v_cmpx_lt_i16_e32 0x7f, v39
	s_xor_b32 s25, exec_lo, s25
	s_cbranch_execnz .LBB6_4939
; %bb.4766:                             ;   in Loop: Header=BB6_4601 Depth=2
	s_or_saveexec_b32 s25, s25
	v_mov_b32_e32 v38, s24
	s_xor_b32 exec_lo, exec_lo, s25
	s_cbranch_execnz .LBB6_4942
.LBB6_4767:                             ;   in Loop: Header=BB6_4601 Depth=2
	s_or_b32 exec_lo, exec_lo, s25
	s_and_saveexec_b32 s24, s10
	s_cbranch_execz .LBB6_4769
.LBB6_4768:                             ;   in Loop: Header=BB6_4601 Depth=2
	v_bfe_u32 v38, v12, 16, 2
	v_lshlrev_b32_e32 v49, 8, v12
	s_delay_alu instid0(VALU_DEP_2) | instskip(NEXT) | instid1(VALU_DEP_1)
	v_clz_i32_u32_e32 v39, v38
	v_min_u32_e32 v39, 32, v39
	s_delay_alu instid0(VALU_DEP_1) | instskip(SKIP_1) | instid1(VALU_DEP_2)
	v_subrev_nc_u32_e32 v48, 29, v39
	v_sub_nc_u32_e32 v39, 30, v39
	v_lshlrev_b32_e32 v37, v48, v37
	v_bfe_u32 v48, v12, 18, 5
	s_delay_alu instid0(VALU_DEP_2) | instskip(NEXT) | instid1(VALU_DEP_2)
	v_and_b32_e32 v37, 3, v37
	v_cmp_eq_u32_e64 s7, 0, v48
	s_delay_alu instid0(VALU_DEP_1) | instskip(NEXT) | instid1(VALU_DEP_3)
	v_cndmask_b32_e64 v39, v48, v39, s7
	v_cndmask_b32_e64 v37, v38, v37, s7
	v_and_b32_e32 v38, 0x80000000, v49
	s_delay_alu instid0(VALU_DEP_3) | instskip(NEXT) | instid1(VALU_DEP_3)
	v_lshl_add_u32 v39, v39, 23, 0x37800000
	v_lshlrev_b32_e32 v37, 21, v37
	s_delay_alu instid0(VALU_DEP_1)
	v_or3_b32 v38, v38, v39, v37
.LBB6_4769:                             ;   in Loop: Header=BB6_4601 Depth=2
	s_or_b32 exec_lo, exec_lo, s24
	s_delay_alu instid0(VALU_DEP_1) | instskip(NEXT) | instid1(VALU_DEP_1)
	v_mul_f32_e32 v37, v36, v38
	v_and_b32_e32 v36, 0x7f800000, v37
	s_delay_alu instid0(VALU_DEP_1) | instskip(SKIP_1) | instid1(VALU_DEP_2)
	v_cmp_ne_u32_e64 s7, 0x7f800000, v36
	v_mov_b32_e32 v36, 0x80
	s_and_saveexec_b32 s24, s7
	s_cbranch_execz .LBB6_4777
; %bb.4770:                             ;   in Loop: Header=BB6_4601 Depth=2
	v_mov_b32_e32 v36, 0
	s_mov_b32 s25, exec_lo
	v_cmpx_ne_u32_e32 0, v37
	s_cbranch_execz .LBB6_4776
; %bb.4771:                             ;   in Loop: Header=BB6_4601 Depth=2
	v_bfe_u32 v36, v37, 23, 8
	v_and_b32_e32 v38, 0x7fffff, v37
	s_delay_alu instid0(VALU_DEP_2) | instskip(SKIP_1) | instid1(VALU_DEP_3)
	v_sub_nc_u32_e32 v39, 0x70, v36
	v_cmp_gt_u32_e64 s7, 0x71, v36
	v_or_b32_e32 v48, 0x800000, v38
	s_delay_alu instid0(VALU_DEP_2) | instskip(SKIP_2) | instid1(VALU_DEP_2)
	v_cndmask_b32_e64 v39, 0, v39, s7
	v_cmp_eq_u32_e64 s7, 0, v36
	v_add_nc_u32_e32 v36, 0xffffff91, v36
	v_cndmask_b32_e64 v39, v39, 0x6f, s7
	v_cndmask_b32_e64 v38, v48, v38, s7
	s_delay_alu instid0(VALU_DEP_3) | instskip(NEXT) | instid1(VALU_DEP_3)
	v_cndmask_b32_e64 v36, v36, 0xffffff92, s7
	v_lshl_add_u32 v48, 0x200000, v39, -1
	s_delay_alu instid0(VALU_DEP_3) | instskip(SKIP_1) | instid1(VALU_DEP_4)
	v_lshrrev_b32_e32 v49, v39, v38
	v_lshlrev_b32_e64 v51, v39, 0x100000
	v_add_nc_u32_e32 v39, v39, v36
	s_delay_alu instid0(VALU_DEP_4) | instskip(NEXT) | instid1(VALU_DEP_4)
	v_and_b32_e32 v38, v48, v38
	v_bfe_u32 v50, v49, 21, 1
	s_delay_alu instid0(VALU_DEP_2) | instskip(NEXT) | instid1(VALU_DEP_2)
	v_cmp_eq_u32_e64 s10, v38, v51
	v_add_nc_u32_e32 v48, -1, v50
	s_delay_alu instid0(VALU_DEP_1) | instskip(SKIP_2) | instid1(VALU_DEP_2)
	v_cndmask_b32_e64 v38, 0, v48, s10
	v_lshrrev_b32_e32 v48, 23, v49
	s_mov_b32 s10, exec_lo
	v_add_nc_u32_e32 v38, v38, v49
	s_delay_alu instid0(VALU_DEP_2) | instskip(NEXT) | instid1(VALU_DEP_2)
	v_xor_b32_e32 v48, 1, v48
	v_and_b32_e32 v36, 0x1fffff, v38
	s_delay_alu instid0(VALU_DEP_1) | instskip(NEXT) | instid1(VALU_DEP_3)
	v_add_nc_u32_e32 v38, v36, v49
                                        ; implicit-def: $vgpr36
	v_cmpx_ne_u32_e64 v39, v48
	s_xor_b32 s10, exec_lo, s10
; %bb.4772:                             ;   in Loop: Header=BB6_4601 Depth=2
	s_delay_alu instid0(VALU_DEP_2) | instskip(SKIP_1) | instid1(VALU_DEP_2)
	v_cmp_lt_u32_e64 s7, 0xffffff, v38
	v_sub_nc_u32_e32 v36, v39, v48
	v_cndmask_b32_e64 v39, 0, 1, s7
	s_delay_alu instid0(VALU_DEP_2) | instskip(NEXT) | instid1(VALU_DEP_2)
	v_add_co_ci_u32_e64 v36, s7, 0, v36, s7
	v_lshrrev_b32_e32 v38, v39, v38
; %bb.4773:                             ;   in Loop: Header=BB6_4601 Depth=2
	s_and_not1_saveexec_b32 s7, s10
; %bb.4774:                             ;   in Loop: Header=BB6_4601 Depth=2
	s_delay_alu instid0(VALU_DEP_1)
	v_bfe_u32 v36, v38, 23, 1
; %bb.4775:                             ;   in Loop: Header=BB6_4601 Depth=2
	s_or_b32 exec_lo, exec_lo, s7
	v_lshrrev_b32_e32 v38, 21, v38
	s_delay_alu instid0(VALU_DEP_2) | instskip(SKIP_2) | instid1(VALU_DEP_3)
	v_cmp_gt_i32_e64 s7, 32, v36
	v_lshrrev_b32_e32 v37, 24, v37
	v_min_i32_e32 v39, 31, v36
	v_cndmask_b32_e64 v38, 3, v38, s7
	s_delay_alu instid0(VALU_DEP_3) | instskip(NEXT) | instid1(VALU_DEP_3)
	v_and_b32_e32 v37, 0x80, v37
	v_lshlrev_b32_e32 v39, 2, v39
	s_delay_alu instid0(VALU_DEP_3) | instskip(SKIP_1) | instid1(VALU_DEP_2)
	v_and_b32_e32 v48, 3, v38
	v_or_b32_e32 v36, v36, v38
	v_or3_b32 v37, v39, v37, v48
	s_delay_alu instid0(VALU_DEP_2) | instskip(NEXT) | instid1(VALU_DEP_1)
	v_cmp_ne_u32_e64 s7, 0, v36
	v_cndmask_b32_e64 v36, 0, v37, s7
.LBB6_4776:                             ;   in Loop: Header=BB6_4601 Depth=2
	s_or_b32 exec_lo, exec_lo, s25
.LBB6_4777:                             ;   in Loop: Header=BB6_4601 Depth=2
	s_delay_alu instid0(SALU_CYCLE_1) | instskip(SKIP_3) | instid1(VALU_DEP_1)
	s_or_b32 exec_lo, exec_lo, s24
	v_lshrrev_b32_e32 v38, 24, v16
	s_mov_b32 s10, 0
	s_mov_b32 s25, exec_lo
                                        ; implicit-def: $sgpr24
	v_cmpx_lt_i16_e32 0x7f, v38
	s_xor_b32 s25, exec_lo, s25
	s_cbranch_execnz .LBB6_4943
; %bb.4778:                             ;   in Loop: Header=BB6_4601 Depth=2
	s_or_saveexec_b32 s25, s25
	v_mov_b32_e32 v37, s24
	s_xor_b32 exec_lo, exec_lo, s25
	s_cbranch_execnz .LBB6_4946
.LBB6_4779:                             ;   in Loop: Header=BB6_4601 Depth=2
	s_or_b32 exec_lo, exec_lo, s25
	s_and_saveexec_b32 s24, s10
	s_cbranch_execz .LBB6_4781
.LBB6_4780:                             ;   in Loop: Header=BB6_4601 Depth=2
	v_bfe_u32 v37, v16, 24, 2
	s_delay_alu instid0(VALU_DEP_1) | instskip(NEXT) | instid1(VALU_DEP_1)
	v_clz_i32_u32_e32 v39, v37
	v_min_u32_e32 v39, 32, v39
	s_delay_alu instid0(VALU_DEP_1) | instskip(SKIP_1) | instid1(VALU_DEP_2)
	v_subrev_nc_u32_e32 v48, 29, v39
	v_sub_nc_u32_e32 v39, 30, v39
	v_lshlrev_b32_e32 v38, v48, v38
	v_bfe_u32 v48, v16, 26, 5
	v_and_b32_e32 v16, 0x80000000, v16
	s_delay_alu instid0(VALU_DEP_3) | instskip(NEXT) | instid1(VALU_DEP_3)
	v_and_b32_e32 v38, 3, v38
	v_cmp_eq_u32_e64 s7, 0, v48
	s_delay_alu instid0(VALU_DEP_1) | instskip(NEXT) | instid1(VALU_DEP_3)
	v_cndmask_b32_e64 v39, v48, v39, s7
	v_cndmask_b32_e64 v37, v37, v38, s7
	s_delay_alu instid0(VALU_DEP_2) | instskip(NEXT) | instid1(VALU_DEP_2)
	v_lshl_add_u32 v38, v39, 23, 0x37800000
	v_lshlrev_b32_e32 v37, 21, v37
	s_delay_alu instid0(VALU_DEP_1)
	v_or3_b32 v37, v16, v38, v37
.LBB6_4781:                             ;   in Loop: Header=BB6_4601 Depth=2
	s_or_b32 exec_lo, exec_lo, s24
	v_lshrrev_b32_e32 v16, 24, v12
	s_mov_b32 s10, 0
	s_mov_b32 s25, exec_lo
                                        ; implicit-def: $sgpr24
	s_delay_alu instid0(VALU_DEP_1)
	v_cmpx_lt_i16_e32 0x7f, v16
	s_xor_b32 s25, exec_lo, s25
	s_cbranch_execnz .LBB6_4947
; %bb.4782:                             ;   in Loop: Header=BB6_4601 Depth=2
	s_or_saveexec_b32 s25, s25
	v_mov_b32_e32 v38, s24
	s_xor_b32 exec_lo, exec_lo, s25
	s_cbranch_execnz .LBB6_4950
.LBB6_4783:                             ;   in Loop: Header=BB6_4601 Depth=2
	s_or_b32 exec_lo, exec_lo, s25
	s_and_saveexec_b32 s24, s10
	s_cbranch_execz .LBB6_4785
.LBB6_4784:                             ;   in Loop: Header=BB6_4601 Depth=2
	v_bfe_u32 v38, v12, 24, 2
	s_delay_alu instid0(VALU_DEP_1) | instskip(NEXT) | instid1(VALU_DEP_1)
	v_clz_i32_u32_e32 v39, v38
	v_min_u32_e32 v39, 32, v39
	s_delay_alu instid0(VALU_DEP_1) | instskip(SKIP_1) | instid1(VALU_DEP_2)
	v_subrev_nc_u32_e32 v48, 29, v39
	v_sub_nc_u32_e32 v39, 30, v39
	v_lshlrev_b32_e32 v16, v48, v16
	v_bfe_u32 v48, v12, 26, 5
	v_and_b32_e32 v12, 0x80000000, v12
	s_delay_alu instid0(VALU_DEP_3) | instskip(NEXT) | instid1(VALU_DEP_3)
	v_and_b32_e32 v16, 3, v16
	v_cmp_eq_u32_e64 s7, 0, v48
	s_delay_alu instid0(VALU_DEP_1) | instskip(NEXT) | instid1(VALU_DEP_3)
	v_cndmask_b32_e64 v39, v48, v39, s7
	v_cndmask_b32_e64 v16, v38, v16, s7
	s_delay_alu instid0(VALU_DEP_2) | instskip(NEXT) | instid1(VALU_DEP_2)
	v_lshl_add_u32 v38, v39, 23, 0x37800000
	v_lshlrev_b32_e32 v16, 21, v16
	s_delay_alu instid0(VALU_DEP_1)
	v_or3_b32 v38, v12, v38, v16
.LBB6_4785:                             ;   in Loop: Header=BB6_4601 Depth=2
	s_or_b32 exec_lo, exec_lo, s24
	s_delay_alu instid0(VALU_DEP_1) | instskip(NEXT) | instid1(VALU_DEP_1)
	v_mul_f32_e32 v16, v37, v38
	v_and_b32_e32 v12, 0x7f800000, v16
	s_delay_alu instid0(VALU_DEP_1) | instskip(SKIP_1) | instid1(VALU_DEP_2)
	v_cmp_ne_u32_e64 s7, 0x7f800000, v12
	v_mov_b32_e32 v12, 0x80
	s_and_saveexec_b32 s24, s7
	s_cbranch_execz .LBB6_4793
; %bb.4786:                             ;   in Loop: Header=BB6_4601 Depth=2
	v_mov_b32_e32 v12, 0
	s_mov_b32 s25, exec_lo
	v_cmpx_ne_u32_e32 0, v16
	s_cbranch_execz .LBB6_4792
; %bb.4787:                             ;   in Loop: Header=BB6_4601 Depth=2
	v_bfe_u32 v12, v16, 23, 8
	v_and_b32_e32 v37, 0x7fffff, v16
	s_delay_alu instid0(VALU_DEP_2) | instskip(SKIP_1) | instid1(VALU_DEP_3)
	v_sub_nc_u32_e32 v38, 0x70, v12
	v_cmp_gt_u32_e64 s7, 0x71, v12
	v_or_b32_e32 v39, 0x800000, v37
	s_delay_alu instid0(VALU_DEP_2) | instskip(SKIP_2) | instid1(VALU_DEP_2)
	v_cndmask_b32_e64 v38, 0, v38, s7
	v_cmp_eq_u32_e64 s7, 0, v12
	v_add_nc_u32_e32 v12, 0xffffff91, v12
	v_cndmask_b32_e64 v38, v38, 0x6f, s7
	v_cndmask_b32_e64 v37, v39, v37, s7
	s_delay_alu instid0(VALU_DEP_3) | instskip(NEXT) | instid1(VALU_DEP_3)
	v_cndmask_b32_e64 v12, v12, 0xffffff92, s7
	v_lshl_add_u32 v39, 0x200000, v38, -1
	s_delay_alu instid0(VALU_DEP_3) | instskip(SKIP_1) | instid1(VALU_DEP_4)
	v_lshrrev_b32_e32 v48, v38, v37
	v_lshlrev_b32_e64 v50, v38, 0x100000
	v_add_nc_u32_e32 v38, v38, v12
	s_delay_alu instid0(VALU_DEP_4) | instskip(NEXT) | instid1(VALU_DEP_4)
	v_and_b32_e32 v37, v39, v37
	v_bfe_u32 v49, v48, 21, 1
	s_delay_alu instid0(VALU_DEP_2) | instskip(NEXT) | instid1(VALU_DEP_2)
	v_cmp_eq_u32_e64 s10, v37, v50
	v_add_nc_u32_e32 v39, -1, v49
	s_delay_alu instid0(VALU_DEP_1) | instskip(SKIP_2) | instid1(VALU_DEP_2)
	v_cndmask_b32_e64 v37, 0, v39, s10
	v_lshrrev_b32_e32 v39, 23, v48
	s_mov_b32 s10, exec_lo
	v_add_nc_u32_e32 v37, v37, v48
	s_delay_alu instid0(VALU_DEP_2) | instskip(NEXT) | instid1(VALU_DEP_2)
	v_xor_b32_e32 v39, 1, v39
	v_and_b32_e32 v12, 0x1fffff, v37
	s_delay_alu instid0(VALU_DEP_1) | instskip(NEXT) | instid1(VALU_DEP_3)
	v_add_nc_u32_e32 v37, v12, v48
                                        ; implicit-def: $vgpr12
	v_cmpx_ne_u32_e64 v38, v39
	s_xor_b32 s10, exec_lo, s10
; %bb.4788:                             ;   in Loop: Header=BB6_4601 Depth=2
	s_delay_alu instid0(VALU_DEP_2) | instskip(SKIP_1) | instid1(VALU_DEP_2)
	v_cmp_lt_u32_e64 s7, 0xffffff, v37
	v_sub_nc_u32_e32 v12, v38, v39
	v_cndmask_b32_e64 v38, 0, 1, s7
	s_delay_alu instid0(VALU_DEP_2) | instskip(NEXT) | instid1(VALU_DEP_2)
	v_add_co_ci_u32_e64 v12, s7, 0, v12, s7
	v_lshrrev_b32_e32 v37, v38, v37
; %bb.4789:                             ;   in Loop: Header=BB6_4601 Depth=2
	s_and_not1_saveexec_b32 s7, s10
; %bb.4790:                             ;   in Loop: Header=BB6_4601 Depth=2
	s_delay_alu instid0(VALU_DEP_1)
	v_bfe_u32 v12, v37, 23, 1
; %bb.4791:                             ;   in Loop: Header=BB6_4601 Depth=2
	s_or_b32 exec_lo, exec_lo, s7
	v_lshrrev_b32_e32 v37, 21, v37
	s_delay_alu instid0(VALU_DEP_2) | instskip(SKIP_2) | instid1(VALU_DEP_3)
	v_cmp_gt_i32_e64 s7, 32, v12
	v_lshrrev_b32_e32 v16, 24, v16
	v_min_i32_e32 v38, 31, v12
	v_cndmask_b32_e64 v37, 3, v37, s7
	s_delay_alu instid0(VALU_DEP_3) | instskip(NEXT) | instid1(VALU_DEP_3)
	v_and_b32_e32 v16, 0x80, v16
	v_lshlrev_b32_e32 v38, 2, v38
	s_delay_alu instid0(VALU_DEP_3) | instskip(SKIP_1) | instid1(VALU_DEP_2)
	v_and_b32_e32 v39, 3, v37
	v_or_b32_e32 v12, v12, v37
	v_or3_b32 v16, v38, v16, v39
	s_delay_alu instid0(VALU_DEP_2) | instskip(NEXT) | instid1(VALU_DEP_1)
	v_cmp_ne_u32_e64 s7, 0, v12
	v_cndmask_b32_e64 v12, 0, v16, s7
.LBB6_4792:                             ;   in Loop: Header=BB6_4601 Depth=2
	s_or_b32 exec_lo, exec_lo, s25
.LBB6_4793:                             ;   in Loop: Header=BB6_4601 Depth=2
	s_delay_alu instid0(SALU_CYCLE_1) | instskip(SKIP_3) | instid1(VALU_DEP_1)
	s_or_b32 exec_lo, exec_lo, s24
	v_and_b32_e32 v37, 0xff, v17
	s_mov_b32 s10, 0
	s_mov_b32 s25, exec_lo
                                        ; implicit-def: $sgpr24
	v_cmpx_lt_i16_e32 0x7f, v37
	s_xor_b32 s25, exec_lo, s25
	s_cbranch_execnz .LBB6_4951
; %bb.4794:                             ;   in Loop: Header=BB6_4601 Depth=2
	s_or_saveexec_b32 s25, s25
	v_mov_b32_e32 v16, s24
	s_xor_b32 exec_lo, exec_lo, s25
	s_cbranch_execnz .LBB6_4954
.LBB6_4795:                             ;   in Loop: Header=BB6_4601 Depth=2
	s_or_b32 exec_lo, exec_lo, s25
	s_and_saveexec_b32 s24, s10
	s_cbranch_execz .LBB6_4797
.LBB6_4796:                             ;   in Loop: Header=BB6_4601 Depth=2
	v_and_b32_e32 v16, 3, v17
	v_bfe_u32 v39, v17, 2, 5
	v_lshlrev_b32_e32 v48, 24, v17
	s_delay_alu instid0(VALU_DEP_3) | instskip(NEXT) | instid1(VALU_DEP_3)
	v_clz_i32_u32_e32 v37, v16
	v_cmp_eq_u32_e64 s7, 0, v39
	s_delay_alu instid0(VALU_DEP_2) | instskip(NEXT) | instid1(VALU_DEP_1)
	v_min_u32_e32 v37, 32, v37
	v_subrev_nc_u32_e32 v38, 29, v37
	v_sub_nc_u32_e32 v37, 30, v37
	s_delay_alu instid0(VALU_DEP_2) | instskip(NEXT) | instid1(VALU_DEP_2)
	v_lshlrev_b32_e32 v38, v38, v17
	v_cndmask_b32_e64 v37, v39, v37, s7
	s_delay_alu instid0(VALU_DEP_2) | instskip(NEXT) | instid1(VALU_DEP_2)
	v_and_b32_e32 v38, 3, v38
	v_lshl_add_u32 v37, v37, 23, 0x37800000
	s_delay_alu instid0(VALU_DEP_2) | instskip(SKIP_1) | instid1(VALU_DEP_2)
	v_cndmask_b32_e64 v16, v16, v38, s7
	v_and_b32_e32 v38, 0x80000000, v48
	v_lshlrev_b32_e32 v16, 21, v16
	s_delay_alu instid0(VALU_DEP_1)
	v_or3_b32 v16, v38, v37, v16
.LBB6_4797:                             ;   in Loop: Header=BB6_4601 Depth=2
	s_or_b32 exec_lo, exec_lo, s24
	v_and_b32_e32 v38, 0xff, v13
	s_mov_b32 s10, 0
	s_mov_b32 s25, exec_lo
                                        ; implicit-def: $sgpr24
	s_delay_alu instid0(VALU_DEP_1)
	v_cmpx_lt_i16_e32 0x7f, v38
	s_xor_b32 s25, exec_lo, s25
	s_cbranch_execnz .LBB6_4955
; %bb.4798:                             ;   in Loop: Header=BB6_4601 Depth=2
	s_or_saveexec_b32 s25, s25
	v_mov_b32_e32 v37, s24
	s_xor_b32 exec_lo, exec_lo, s25
	s_cbranch_execnz .LBB6_4958
.LBB6_4799:                             ;   in Loop: Header=BB6_4601 Depth=2
	s_or_b32 exec_lo, exec_lo, s25
	s_and_saveexec_b32 s24, s10
	s_cbranch_execz .LBB6_4801
.LBB6_4800:                             ;   in Loop: Header=BB6_4601 Depth=2
	v_and_b32_e32 v37, 3, v13
	v_bfe_u32 v48, v13, 2, 5
	v_lshlrev_b32_e32 v49, 24, v13
	s_delay_alu instid0(VALU_DEP_3) | instskip(NEXT) | instid1(VALU_DEP_3)
	v_clz_i32_u32_e32 v38, v37
	v_cmp_eq_u32_e64 s7, 0, v48
	s_delay_alu instid0(VALU_DEP_2) | instskip(NEXT) | instid1(VALU_DEP_1)
	v_min_u32_e32 v38, 32, v38
	v_subrev_nc_u32_e32 v39, 29, v38
	v_sub_nc_u32_e32 v38, 30, v38
	s_delay_alu instid0(VALU_DEP_2) | instskip(NEXT) | instid1(VALU_DEP_2)
	v_lshlrev_b32_e32 v39, v39, v13
	v_cndmask_b32_e64 v38, v48, v38, s7
	s_delay_alu instid0(VALU_DEP_2) | instskip(NEXT) | instid1(VALU_DEP_2)
	v_and_b32_e32 v39, 3, v39
	v_lshl_add_u32 v38, v38, 23, 0x37800000
	s_delay_alu instid0(VALU_DEP_2) | instskip(SKIP_1) | instid1(VALU_DEP_2)
	v_cndmask_b32_e64 v37, v37, v39, s7
	v_and_b32_e32 v39, 0x80000000, v49
	v_lshlrev_b32_e32 v37, 21, v37
	s_delay_alu instid0(VALU_DEP_1)
	v_or3_b32 v37, v39, v38, v37
.LBB6_4801:                             ;   in Loop: Header=BB6_4601 Depth=2
	s_or_b32 exec_lo, exec_lo, s24
	s_delay_alu instid0(VALU_DEP_1) | instskip(NEXT) | instid1(VALU_DEP_1)
	v_mul_f32_e32 v37, v16, v37
	v_and_b32_e32 v16, 0x7f800000, v37
	s_delay_alu instid0(VALU_DEP_1) | instskip(SKIP_1) | instid1(VALU_DEP_2)
	v_cmp_ne_u32_e64 s7, 0x7f800000, v16
	v_mov_b32_e32 v16, 0x80
	s_and_saveexec_b32 s24, s7
	s_cbranch_execz .LBB6_4809
; %bb.4802:                             ;   in Loop: Header=BB6_4601 Depth=2
	v_mov_b32_e32 v16, 0
	s_mov_b32 s25, exec_lo
	v_cmpx_ne_u32_e32 0, v37
	s_cbranch_execz .LBB6_4808
; %bb.4803:                             ;   in Loop: Header=BB6_4601 Depth=2
	v_bfe_u32 v16, v37, 23, 8
	v_and_b32_e32 v38, 0x7fffff, v37
	s_delay_alu instid0(VALU_DEP_2) | instskip(SKIP_1) | instid1(VALU_DEP_3)
	v_sub_nc_u32_e32 v39, 0x70, v16
	v_cmp_gt_u32_e64 s7, 0x71, v16
	v_or_b32_e32 v48, 0x800000, v38
	s_delay_alu instid0(VALU_DEP_2) | instskip(SKIP_2) | instid1(VALU_DEP_2)
	v_cndmask_b32_e64 v39, 0, v39, s7
	v_cmp_eq_u32_e64 s7, 0, v16
	v_add_nc_u32_e32 v16, 0xffffff91, v16
	v_cndmask_b32_e64 v39, v39, 0x6f, s7
	v_cndmask_b32_e64 v38, v48, v38, s7
	s_delay_alu instid0(VALU_DEP_3) | instskip(NEXT) | instid1(VALU_DEP_3)
	v_cndmask_b32_e64 v16, v16, 0xffffff92, s7
	v_lshl_add_u32 v48, 0x200000, v39, -1
	s_delay_alu instid0(VALU_DEP_3) | instskip(SKIP_1) | instid1(VALU_DEP_4)
	v_lshrrev_b32_e32 v49, v39, v38
	v_lshlrev_b32_e64 v51, v39, 0x100000
	v_add_nc_u32_e32 v39, v39, v16
	s_delay_alu instid0(VALU_DEP_4) | instskip(NEXT) | instid1(VALU_DEP_4)
	v_and_b32_e32 v38, v48, v38
	v_bfe_u32 v50, v49, 21, 1
	s_delay_alu instid0(VALU_DEP_2) | instskip(NEXT) | instid1(VALU_DEP_2)
	v_cmp_eq_u32_e64 s10, v38, v51
	v_add_nc_u32_e32 v48, -1, v50
	s_delay_alu instid0(VALU_DEP_1) | instskip(SKIP_2) | instid1(VALU_DEP_2)
	v_cndmask_b32_e64 v38, 0, v48, s10
	v_lshrrev_b32_e32 v48, 23, v49
	s_mov_b32 s10, exec_lo
	v_add_nc_u32_e32 v38, v38, v49
	s_delay_alu instid0(VALU_DEP_2) | instskip(NEXT) | instid1(VALU_DEP_2)
	v_xor_b32_e32 v48, 1, v48
	v_and_b32_e32 v16, 0x1fffff, v38
	s_delay_alu instid0(VALU_DEP_1) | instskip(NEXT) | instid1(VALU_DEP_3)
	v_add_nc_u32_e32 v38, v16, v49
                                        ; implicit-def: $vgpr16
	v_cmpx_ne_u32_e64 v39, v48
	s_xor_b32 s10, exec_lo, s10
; %bb.4804:                             ;   in Loop: Header=BB6_4601 Depth=2
	s_delay_alu instid0(VALU_DEP_2) | instskip(SKIP_1) | instid1(VALU_DEP_2)
	v_cmp_lt_u32_e64 s7, 0xffffff, v38
	v_sub_nc_u32_e32 v16, v39, v48
	v_cndmask_b32_e64 v39, 0, 1, s7
	s_delay_alu instid0(VALU_DEP_2) | instskip(NEXT) | instid1(VALU_DEP_2)
	v_add_co_ci_u32_e64 v16, s7, 0, v16, s7
	v_lshrrev_b32_e32 v38, v39, v38
; %bb.4805:                             ;   in Loop: Header=BB6_4601 Depth=2
	s_and_not1_saveexec_b32 s7, s10
; %bb.4806:                             ;   in Loop: Header=BB6_4601 Depth=2
	s_delay_alu instid0(VALU_DEP_1)
	v_bfe_u32 v16, v38, 23, 1
; %bb.4807:                             ;   in Loop: Header=BB6_4601 Depth=2
	s_or_b32 exec_lo, exec_lo, s7
	v_lshrrev_b32_e32 v38, 21, v38
	s_delay_alu instid0(VALU_DEP_2) | instskip(SKIP_2) | instid1(VALU_DEP_3)
	v_cmp_gt_i32_e64 s7, 32, v16
	v_lshrrev_b32_e32 v37, 24, v37
	v_min_i32_e32 v39, 31, v16
	v_cndmask_b32_e64 v38, 3, v38, s7
	s_delay_alu instid0(VALU_DEP_3) | instskip(NEXT) | instid1(VALU_DEP_3)
	v_and_b32_e32 v37, 0x80, v37
	v_lshlrev_b32_e32 v39, 2, v39
	s_delay_alu instid0(VALU_DEP_3) | instskip(SKIP_1) | instid1(VALU_DEP_2)
	v_and_b32_e32 v48, 3, v38
	v_or_b32_e32 v16, v16, v38
	v_or3_b32 v37, v39, v37, v48
	s_delay_alu instid0(VALU_DEP_2) | instskip(NEXT) | instid1(VALU_DEP_1)
	v_cmp_ne_u32_e64 s7, 0, v16
	v_cndmask_b32_e64 v16, 0, v37, s7
.LBB6_4808:                             ;   in Loop: Header=BB6_4601 Depth=2
	s_or_b32 exec_lo, exec_lo, s25
.LBB6_4809:                             ;   in Loop: Header=BB6_4601 Depth=2
	s_delay_alu instid0(SALU_CYCLE_1) | instskip(SKIP_3) | instid1(VALU_DEP_1)
	s_or_b32 exec_lo, exec_lo, s24
	v_lshrrev_b16 v38, 8, v17
	s_mov_b32 s10, 0
	s_mov_b32 s25, exec_lo
                                        ; implicit-def: $sgpr24
	v_cmpx_lt_i16_e32 0x7f, v38
	s_xor_b32 s25, exec_lo, s25
	s_cbranch_execnz .LBB6_4959
; %bb.4810:                             ;   in Loop: Header=BB6_4601 Depth=2
	s_or_saveexec_b32 s25, s25
	v_mov_b32_e32 v37, s24
	s_xor_b32 exec_lo, exec_lo, s25
	s_cbranch_execnz .LBB6_4962
.LBB6_4811:                             ;   in Loop: Header=BB6_4601 Depth=2
	s_or_b32 exec_lo, exec_lo, s25
	s_and_saveexec_b32 s24, s10
	s_cbranch_execz .LBB6_4813
.LBB6_4812:                             ;   in Loop: Header=BB6_4601 Depth=2
	v_and_b32_e32 v37, 0xffff, v38
	v_lshlrev_b32_e32 v38, 24, v38
	s_delay_alu instid0(VALU_DEP_2) | instskip(NEXT) | instid1(VALU_DEP_2)
	v_and_b32_e32 v39, 3, v37
	v_and_b32_e32 v38, 0x80000000, v38
	s_delay_alu instid0(VALU_DEP_2) | instskip(NEXT) | instid1(VALU_DEP_1)
	v_clz_i32_u32_e32 v48, v39
	v_min_u32_e32 v48, 32, v48
	s_delay_alu instid0(VALU_DEP_1) | instskip(SKIP_1) | instid1(VALU_DEP_2)
	v_subrev_nc_u32_e32 v49, 29, v48
	v_sub_nc_u32_e32 v48, 30, v48
	v_lshlrev_b32_e32 v49, v49, v37
	v_bfe_u32 v37, v37, 2, 5
	s_delay_alu instid0(VALU_DEP_2) | instskip(NEXT) | instid1(VALU_DEP_2)
	v_and_b32_e32 v49, 3, v49
	v_cmp_eq_u32_e64 s7, 0, v37
	s_delay_alu instid0(VALU_DEP_1) | instskip(NEXT) | instid1(VALU_DEP_3)
	v_cndmask_b32_e64 v37, v37, v48, s7
	v_cndmask_b32_e64 v39, v39, v49, s7
	s_delay_alu instid0(VALU_DEP_2) | instskip(NEXT) | instid1(VALU_DEP_2)
	v_lshl_add_u32 v37, v37, 23, 0x37800000
	v_lshlrev_b32_e32 v39, 21, v39
	s_delay_alu instid0(VALU_DEP_1)
	v_or3_b32 v37, v38, v37, v39
.LBB6_4813:                             ;   in Loop: Header=BB6_4601 Depth=2
	s_or_b32 exec_lo, exec_lo, s24
	v_lshrrev_b16 v38, 8, v13
	s_mov_b32 s10, 0
	s_mov_b32 s25, exec_lo
                                        ; implicit-def: $sgpr24
	s_delay_alu instid0(VALU_DEP_1)
	v_cmpx_lt_i16_e32 0x7f, v38
	s_xor_b32 s25, exec_lo, s25
	s_cbranch_execnz .LBB6_4963
; %bb.4814:                             ;   in Loop: Header=BB6_4601 Depth=2
	s_or_saveexec_b32 s25, s25
	v_mov_b32_e32 v39, s24
	s_xor_b32 exec_lo, exec_lo, s25
	s_cbranch_execnz .LBB6_4966
.LBB6_4815:                             ;   in Loop: Header=BB6_4601 Depth=2
	s_or_b32 exec_lo, exec_lo, s25
	s_and_saveexec_b32 s24, s10
	s_cbranch_execz .LBB6_4817
.LBB6_4816:                             ;   in Loop: Header=BB6_4601 Depth=2
	v_and_b32_e32 v39, 0xffff, v38
	v_lshlrev_b32_e32 v38, 24, v38
	s_delay_alu instid0(VALU_DEP_2) | instskip(NEXT) | instid1(VALU_DEP_2)
	v_and_b32_e32 v48, 3, v39
	v_and_b32_e32 v38, 0x80000000, v38
	s_delay_alu instid0(VALU_DEP_2) | instskip(NEXT) | instid1(VALU_DEP_1)
	v_clz_i32_u32_e32 v49, v48
	v_min_u32_e32 v49, 32, v49
	s_delay_alu instid0(VALU_DEP_1) | instskip(SKIP_1) | instid1(VALU_DEP_2)
	v_subrev_nc_u32_e32 v50, 29, v49
	v_sub_nc_u32_e32 v49, 30, v49
	v_lshlrev_b32_e32 v50, v50, v39
	v_bfe_u32 v39, v39, 2, 5
	s_delay_alu instid0(VALU_DEP_2) | instskip(NEXT) | instid1(VALU_DEP_2)
	v_and_b32_e32 v50, 3, v50
	v_cmp_eq_u32_e64 s7, 0, v39
	s_delay_alu instid0(VALU_DEP_1) | instskip(NEXT) | instid1(VALU_DEP_3)
	v_cndmask_b32_e64 v39, v39, v49, s7
	v_cndmask_b32_e64 v48, v48, v50, s7
	s_delay_alu instid0(VALU_DEP_2) | instskip(NEXT) | instid1(VALU_DEP_2)
	v_lshl_add_u32 v39, v39, 23, 0x37800000
	v_lshlrev_b32_e32 v48, 21, v48
	s_delay_alu instid0(VALU_DEP_1)
	v_or3_b32 v39, v38, v39, v48
.LBB6_4817:                             ;   in Loop: Header=BB6_4601 Depth=2
	s_or_b32 exec_lo, exec_lo, s24
	s_delay_alu instid0(VALU_DEP_1) | instskip(NEXT) | instid1(VALU_DEP_1)
	v_mul_f32_e32 v38, v37, v39
	v_and_b32_e32 v37, 0x7f800000, v38
	s_delay_alu instid0(VALU_DEP_1) | instskip(SKIP_1) | instid1(VALU_DEP_2)
	v_cmp_ne_u32_e64 s7, 0x7f800000, v37
	v_mov_b32_e32 v37, 0x8000
	s_and_saveexec_b32 s24, s7
	s_cbranch_execz .LBB6_4825
; %bb.4818:                             ;   in Loop: Header=BB6_4601 Depth=2
	v_mov_b32_e32 v37, 0
	s_mov_b32 s25, exec_lo
	v_cmpx_ne_u32_e32 0, v38
	s_cbranch_execz .LBB6_4824
; %bb.4819:                             ;   in Loop: Header=BB6_4601 Depth=2
	v_bfe_u32 v37, v38, 23, 8
	v_and_b32_e32 v39, 0x7fffff, v38
	s_delay_alu instid0(VALU_DEP_2) | instskip(SKIP_1) | instid1(VALU_DEP_3)
	v_sub_nc_u32_e32 v48, 0x70, v37
	v_cmp_gt_u32_e64 s7, 0x71, v37
	v_or_b32_e32 v49, 0x800000, v39
	s_delay_alu instid0(VALU_DEP_2) | instskip(SKIP_2) | instid1(VALU_DEP_2)
	v_cndmask_b32_e64 v48, 0, v48, s7
	v_cmp_eq_u32_e64 s7, 0, v37
	v_add_nc_u32_e32 v37, 0xffffff91, v37
	v_cndmask_b32_e64 v48, v48, 0x6f, s7
	v_cndmask_b32_e64 v39, v49, v39, s7
	s_delay_alu instid0(VALU_DEP_3) | instskip(NEXT) | instid1(VALU_DEP_3)
	v_cndmask_b32_e64 v37, v37, 0xffffff92, s7
	v_lshl_add_u32 v49, 0x200000, v48, -1
	s_delay_alu instid0(VALU_DEP_3) | instskip(SKIP_1) | instid1(VALU_DEP_4)
	v_lshrrev_b32_e32 v50, v48, v39
	v_lshlrev_b32_e64 v85, v48, 0x100000
	v_add_nc_u32_e32 v48, v48, v37
	s_delay_alu instid0(VALU_DEP_4) | instskip(NEXT) | instid1(VALU_DEP_4)
	v_and_b32_e32 v39, v49, v39
	v_bfe_u32 v51, v50, 21, 1
	s_delay_alu instid0(VALU_DEP_2) | instskip(NEXT) | instid1(VALU_DEP_2)
	v_cmp_eq_u32_e64 s10, v39, v85
	v_add_nc_u32_e32 v49, -1, v51
	s_delay_alu instid0(VALU_DEP_1) | instskip(SKIP_2) | instid1(VALU_DEP_2)
	v_cndmask_b32_e64 v39, 0, v49, s10
	v_lshrrev_b32_e32 v49, 23, v50
	s_mov_b32 s10, exec_lo
	v_add_nc_u32_e32 v39, v39, v50
	s_delay_alu instid0(VALU_DEP_2) | instskip(NEXT) | instid1(VALU_DEP_2)
	v_xor_b32_e32 v49, 1, v49
	v_and_b32_e32 v37, 0x1fffff, v39
	s_delay_alu instid0(VALU_DEP_1) | instskip(NEXT) | instid1(VALU_DEP_3)
	v_add_nc_u32_e32 v39, v37, v50
                                        ; implicit-def: $vgpr37
	v_cmpx_ne_u32_e64 v48, v49
	s_xor_b32 s10, exec_lo, s10
; %bb.4820:                             ;   in Loop: Header=BB6_4601 Depth=2
	s_delay_alu instid0(VALU_DEP_2) | instskip(SKIP_1) | instid1(VALU_DEP_2)
	v_cmp_lt_u32_e64 s7, 0xffffff, v39
	v_sub_nc_u32_e32 v37, v48, v49
	v_cndmask_b32_e64 v48, 0, 1, s7
	s_delay_alu instid0(VALU_DEP_2) | instskip(NEXT) | instid1(VALU_DEP_2)
	v_add_co_ci_u32_e64 v37, s7, 0, v37, s7
	v_lshrrev_b32_e32 v39, v48, v39
; %bb.4821:                             ;   in Loop: Header=BB6_4601 Depth=2
	s_and_not1_saveexec_b32 s7, s10
; %bb.4822:                             ;   in Loop: Header=BB6_4601 Depth=2
	s_delay_alu instid0(VALU_DEP_1)
	v_bfe_u32 v37, v39, 23, 1
; %bb.4823:                             ;   in Loop: Header=BB6_4601 Depth=2
	s_or_b32 exec_lo, exec_lo, s7
	v_lshrrev_b32_e32 v39, 21, v39
	s_delay_alu instid0(VALU_DEP_2) | instskip(SKIP_2) | instid1(VALU_DEP_3)
	v_min_i32_e32 v48, 31, v37
	v_cmp_gt_i32_e64 s7, 32, v37
	v_lshrrev_b32_e32 v38, 24, v38
	v_lshlrev_b32_e32 v48, 2, v48
	s_delay_alu instid0(VALU_DEP_3) | instskip(NEXT) | instid1(VALU_DEP_3)
	v_cndmask_b32_e64 v39, 3, v39, s7
	v_and_b32_e32 v38, 0x80, v38
	s_delay_alu instid0(VALU_DEP_3) | instskip(NEXT) | instid1(VALU_DEP_3)
	v_and_b32_e32 v48, 0xfc, v48
	v_and_b32_e32 v49, 3, v39
	v_or_b32_e32 v37, v37, v39
	s_delay_alu instid0(VALU_DEP_2) | instskip(NEXT) | instid1(VALU_DEP_2)
	v_or3_b32 v38, v38, v48, v49
	v_cmp_ne_u32_e64 s7, 0, v37
	s_delay_alu instid0(VALU_DEP_2) | instskip(NEXT) | instid1(VALU_DEP_1)
	v_lshlrev_b32_e32 v38, 8, v38
	v_cndmask_b32_e64 v37, 0, v38, s7
.LBB6_4824:                             ;   in Loop: Header=BB6_4601 Depth=2
	s_or_b32 exec_lo, exec_lo, s25
.LBB6_4825:                             ;   in Loop: Header=BB6_4601 Depth=2
	s_delay_alu instid0(SALU_CYCLE_1) | instskip(SKIP_3) | instid1(VALU_DEP_1)
	s_or_b32 exec_lo, exec_lo, s24
	v_lshrrev_b32_e32 v39, 16, v17
	s_mov_b32 s10, 0
	s_mov_b32 s25, exec_lo
                                        ; implicit-def: $sgpr24
	v_and_b32_e32 v48, 0xff, v39
	s_delay_alu instid0(VALU_DEP_1)
	v_cmpx_lt_i16_e32 0x7f, v48
	s_xor_b32 s25, exec_lo, s25
	s_cbranch_execnz .LBB6_4967
; %bb.4826:                             ;   in Loop: Header=BB6_4601 Depth=2
	s_or_saveexec_b32 s25, s25
	v_mov_b32_e32 v38, s24
	s_xor_b32 exec_lo, exec_lo, s25
	s_cbranch_execnz .LBB6_4970
.LBB6_4827:                             ;   in Loop: Header=BB6_4601 Depth=2
	s_or_b32 exec_lo, exec_lo, s25
	s_and_saveexec_b32 s24, s10
	s_cbranch_execz .LBB6_4829
.LBB6_4828:                             ;   in Loop: Header=BB6_4601 Depth=2
	v_bfe_u32 v38, v17, 16, 2
	v_lshlrev_b32_e32 v50, 8, v17
	s_delay_alu instid0(VALU_DEP_2) | instskip(NEXT) | instid1(VALU_DEP_1)
	v_clz_i32_u32_e32 v48, v38
	v_min_u32_e32 v48, 32, v48
	s_delay_alu instid0(VALU_DEP_1) | instskip(SKIP_1) | instid1(VALU_DEP_2)
	v_subrev_nc_u32_e32 v49, 29, v48
	v_sub_nc_u32_e32 v48, 30, v48
	v_lshlrev_b32_e32 v39, v49, v39
	v_bfe_u32 v49, v17, 18, 5
	s_delay_alu instid0(VALU_DEP_2) | instskip(NEXT) | instid1(VALU_DEP_2)
	v_and_b32_e32 v39, 3, v39
	v_cmp_eq_u32_e64 s7, 0, v49
	s_delay_alu instid0(VALU_DEP_1) | instskip(NEXT) | instid1(VALU_DEP_3)
	v_cndmask_b32_e64 v48, v49, v48, s7
	v_cndmask_b32_e64 v38, v38, v39, s7
	v_and_b32_e32 v39, 0x80000000, v50
	s_delay_alu instid0(VALU_DEP_3) | instskip(NEXT) | instid1(VALU_DEP_3)
	v_lshl_add_u32 v48, v48, 23, 0x37800000
	v_lshlrev_b32_e32 v38, 21, v38
	s_delay_alu instid0(VALU_DEP_1)
	v_or3_b32 v38, v39, v48, v38
.LBB6_4829:                             ;   in Loop: Header=BB6_4601 Depth=2
	s_or_b32 exec_lo, exec_lo, s24
	v_lshrrev_b32_e32 v39, 16, v13
	s_mov_b32 s10, 0
	s_mov_b32 s25, exec_lo
                                        ; implicit-def: $sgpr24
	s_delay_alu instid0(VALU_DEP_1) | instskip(NEXT) | instid1(VALU_DEP_1)
	v_and_b32_e32 v49, 0xff, v39
	v_cmpx_lt_i16_e32 0x7f, v49
	s_xor_b32 s25, exec_lo, s25
	s_cbranch_execnz .LBB6_4971
; %bb.4830:                             ;   in Loop: Header=BB6_4601 Depth=2
	s_or_saveexec_b32 s25, s25
	v_mov_b32_e32 v48, s24
	s_xor_b32 exec_lo, exec_lo, s25
	s_cbranch_execnz .LBB6_4974
.LBB6_4831:                             ;   in Loop: Header=BB6_4601 Depth=2
	s_or_b32 exec_lo, exec_lo, s25
	s_and_saveexec_b32 s24, s10
	s_cbranch_execz .LBB6_4833
.LBB6_4832:                             ;   in Loop: Header=BB6_4601 Depth=2
	v_bfe_u32 v48, v13, 16, 2
	v_lshlrev_b32_e32 v51, 8, v13
	s_delay_alu instid0(VALU_DEP_2) | instskip(NEXT) | instid1(VALU_DEP_1)
	v_clz_i32_u32_e32 v49, v48
	v_min_u32_e32 v49, 32, v49
	s_delay_alu instid0(VALU_DEP_1) | instskip(SKIP_1) | instid1(VALU_DEP_2)
	v_subrev_nc_u32_e32 v50, 29, v49
	v_sub_nc_u32_e32 v49, 30, v49
	v_lshlrev_b32_e32 v39, v50, v39
	v_bfe_u32 v50, v13, 18, 5
	s_delay_alu instid0(VALU_DEP_2) | instskip(NEXT) | instid1(VALU_DEP_2)
	v_and_b32_e32 v39, 3, v39
	v_cmp_eq_u32_e64 s7, 0, v50
	s_delay_alu instid0(VALU_DEP_1) | instskip(NEXT) | instid1(VALU_DEP_3)
	v_cndmask_b32_e64 v49, v50, v49, s7
	v_cndmask_b32_e64 v39, v48, v39, s7
	v_and_b32_e32 v48, 0x80000000, v51
	s_delay_alu instid0(VALU_DEP_3) | instskip(NEXT) | instid1(VALU_DEP_3)
	v_lshl_add_u32 v49, v49, 23, 0x37800000
	v_lshlrev_b32_e32 v39, 21, v39
	s_delay_alu instid0(VALU_DEP_1)
	v_or3_b32 v48, v48, v49, v39
.LBB6_4833:                             ;   in Loop: Header=BB6_4601 Depth=2
	s_or_b32 exec_lo, exec_lo, s24
	s_delay_alu instid0(VALU_DEP_1) | instskip(NEXT) | instid1(VALU_DEP_1)
	v_mul_f32_e32 v39, v38, v48
	v_and_b32_e32 v38, 0x7f800000, v39
	s_delay_alu instid0(VALU_DEP_1) | instskip(SKIP_1) | instid1(VALU_DEP_2)
	v_cmp_ne_u32_e64 s7, 0x7f800000, v38
	v_mov_b32_e32 v38, 0x80
	s_and_saveexec_b32 s24, s7
	s_cbranch_execz .LBB6_4841
; %bb.4834:                             ;   in Loop: Header=BB6_4601 Depth=2
	v_mov_b32_e32 v38, 0
	s_mov_b32 s25, exec_lo
	v_cmpx_ne_u32_e32 0, v39
	s_cbranch_execz .LBB6_4840
; %bb.4835:                             ;   in Loop: Header=BB6_4601 Depth=2
	v_bfe_u32 v38, v39, 23, 8
	v_and_b32_e32 v48, 0x7fffff, v39
	s_delay_alu instid0(VALU_DEP_2) | instskip(SKIP_1) | instid1(VALU_DEP_3)
	v_sub_nc_u32_e32 v49, 0x70, v38
	v_cmp_gt_u32_e64 s7, 0x71, v38
	v_or_b32_e32 v50, 0x800000, v48
	s_delay_alu instid0(VALU_DEP_2) | instskip(SKIP_2) | instid1(VALU_DEP_2)
	v_cndmask_b32_e64 v49, 0, v49, s7
	v_cmp_eq_u32_e64 s7, 0, v38
	v_add_nc_u32_e32 v38, 0xffffff91, v38
	v_cndmask_b32_e64 v49, v49, 0x6f, s7
	v_cndmask_b32_e64 v48, v50, v48, s7
	s_delay_alu instid0(VALU_DEP_3) | instskip(NEXT) | instid1(VALU_DEP_3)
	v_cndmask_b32_e64 v38, v38, 0xffffff92, s7
	v_lshl_add_u32 v50, 0x200000, v49, -1
	s_delay_alu instid0(VALU_DEP_3) | instskip(SKIP_1) | instid1(VALU_DEP_4)
	v_lshrrev_b32_e32 v51, v49, v48
	v_lshlrev_b32_e64 v86, v49, 0x100000
	v_add_nc_u32_e32 v49, v49, v38
	s_delay_alu instid0(VALU_DEP_4) | instskip(NEXT) | instid1(VALU_DEP_4)
	v_and_b32_e32 v48, v50, v48
	v_bfe_u32 v85, v51, 21, 1
	s_delay_alu instid0(VALU_DEP_2) | instskip(NEXT) | instid1(VALU_DEP_2)
	v_cmp_eq_u32_e64 s10, v48, v86
	v_add_nc_u32_e32 v50, -1, v85
	s_delay_alu instid0(VALU_DEP_1) | instskip(SKIP_2) | instid1(VALU_DEP_2)
	v_cndmask_b32_e64 v48, 0, v50, s10
	v_lshrrev_b32_e32 v50, 23, v51
	s_mov_b32 s10, exec_lo
	v_add_nc_u32_e32 v48, v48, v51
	s_delay_alu instid0(VALU_DEP_2) | instskip(NEXT) | instid1(VALU_DEP_2)
	v_xor_b32_e32 v50, 1, v50
	v_and_b32_e32 v38, 0x1fffff, v48
	s_delay_alu instid0(VALU_DEP_1) | instskip(NEXT) | instid1(VALU_DEP_3)
	v_add_nc_u32_e32 v48, v38, v51
                                        ; implicit-def: $vgpr38
	v_cmpx_ne_u32_e64 v49, v50
	s_xor_b32 s10, exec_lo, s10
; %bb.4836:                             ;   in Loop: Header=BB6_4601 Depth=2
	s_delay_alu instid0(VALU_DEP_2) | instskip(SKIP_1) | instid1(VALU_DEP_2)
	v_cmp_lt_u32_e64 s7, 0xffffff, v48
	v_sub_nc_u32_e32 v38, v49, v50
	v_cndmask_b32_e64 v49, 0, 1, s7
	s_delay_alu instid0(VALU_DEP_2) | instskip(NEXT) | instid1(VALU_DEP_2)
	v_add_co_ci_u32_e64 v38, s7, 0, v38, s7
	v_lshrrev_b32_e32 v48, v49, v48
; %bb.4837:                             ;   in Loop: Header=BB6_4601 Depth=2
	s_and_not1_saveexec_b32 s7, s10
; %bb.4838:                             ;   in Loop: Header=BB6_4601 Depth=2
	s_delay_alu instid0(VALU_DEP_1)
	v_bfe_u32 v38, v48, 23, 1
; %bb.4839:                             ;   in Loop: Header=BB6_4601 Depth=2
	s_or_b32 exec_lo, exec_lo, s7
	v_lshrrev_b32_e32 v48, 21, v48
	s_delay_alu instid0(VALU_DEP_2) | instskip(SKIP_2) | instid1(VALU_DEP_3)
	v_min_i32_e32 v49, 31, v38
	v_cmp_gt_i32_e64 s7, 32, v38
	v_lshrrev_b32_e32 v39, 24, v39
	v_lshlrev_b32_e32 v49, 2, v49
	s_delay_alu instid0(VALU_DEP_3) | instskip(NEXT) | instid1(VALU_DEP_3)
	v_cndmask_b32_e64 v48, 3, v48, s7
	v_and_b32_e32 v39, 0x80, v39
	s_delay_alu instid0(VALU_DEP_3) | instskip(NEXT) | instid1(VALU_DEP_3)
	v_and_b32_e32 v49, 0xfc, v49
	v_and_b32_e32 v50, 3, v48
	v_or_b32_e32 v38, v38, v48
	s_delay_alu instid0(VALU_DEP_2) | instskip(NEXT) | instid1(VALU_DEP_2)
	v_or3_b32 v39, v49, v39, v50
	v_cmp_ne_u32_e64 s7, 0, v38
	s_delay_alu instid0(VALU_DEP_1)
	v_cndmask_b32_e64 v38, 0, v39, s7
.LBB6_4840:                             ;   in Loop: Header=BB6_4601 Depth=2
	s_or_b32 exec_lo, exec_lo, s25
.LBB6_4841:                             ;   in Loop: Header=BB6_4601 Depth=2
	s_delay_alu instid0(SALU_CYCLE_1) | instskip(SKIP_3) | instid1(VALU_DEP_1)
	s_or_b32 exec_lo, exec_lo, s24
	v_lshrrev_b32_e32 v48, 24, v17
	s_mov_b32 s10, 0
	s_mov_b32 s25, exec_lo
                                        ; implicit-def: $sgpr24
	v_cmpx_lt_i16_e32 0x7f, v48
	s_xor_b32 s25, exec_lo, s25
	s_cbranch_execnz .LBB6_4975
; %bb.4842:                             ;   in Loop: Header=BB6_4601 Depth=2
	s_or_saveexec_b32 s25, s25
	v_mov_b32_e32 v39, s24
	s_xor_b32 exec_lo, exec_lo, s25
	s_cbranch_execnz .LBB6_4978
.LBB6_4843:                             ;   in Loop: Header=BB6_4601 Depth=2
	s_or_b32 exec_lo, exec_lo, s25
	s_and_saveexec_b32 s24, s10
	s_cbranch_execz .LBB6_4845
.LBB6_4844:                             ;   in Loop: Header=BB6_4601 Depth=2
	v_bfe_u32 v39, v17, 24, 2
	s_delay_alu instid0(VALU_DEP_1) | instskip(NEXT) | instid1(VALU_DEP_1)
	v_clz_i32_u32_e32 v49, v39
	v_min_u32_e32 v49, 32, v49
	s_delay_alu instid0(VALU_DEP_1) | instskip(SKIP_1) | instid1(VALU_DEP_2)
	v_subrev_nc_u32_e32 v50, 29, v49
	v_sub_nc_u32_e32 v49, 30, v49
	v_lshlrev_b32_e32 v48, v50, v48
	v_bfe_u32 v50, v17, 26, 5
	v_and_b32_e32 v17, 0x80000000, v17
	s_delay_alu instid0(VALU_DEP_3) | instskip(NEXT) | instid1(VALU_DEP_3)
	v_and_b32_e32 v48, 3, v48
	v_cmp_eq_u32_e64 s7, 0, v50
	s_delay_alu instid0(VALU_DEP_1) | instskip(NEXT) | instid1(VALU_DEP_3)
	v_cndmask_b32_e64 v49, v50, v49, s7
	v_cndmask_b32_e64 v39, v39, v48, s7
	s_delay_alu instid0(VALU_DEP_2) | instskip(NEXT) | instid1(VALU_DEP_2)
	v_lshl_add_u32 v48, v49, 23, 0x37800000
	v_lshlrev_b32_e32 v39, 21, v39
	s_delay_alu instid0(VALU_DEP_1)
	v_or3_b32 v39, v17, v48, v39
.LBB6_4845:                             ;   in Loop: Header=BB6_4601 Depth=2
	s_or_b32 exec_lo, exec_lo, s24
	v_lshrrev_b32_e32 v17, 24, v13
	s_mov_b32 s10, 0
	s_mov_b32 s25, exec_lo
                                        ; implicit-def: $sgpr24
	s_delay_alu instid0(VALU_DEP_1)
	v_cmpx_lt_i16_e32 0x7f, v17
	s_xor_b32 s25, exec_lo, s25
	s_cbranch_execnz .LBB6_4979
; %bb.4846:                             ;   in Loop: Header=BB6_4601 Depth=2
	s_or_saveexec_b32 s25, s25
	v_mov_b32_e32 v48, s24
	s_xor_b32 exec_lo, exec_lo, s25
	s_cbranch_execnz .LBB6_4982
.LBB6_4847:                             ;   in Loop: Header=BB6_4601 Depth=2
	s_or_b32 exec_lo, exec_lo, s25
	s_and_saveexec_b32 s24, s10
	s_cbranch_execz .LBB6_4849
.LBB6_4848:                             ;   in Loop: Header=BB6_4601 Depth=2
	v_bfe_u32 v48, v13, 24, 2
	s_delay_alu instid0(VALU_DEP_1) | instskip(NEXT) | instid1(VALU_DEP_1)
	v_clz_i32_u32_e32 v49, v48
	v_min_u32_e32 v49, 32, v49
	s_delay_alu instid0(VALU_DEP_1) | instskip(SKIP_1) | instid1(VALU_DEP_2)
	v_subrev_nc_u32_e32 v50, 29, v49
	v_sub_nc_u32_e32 v49, 30, v49
	v_lshlrev_b32_e32 v17, v50, v17
	v_bfe_u32 v50, v13, 26, 5
	v_and_b32_e32 v13, 0x80000000, v13
	s_delay_alu instid0(VALU_DEP_3) | instskip(NEXT) | instid1(VALU_DEP_3)
	v_and_b32_e32 v17, 3, v17
	v_cmp_eq_u32_e64 s7, 0, v50
	s_delay_alu instid0(VALU_DEP_1) | instskip(NEXT) | instid1(VALU_DEP_3)
	v_cndmask_b32_e64 v49, v50, v49, s7
	v_cndmask_b32_e64 v17, v48, v17, s7
	s_delay_alu instid0(VALU_DEP_2) | instskip(NEXT) | instid1(VALU_DEP_2)
	v_lshl_add_u32 v48, v49, 23, 0x37800000
	v_lshlrev_b32_e32 v17, 21, v17
	s_delay_alu instid0(VALU_DEP_1)
	v_or3_b32 v48, v13, v48, v17
.LBB6_4849:                             ;   in Loop: Header=BB6_4601 Depth=2
	s_or_b32 exec_lo, exec_lo, s24
	s_delay_alu instid0(VALU_DEP_1) | instskip(NEXT) | instid1(VALU_DEP_1)
	v_mul_f32_e32 v13, v39, v48
	v_and_b32_e32 v17, 0x7f800000, v13
	s_delay_alu instid0(VALU_DEP_1) | instskip(SKIP_1) | instid1(VALU_DEP_2)
	v_cmp_ne_u32_e64 s7, 0x7f800000, v17
	v_mov_b32_e32 v17, 0x8000
	s_and_saveexec_b32 s24, s7
	s_cbranch_execz .LBB6_4600
; %bb.4850:                             ;   in Loop: Header=BB6_4601 Depth=2
	v_mov_b32_e32 v17, 0
	s_mov_b32 s25, exec_lo
	v_cmpx_ne_u32_e32 0, v13
	s_cbranch_execz .LBB6_4599
; %bb.4851:                             ;   in Loop: Header=BB6_4601 Depth=2
	v_bfe_u32 v17, v13, 23, 8
	v_and_b32_e32 v39, 0x7fffff, v13
	s_delay_alu instid0(VALU_DEP_2) | instskip(SKIP_1) | instid1(VALU_DEP_3)
	v_sub_nc_u32_e32 v48, 0x70, v17
	v_cmp_gt_u32_e64 s7, 0x71, v17
	v_or_b32_e32 v49, 0x800000, v39
	s_delay_alu instid0(VALU_DEP_2) | instskip(SKIP_2) | instid1(VALU_DEP_2)
	v_cndmask_b32_e64 v48, 0, v48, s7
	v_cmp_eq_u32_e64 s7, 0, v17
	v_add_nc_u32_e32 v17, 0xffffff91, v17
	v_cndmask_b32_e64 v48, v48, 0x6f, s7
	v_cndmask_b32_e64 v39, v49, v39, s7
	s_delay_alu instid0(VALU_DEP_3) | instskip(NEXT) | instid1(VALU_DEP_3)
	v_cndmask_b32_e64 v17, v17, 0xffffff92, s7
	v_lshl_add_u32 v49, 0x200000, v48, -1
	s_delay_alu instid0(VALU_DEP_3) | instskip(SKIP_1) | instid1(VALU_DEP_4)
	v_lshrrev_b32_e32 v50, v48, v39
	v_lshlrev_b32_e64 v85, v48, 0x100000
	v_add_nc_u32_e32 v48, v48, v17
	s_delay_alu instid0(VALU_DEP_4) | instskip(NEXT) | instid1(VALU_DEP_4)
	v_and_b32_e32 v39, v49, v39
	v_bfe_u32 v51, v50, 21, 1
	s_delay_alu instid0(VALU_DEP_2) | instskip(NEXT) | instid1(VALU_DEP_2)
	v_cmp_eq_u32_e64 s10, v39, v85
	v_add_nc_u32_e32 v49, -1, v51
	s_delay_alu instid0(VALU_DEP_1) | instskip(SKIP_2) | instid1(VALU_DEP_2)
	v_cndmask_b32_e64 v39, 0, v49, s10
	v_lshrrev_b32_e32 v49, 23, v50
	s_mov_b32 s10, exec_lo
	v_add_nc_u32_e32 v39, v39, v50
	s_delay_alu instid0(VALU_DEP_2) | instskip(NEXT) | instid1(VALU_DEP_2)
	v_xor_b32_e32 v49, 1, v49
	v_and_b32_e32 v17, 0x1fffff, v39
	s_delay_alu instid0(VALU_DEP_1) | instskip(NEXT) | instid1(VALU_DEP_3)
	v_add_nc_u32_e32 v39, v17, v50
                                        ; implicit-def: $vgpr17
	v_cmpx_ne_u32_e64 v48, v49
	s_xor_b32 s10, exec_lo, s10
; %bb.4852:                             ;   in Loop: Header=BB6_4601 Depth=2
	s_delay_alu instid0(VALU_DEP_2) | instskip(SKIP_1) | instid1(VALU_DEP_2)
	v_cmp_lt_u32_e64 s7, 0xffffff, v39
	v_sub_nc_u32_e32 v17, v48, v49
	v_cndmask_b32_e64 v48, 0, 1, s7
	s_delay_alu instid0(VALU_DEP_2) | instskip(NEXT) | instid1(VALU_DEP_2)
	v_add_co_ci_u32_e64 v17, s7, 0, v17, s7
	v_lshrrev_b32_e32 v39, v48, v39
; %bb.4853:                             ;   in Loop: Header=BB6_4601 Depth=2
	s_and_not1_saveexec_b32 s7, s10
	s_cbranch_execz .LBB6_4598
; %bb.4854:                             ;   in Loop: Header=BB6_4601 Depth=2
	s_delay_alu instid0(VALU_DEP_1)
	v_bfe_u32 v17, v39, 23, 1
	s_branch .LBB6_4598
.LBB6_4855:                             ;   in Loop: Header=BB6_4601 Depth=2
	s_mov_b32 s10, -1
	s_mov_b32 s26, exec_lo
                                        ; implicit-def: $sgpr24
	v_cmpx_eq_u16_e32 0x80, v29
; %bb.4856:                             ;   in Loop: Header=BB6_4601 Depth=2
	s_mov_b32 s24, 0x7f800001
	s_xor_b32 s10, exec_lo, -1
; %bb.4857:                             ;   in Loop: Header=BB6_4601 Depth=2
	s_or_b32 exec_lo, exec_lo, s26
	s_delay_alu instid0(SALU_CYCLE_1)
	s_and_b32 s10, s10, exec_lo
                                        ; implicit-def: $vgpr29
	s_or_saveexec_b32 s25, s25
	v_mov_b32_e32 v28, s24
	s_xor_b32 exec_lo, exec_lo, s25
	s_cbranch_execz .LBB6_4603
.LBB6_4858:                             ;   in Loop: Header=BB6_4601 Depth=2
	v_cmp_ne_u16_e64 s7, 0, v29
	v_mov_b32_e32 v28, 0
	s_and_not1_b32 s10, s10, exec_lo
	s_delay_alu instid0(VALU_DEP_2) | instskip(NEXT) | instid1(SALU_CYCLE_1)
	s_and_b32 s7, s7, exec_lo
	s_or_b32 s10, s10, s7
	s_or_b32 exec_lo, exec_lo, s25
	s_and_saveexec_b32 s24, s10
	s_cbranch_execnz .LBB6_4604
	s_branch .LBB6_4605
.LBB6_4859:                             ;   in Loop: Header=BB6_4601 Depth=2
	s_mov_b32 s10, -1
	s_mov_b32 s26, exec_lo
                                        ; implicit-def: $sgpr24
	v_cmpx_eq_u16_e32 0x80, v32
; %bb.4860:                             ;   in Loop: Header=BB6_4601 Depth=2
	s_mov_b32 s24, 0x7f800001
	s_xor_b32 s10, exec_lo, -1
; %bb.4861:                             ;   in Loop: Header=BB6_4601 Depth=2
	s_or_b32 exec_lo, exec_lo, s26
	s_delay_alu instid0(SALU_CYCLE_1)
	s_and_b32 s10, s10, exec_lo
                                        ; implicit-def: $vgpr32
	s_or_saveexec_b32 s25, s25
	v_mov_b32_e32 v29, s24
	s_xor_b32 exec_lo, exec_lo, s25
	s_cbranch_execz .LBB6_4607
.LBB6_4862:                             ;   in Loop: Header=BB6_4601 Depth=2
	v_cmp_ne_u16_e64 s7, 0, v32
	v_mov_b32_e32 v29, 0
	s_and_not1_b32 s10, s10, exec_lo
	s_delay_alu instid0(VALU_DEP_2) | instskip(NEXT) | instid1(SALU_CYCLE_1)
	s_and_b32 s7, s7, exec_lo
	s_or_b32 s10, s10, s7
	s_or_b32 exec_lo, exec_lo, s25
	s_and_saveexec_b32 s24, s10
	s_cbranch_execnz .LBB6_4608
	s_branch .LBB6_4609
.LBB6_4863:                             ;   in Loop: Header=BB6_4601 Depth=2
	s_mov_b32 s10, -1
	s_mov_b32 s26, exec_lo
                                        ; implicit-def: $sgpr24
	v_cmpx_eq_u16_e32 0x80, v32
; %bb.4864:                             ;   in Loop: Header=BB6_4601 Depth=2
	s_mov_b32 s24, 0x7f800001
	s_xor_b32 s10, exec_lo, -1
; %bb.4865:                             ;   in Loop: Header=BB6_4601 Depth=2
	s_or_b32 exec_lo, exec_lo, s26
	s_delay_alu instid0(SALU_CYCLE_1)
	s_and_b32 s10, s10, exec_lo
	s_or_saveexec_b32 s25, s25
	v_mov_b32_e32 v29, s24
	s_xor_b32 exec_lo, exec_lo, s25
	s_cbranch_execz .LBB6_4619
.LBB6_4866:                             ;   in Loop: Header=BB6_4601 Depth=2
	v_cmp_ne_u16_e64 s7, 0, v32
	v_mov_b32_e32 v29, 0
	s_and_not1_b32 s10, s10, exec_lo
	s_delay_alu instid0(VALU_DEP_2) | instskip(NEXT) | instid1(SALU_CYCLE_1)
	s_and_b32 s7, s7, exec_lo
	s_or_b32 s10, s10, s7
	s_or_b32 exec_lo, exec_lo, s25
	s_and_saveexec_b32 s24, s10
	s_cbranch_execnz .LBB6_4620
	s_branch .LBB6_4621
.LBB6_4867:                             ;   in Loop: Header=BB6_4601 Depth=2
	s_mov_b32 s10, -1
	s_mov_b32 s26, exec_lo
                                        ; implicit-def: $sgpr24
	v_cmpx_eq_u16_e32 0x80, v32
; %bb.4868:                             ;   in Loop: Header=BB6_4601 Depth=2
	s_mov_b32 s24, 0x7f800001
	s_xor_b32 s10, exec_lo, -1
; %bb.4869:                             ;   in Loop: Header=BB6_4601 Depth=2
	s_or_b32 exec_lo, exec_lo, s26
	s_delay_alu instid0(SALU_CYCLE_1)
	s_and_b32 s10, s10, exec_lo
	s_or_saveexec_b32 s25, s25
	v_mov_b32_e32 v33, s24
	s_xor_b32 exec_lo, exec_lo, s25
	s_cbranch_execz .LBB6_4623
.LBB6_4870:                             ;   in Loop: Header=BB6_4601 Depth=2
	v_cmp_ne_u16_e64 s7, 0, v32
	v_mov_b32_e32 v33, 0
	s_and_not1_b32 s10, s10, exec_lo
	s_delay_alu instid0(VALU_DEP_2) | instskip(NEXT) | instid1(SALU_CYCLE_1)
	s_and_b32 s7, s7, exec_lo
	s_or_b32 s10, s10, s7
	s_or_b32 exec_lo, exec_lo, s25
	s_and_saveexec_b32 s24, s10
	s_cbranch_execnz .LBB6_4624
	s_branch .LBB6_4625
.LBB6_4871:                             ;   in Loop: Header=BB6_4601 Depth=2
	s_mov_b32 s10, -1
	s_mov_b32 s26, exec_lo
                                        ; implicit-def: $sgpr24
	v_cmpx_eq_u16_e32 0x80, v34
; %bb.4872:                             ;   in Loop: Header=BB6_4601 Depth=2
	s_mov_b32 s24, 0x7f800001
	s_xor_b32 s10, exec_lo, -1
; %bb.4873:                             ;   in Loop: Header=BB6_4601 Depth=2
	s_or_b32 exec_lo, exec_lo, s26
	s_delay_alu instid0(SALU_CYCLE_1)
	s_and_b32 s10, s10, exec_lo
                                        ; implicit-def: $vgpr34
	s_or_saveexec_b32 s25, s25
	v_mov_b32_e32 v32, s24
	s_xor_b32 exec_lo, exec_lo, s25
	s_cbranch_execz .LBB6_4635
.LBB6_4874:                             ;   in Loop: Header=BB6_4601 Depth=2
	v_cmp_ne_u16_e64 s7, 0, v34
	v_mov_b32_e32 v32, 0
	s_and_not1_b32 s10, s10, exec_lo
	s_delay_alu instid0(VALU_DEP_2) | instskip(NEXT) | instid1(SALU_CYCLE_1)
	s_and_b32 s7, s7, exec_lo
	s_or_b32 s10, s10, s7
	s_or_b32 exec_lo, exec_lo, s25
	s_and_saveexec_b32 s24, s10
	s_cbranch_execnz .LBB6_4636
	s_branch .LBB6_4637
.LBB6_4875:                             ;   in Loop: Header=BB6_4601 Depth=2
	s_mov_b32 s10, -1
	s_mov_b32 s26, exec_lo
                                        ; implicit-def: $sgpr24
	v_cmpx_eq_u16_e32 0x80, v35
; %bb.4876:                             ;   in Loop: Header=BB6_4601 Depth=2
	s_mov_b32 s24, 0x7f800001
	s_xor_b32 s10, exec_lo, -1
; %bb.4877:                             ;   in Loop: Header=BB6_4601 Depth=2
	s_or_b32 exec_lo, exec_lo, s26
	s_delay_alu instid0(SALU_CYCLE_1)
	s_and_b32 s10, s10, exec_lo
                                        ; implicit-def: $vgpr35
	s_or_saveexec_b32 s25, s25
	v_mov_b32_e32 v34, s24
	s_xor_b32 exec_lo, exec_lo, s25
	s_cbranch_execz .LBB6_4639
.LBB6_4878:                             ;   in Loop: Header=BB6_4601 Depth=2
	v_cmp_ne_u16_e64 s7, 0, v35
	v_mov_b32_e32 v34, 0
	s_and_not1_b32 s10, s10, exec_lo
	s_delay_alu instid0(VALU_DEP_2) | instskip(NEXT) | instid1(SALU_CYCLE_1)
	s_and_b32 s7, s7, exec_lo
	s_or_b32 s10, s10, s7
	s_or_b32 exec_lo, exec_lo, s25
	s_and_saveexec_b32 s24, s10
	s_cbranch_execnz .LBB6_4640
	s_branch .LBB6_4641
.LBB6_4879:                             ;   in Loop: Header=BB6_4601 Depth=2
	s_mov_b32 s10, -1
	s_mov_b32 s26, exec_lo
                                        ; implicit-def: $sgpr24
	v_cmpx_eq_u16_e32 0x80, v34
; %bb.4880:                             ;   in Loop: Header=BB6_4601 Depth=2
	s_mov_b32 s24, 0x7f800001
	s_xor_b32 s10, exec_lo, -1
; %bb.4881:                             ;   in Loop: Header=BB6_4601 Depth=2
	s_or_b32 exec_lo, exec_lo, s26
	s_delay_alu instid0(SALU_CYCLE_1)
	s_and_b32 s10, s10, exec_lo
	s_or_saveexec_b32 s25, s25
	v_mov_b32_e32 v33, s24
	s_xor_b32 exec_lo, exec_lo, s25
	s_cbranch_execz .LBB6_4651
.LBB6_4882:                             ;   in Loop: Header=BB6_4601 Depth=2
	v_cmp_ne_u16_e64 s7, 0, v34
	v_mov_b32_e32 v33, 0
	s_and_not1_b32 s10, s10, exec_lo
	s_delay_alu instid0(VALU_DEP_2) | instskip(NEXT) | instid1(SALU_CYCLE_1)
	s_and_b32 s7, s7, exec_lo
	s_or_b32 s10, s10, s7
	s_or_b32 exec_lo, exec_lo, s25
	s_and_saveexec_b32 s24, s10
	s_cbranch_execnz .LBB6_4652
	s_branch .LBB6_4653
.LBB6_4883:                             ;   in Loop: Header=BB6_4601 Depth=2
	s_mov_b32 s10, -1
	s_mov_b32 s26, exec_lo
                                        ; implicit-def: $sgpr24
	v_cmpx_eq_u16_e32 0x80, v14
; %bb.4884:                             ;   in Loop: Header=BB6_4601 Depth=2
	s_mov_b32 s24, 0x7f800001
	s_xor_b32 s10, exec_lo, -1
; %bb.4885:                             ;   in Loop: Header=BB6_4601 Depth=2
	s_or_b32 exec_lo, exec_lo, s26
	s_delay_alu instid0(SALU_CYCLE_1)
	s_and_b32 s10, s10, exec_lo
	s_or_saveexec_b32 s25, s25
	v_mov_b32_e32 v34, s24
	s_xor_b32 exec_lo, exec_lo, s25
	s_cbranch_execz .LBB6_4655
.LBB6_4886:                             ;   in Loop: Header=BB6_4601 Depth=2
	v_cmp_ne_u16_e64 s7, 0, v14
	v_mov_b32_e32 v34, 0
	s_and_not1_b32 s10, s10, exec_lo
	s_delay_alu instid0(VALU_DEP_2) | instskip(NEXT) | instid1(SALU_CYCLE_1)
	s_and_b32 s7, s7, exec_lo
	s_or_b32 s10, s10, s7
	s_or_b32 exec_lo, exec_lo, s25
	s_and_saveexec_b32 s24, s10
	s_cbranch_execnz .LBB6_4656
	s_branch .LBB6_4657
.LBB6_4887:                             ;   in Loop: Header=BB6_4601 Depth=2
	s_mov_b32 s10, -1
	s_mov_b32 s26, exec_lo
                                        ; implicit-def: $sgpr24
	v_cmpx_eq_u16_e32 0x80, v33
; %bb.4888:                             ;   in Loop: Header=BB6_4601 Depth=2
	s_mov_b32 s24, 0x7f800001
	s_xor_b32 s10, exec_lo, -1
; %bb.4889:                             ;   in Loop: Header=BB6_4601 Depth=2
	s_or_b32 exec_lo, exec_lo, s26
	s_delay_alu instid0(SALU_CYCLE_1)
	s_and_b32 s10, s10, exec_lo
                                        ; implicit-def: $vgpr33
	s_or_saveexec_b32 s25, s25
	v_mov_b32_e32 v14, s24
	s_xor_b32 exec_lo, exec_lo, s25
	s_cbranch_execz .LBB6_4667
.LBB6_4890:                             ;   in Loop: Header=BB6_4601 Depth=2
	v_cmp_ne_u16_e64 s7, 0, v33
	v_mov_b32_e32 v14, 0
	s_and_not1_b32 s10, s10, exec_lo
	s_delay_alu instid0(VALU_DEP_2) | instskip(NEXT) | instid1(SALU_CYCLE_1)
	s_and_b32 s7, s7, exec_lo
	s_or_b32 s10, s10, s7
	s_or_b32 exec_lo, exec_lo, s25
	s_and_saveexec_b32 s24, s10
	s_cbranch_execnz .LBB6_4668
	s_branch .LBB6_4669
.LBB6_4891:                             ;   in Loop: Header=BB6_4601 Depth=2
	s_mov_b32 s10, -1
	s_mov_b32 s26, exec_lo
                                        ; implicit-def: $sgpr24
	v_cmpx_eq_u16_e32 0x80, v34
; %bb.4892:                             ;   in Loop: Header=BB6_4601 Depth=2
	s_mov_b32 s24, 0x7f800001
	s_xor_b32 s10, exec_lo, -1
; %bb.4893:                             ;   in Loop: Header=BB6_4601 Depth=2
	s_or_b32 exec_lo, exec_lo, s26
	s_delay_alu instid0(SALU_CYCLE_1)
	s_and_b32 s10, s10, exec_lo
                                        ; implicit-def: $vgpr34
	s_or_saveexec_b32 s25, s25
	v_mov_b32_e32 v33, s24
	s_xor_b32 exec_lo, exec_lo, s25
	s_cbranch_execz .LBB6_4671
.LBB6_4894:                             ;   in Loop: Header=BB6_4601 Depth=2
	v_cmp_ne_u16_e64 s7, 0, v34
	v_mov_b32_e32 v33, 0
	s_and_not1_b32 s10, s10, exec_lo
	s_delay_alu instid0(VALU_DEP_2) | instskip(NEXT) | instid1(SALU_CYCLE_1)
	s_and_b32 s7, s7, exec_lo
	s_or_b32 s10, s10, s7
	s_or_b32 exec_lo, exec_lo, s25
	s_and_saveexec_b32 s24, s10
	s_cbranch_execnz .LBB6_4672
	s_branch .LBB6_4673
.LBB6_4895:                             ;   in Loop: Header=BB6_4601 Depth=2
	s_mov_b32 s10, -1
	s_mov_b32 s26, exec_lo
                                        ; implicit-def: $sgpr24
	v_cmpx_eq_u16_e32 0x80, v34
; %bb.4896:                             ;   in Loop: Header=BB6_4601 Depth=2
	s_mov_b32 s24, 0x7f800001
	s_xor_b32 s10, exec_lo, -1
; %bb.4897:                             ;   in Loop: Header=BB6_4601 Depth=2
	s_or_b32 exec_lo, exec_lo, s26
	s_delay_alu instid0(SALU_CYCLE_1)
	s_and_b32 s10, s10, exec_lo
	s_or_saveexec_b32 s25, s25
	v_mov_b32_e32 v33, s24
	s_xor_b32 exec_lo, exec_lo, s25
	s_cbranch_execz .LBB6_4683
.LBB6_4898:                             ;   in Loop: Header=BB6_4601 Depth=2
	v_cmp_ne_u16_e64 s7, 0, v34
	v_mov_b32_e32 v33, 0
	s_and_not1_b32 s10, s10, exec_lo
	s_delay_alu instid0(VALU_DEP_2) | instskip(NEXT) | instid1(SALU_CYCLE_1)
	s_and_b32 s7, s7, exec_lo
	s_or_b32 s10, s10, s7
	s_or_b32 exec_lo, exec_lo, s25
	s_and_saveexec_b32 s24, s10
	s_cbranch_execnz .LBB6_4684
	s_branch .LBB6_4685
.LBB6_4899:                             ;   in Loop: Header=BB6_4601 Depth=2
	s_mov_b32 s10, -1
	s_mov_b32 s26, exec_lo
                                        ; implicit-def: $sgpr24
	v_cmpx_eq_u16_e32 0x80, v34
; %bb.4900:                             ;   in Loop: Header=BB6_4601 Depth=2
	s_mov_b32 s24, 0x7f800001
	s_xor_b32 s10, exec_lo, -1
; %bb.4901:                             ;   in Loop: Header=BB6_4601 Depth=2
	s_or_b32 exec_lo, exec_lo, s26
	s_delay_alu instid0(SALU_CYCLE_1)
	s_and_b32 s10, s10, exec_lo
	s_or_saveexec_b32 s25, s25
	v_mov_b32_e32 v35, s24
	s_xor_b32 exec_lo, exec_lo, s25
	s_cbranch_execz .LBB6_4687
.LBB6_4902:                             ;   in Loop: Header=BB6_4601 Depth=2
	v_cmp_ne_u16_e64 s7, 0, v34
	v_mov_b32_e32 v35, 0
	s_and_not1_b32 s10, s10, exec_lo
	s_delay_alu instid0(VALU_DEP_2) | instskip(NEXT) | instid1(SALU_CYCLE_1)
	s_and_b32 s7, s7, exec_lo
	s_or_b32 s10, s10, s7
	s_or_b32 exec_lo, exec_lo, s25
	s_and_saveexec_b32 s24, s10
	s_cbranch_execnz .LBB6_4688
	s_branch .LBB6_4689
.LBB6_4903:                             ;   in Loop: Header=BB6_4601 Depth=2
	s_mov_b32 s10, -1
	s_mov_b32 s26, exec_lo
                                        ; implicit-def: $sgpr24
	v_cmpx_eq_u16_e32 0x80, v36
; %bb.4904:                             ;   in Loop: Header=BB6_4601 Depth=2
	s_mov_b32 s24, 0x7f800001
	s_xor_b32 s10, exec_lo, -1
; %bb.4905:                             ;   in Loop: Header=BB6_4601 Depth=2
	s_or_b32 exec_lo, exec_lo, s26
	s_delay_alu instid0(SALU_CYCLE_1)
	s_and_b32 s10, s10, exec_lo
                                        ; implicit-def: $vgpr36
	s_or_saveexec_b32 s25, s25
	v_mov_b32_e32 v34, s24
	s_xor_b32 exec_lo, exec_lo, s25
	s_cbranch_execz .LBB6_4699
.LBB6_4906:                             ;   in Loop: Header=BB6_4601 Depth=2
	v_cmp_ne_u16_e64 s7, 0, v36
	v_mov_b32_e32 v34, 0
	s_and_not1_b32 s10, s10, exec_lo
	s_delay_alu instid0(VALU_DEP_2) | instskip(NEXT) | instid1(SALU_CYCLE_1)
	s_and_b32 s7, s7, exec_lo
	s_or_b32 s10, s10, s7
	s_or_b32 exec_lo, exec_lo, s25
	s_and_saveexec_b32 s24, s10
	s_cbranch_execnz .LBB6_4700
	s_branch .LBB6_4701
.LBB6_4907:                             ;   in Loop: Header=BB6_4601 Depth=2
	s_mov_b32 s10, -1
	s_mov_b32 s26, exec_lo
                                        ; implicit-def: $sgpr24
	v_cmpx_eq_u16_e32 0x80, v37
; %bb.4908:                             ;   in Loop: Header=BB6_4601 Depth=2
	s_mov_b32 s24, 0x7f800001
	s_xor_b32 s10, exec_lo, -1
; %bb.4909:                             ;   in Loop: Header=BB6_4601 Depth=2
	s_or_b32 exec_lo, exec_lo, s26
	s_delay_alu instid0(SALU_CYCLE_1)
	s_and_b32 s10, s10, exec_lo
                                        ; implicit-def: $vgpr37
	s_or_saveexec_b32 s25, s25
	v_mov_b32_e32 v36, s24
	s_xor_b32 exec_lo, exec_lo, s25
	s_cbranch_execz .LBB6_4703
.LBB6_4910:                             ;   in Loop: Header=BB6_4601 Depth=2
	v_cmp_ne_u16_e64 s7, 0, v37
	v_mov_b32_e32 v36, 0
	s_and_not1_b32 s10, s10, exec_lo
	s_delay_alu instid0(VALU_DEP_2) | instskip(NEXT) | instid1(SALU_CYCLE_1)
	s_and_b32 s7, s7, exec_lo
	s_or_b32 s10, s10, s7
	s_or_b32 exec_lo, exec_lo, s25
	s_and_saveexec_b32 s24, s10
	s_cbranch_execnz .LBB6_4704
	s_branch .LBB6_4705
.LBB6_4911:                             ;   in Loop: Header=BB6_4601 Depth=2
	s_mov_b32 s10, -1
	s_mov_b32 s26, exec_lo
                                        ; implicit-def: $sgpr24
	v_cmpx_eq_u16_e32 0x80, v36
; %bb.4912:                             ;   in Loop: Header=BB6_4601 Depth=2
	s_mov_b32 s24, 0x7f800001
	s_xor_b32 s10, exec_lo, -1
; %bb.4913:                             ;   in Loop: Header=BB6_4601 Depth=2
	s_or_b32 exec_lo, exec_lo, s26
	s_delay_alu instid0(SALU_CYCLE_1)
	s_and_b32 s10, s10, exec_lo
	s_or_saveexec_b32 s25, s25
	v_mov_b32_e32 v35, s24
	s_xor_b32 exec_lo, exec_lo, s25
	s_cbranch_execz .LBB6_4715
.LBB6_4914:                             ;   in Loop: Header=BB6_4601 Depth=2
	v_cmp_ne_u16_e64 s7, 0, v36
	v_mov_b32_e32 v35, 0
	s_and_not1_b32 s10, s10, exec_lo
	s_delay_alu instid0(VALU_DEP_2) | instskip(NEXT) | instid1(SALU_CYCLE_1)
	s_and_b32 s7, s7, exec_lo
	s_or_b32 s10, s10, s7
	s_or_b32 exec_lo, exec_lo, s25
	s_and_saveexec_b32 s24, s10
	s_cbranch_execnz .LBB6_4716
	s_branch .LBB6_4717
.LBB6_4915:                             ;   in Loop: Header=BB6_4601 Depth=2
	s_mov_b32 s10, -1
	s_mov_b32 s26, exec_lo
                                        ; implicit-def: $sgpr24
	v_cmpx_eq_u16_e32 0x80, v15
; %bb.4916:                             ;   in Loop: Header=BB6_4601 Depth=2
	s_mov_b32 s24, 0x7f800001
	s_xor_b32 s10, exec_lo, -1
; %bb.4917:                             ;   in Loop: Header=BB6_4601 Depth=2
	s_or_b32 exec_lo, exec_lo, s26
	s_delay_alu instid0(SALU_CYCLE_1)
	s_and_b32 s10, s10, exec_lo
	s_or_saveexec_b32 s25, s25
	v_mov_b32_e32 v36, s24
	s_xor_b32 exec_lo, exec_lo, s25
	s_cbranch_execz .LBB6_4719
.LBB6_4918:                             ;   in Loop: Header=BB6_4601 Depth=2
	v_cmp_ne_u16_e64 s7, 0, v15
	v_mov_b32_e32 v36, 0
	s_and_not1_b32 s10, s10, exec_lo
	s_delay_alu instid0(VALU_DEP_2) | instskip(NEXT) | instid1(SALU_CYCLE_1)
	s_and_b32 s7, s7, exec_lo
	s_or_b32 s10, s10, s7
	s_or_b32 exec_lo, exec_lo, s25
	s_and_saveexec_b32 s24, s10
	s_cbranch_execnz .LBB6_4720
	s_branch .LBB6_4721
.LBB6_4919:                             ;   in Loop: Header=BB6_4601 Depth=2
	s_mov_b32 s10, -1
	s_mov_b32 s26, exec_lo
                                        ; implicit-def: $sgpr24
	v_cmpx_eq_u16_e32 0x80, v35
; %bb.4920:                             ;   in Loop: Header=BB6_4601 Depth=2
	s_mov_b32 s24, 0x7f800001
	s_xor_b32 s10, exec_lo, -1
; %bb.4921:                             ;   in Loop: Header=BB6_4601 Depth=2
	s_or_b32 exec_lo, exec_lo, s26
	s_delay_alu instid0(SALU_CYCLE_1)
	s_and_b32 s10, s10, exec_lo
                                        ; implicit-def: $vgpr35
	s_or_saveexec_b32 s25, s25
	v_mov_b32_e32 v15, s24
	s_xor_b32 exec_lo, exec_lo, s25
	s_cbranch_execz .LBB6_4731
.LBB6_4922:                             ;   in Loop: Header=BB6_4601 Depth=2
	v_cmp_ne_u16_e64 s7, 0, v35
	v_mov_b32_e32 v15, 0
	s_and_not1_b32 s10, s10, exec_lo
	s_delay_alu instid0(VALU_DEP_2) | instskip(NEXT) | instid1(SALU_CYCLE_1)
	s_and_b32 s7, s7, exec_lo
	s_or_b32 s10, s10, s7
	s_or_b32 exec_lo, exec_lo, s25
	s_and_saveexec_b32 s24, s10
	s_cbranch_execnz .LBB6_4732
	s_branch .LBB6_4733
.LBB6_4923:                             ;   in Loop: Header=BB6_4601 Depth=2
	s_mov_b32 s10, -1
	s_mov_b32 s26, exec_lo
                                        ; implicit-def: $sgpr24
	v_cmpx_eq_u16_e32 0x80, v36
; %bb.4924:                             ;   in Loop: Header=BB6_4601 Depth=2
	s_mov_b32 s24, 0x7f800001
	s_xor_b32 s10, exec_lo, -1
; %bb.4925:                             ;   in Loop: Header=BB6_4601 Depth=2
	s_or_b32 exec_lo, exec_lo, s26
	s_delay_alu instid0(SALU_CYCLE_1)
	s_and_b32 s10, s10, exec_lo
                                        ; implicit-def: $vgpr36
	s_or_saveexec_b32 s25, s25
	v_mov_b32_e32 v35, s24
	s_xor_b32 exec_lo, exec_lo, s25
	s_cbranch_execz .LBB6_4735
.LBB6_4926:                             ;   in Loop: Header=BB6_4601 Depth=2
	v_cmp_ne_u16_e64 s7, 0, v36
	v_mov_b32_e32 v35, 0
	s_and_not1_b32 s10, s10, exec_lo
	s_delay_alu instid0(VALU_DEP_2) | instskip(NEXT) | instid1(SALU_CYCLE_1)
	s_and_b32 s7, s7, exec_lo
	s_or_b32 s10, s10, s7
	s_or_b32 exec_lo, exec_lo, s25
	s_and_saveexec_b32 s24, s10
	s_cbranch_execnz .LBB6_4736
	s_branch .LBB6_4737
.LBB6_4927:                             ;   in Loop: Header=BB6_4601 Depth=2
	s_mov_b32 s10, -1
	s_mov_b32 s26, exec_lo
                                        ; implicit-def: $sgpr24
	v_cmpx_eq_u16_e32 0x80, v36
; %bb.4928:                             ;   in Loop: Header=BB6_4601 Depth=2
	s_mov_b32 s24, 0x7f800001
	s_xor_b32 s10, exec_lo, -1
; %bb.4929:                             ;   in Loop: Header=BB6_4601 Depth=2
	s_or_b32 exec_lo, exec_lo, s26
	s_delay_alu instid0(SALU_CYCLE_1)
	s_and_b32 s10, s10, exec_lo
	s_or_saveexec_b32 s25, s25
	v_mov_b32_e32 v35, s24
	s_xor_b32 exec_lo, exec_lo, s25
	s_cbranch_execz .LBB6_4747
.LBB6_4930:                             ;   in Loop: Header=BB6_4601 Depth=2
	v_cmp_ne_u16_e64 s7, 0, v36
	v_mov_b32_e32 v35, 0
	s_and_not1_b32 s10, s10, exec_lo
	s_delay_alu instid0(VALU_DEP_2) | instskip(NEXT) | instid1(SALU_CYCLE_1)
	s_and_b32 s7, s7, exec_lo
	s_or_b32 s10, s10, s7
	s_or_b32 exec_lo, exec_lo, s25
	s_and_saveexec_b32 s24, s10
	s_cbranch_execnz .LBB6_4748
	s_branch .LBB6_4749
.LBB6_4931:                             ;   in Loop: Header=BB6_4601 Depth=2
	s_mov_b32 s10, -1
	s_mov_b32 s26, exec_lo
                                        ; implicit-def: $sgpr24
	v_cmpx_eq_u16_e32 0x80, v36
; %bb.4932:                             ;   in Loop: Header=BB6_4601 Depth=2
	s_mov_b32 s24, 0x7f800001
	s_xor_b32 s10, exec_lo, -1
; %bb.4933:                             ;   in Loop: Header=BB6_4601 Depth=2
	s_or_b32 exec_lo, exec_lo, s26
	s_delay_alu instid0(SALU_CYCLE_1)
	s_and_b32 s10, s10, exec_lo
	s_or_saveexec_b32 s25, s25
	v_mov_b32_e32 v37, s24
	s_xor_b32 exec_lo, exec_lo, s25
	s_cbranch_execz .LBB6_4751
.LBB6_4934:                             ;   in Loop: Header=BB6_4601 Depth=2
	v_cmp_ne_u16_e64 s7, 0, v36
	v_mov_b32_e32 v37, 0
	s_and_not1_b32 s10, s10, exec_lo
	s_delay_alu instid0(VALU_DEP_2) | instskip(NEXT) | instid1(SALU_CYCLE_1)
	s_and_b32 s7, s7, exec_lo
	s_or_b32 s10, s10, s7
	s_or_b32 exec_lo, exec_lo, s25
	s_and_saveexec_b32 s24, s10
	s_cbranch_execnz .LBB6_4752
	s_branch .LBB6_4753
.LBB6_4935:                             ;   in Loop: Header=BB6_4601 Depth=2
	s_mov_b32 s10, -1
	s_mov_b32 s26, exec_lo
                                        ; implicit-def: $sgpr24
	v_cmpx_eq_u16_e32 0x80, v38
; %bb.4936:                             ;   in Loop: Header=BB6_4601 Depth=2
	s_mov_b32 s24, 0x7f800001
	s_xor_b32 s10, exec_lo, -1
; %bb.4937:                             ;   in Loop: Header=BB6_4601 Depth=2
	s_or_b32 exec_lo, exec_lo, s26
	s_delay_alu instid0(SALU_CYCLE_1)
	s_and_b32 s10, s10, exec_lo
                                        ; implicit-def: $vgpr38
	s_or_saveexec_b32 s25, s25
	v_mov_b32_e32 v36, s24
	s_xor_b32 exec_lo, exec_lo, s25
	s_cbranch_execz .LBB6_4763
.LBB6_4938:                             ;   in Loop: Header=BB6_4601 Depth=2
	v_cmp_ne_u16_e64 s7, 0, v38
	v_mov_b32_e32 v36, 0
	s_and_not1_b32 s10, s10, exec_lo
	s_delay_alu instid0(VALU_DEP_2) | instskip(NEXT) | instid1(SALU_CYCLE_1)
	s_and_b32 s7, s7, exec_lo
	s_or_b32 s10, s10, s7
	s_or_b32 exec_lo, exec_lo, s25
	s_and_saveexec_b32 s24, s10
	s_cbranch_execnz .LBB6_4764
	s_branch .LBB6_4765
.LBB6_4939:                             ;   in Loop: Header=BB6_4601 Depth=2
	s_mov_b32 s10, -1
	s_mov_b32 s26, exec_lo
                                        ; implicit-def: $sgpr24
	v_cmpx_eq_u16_e32 0x80, v39
; %bb.4940:                             ;   in Loop: Header=BB6_4601 Depth=2
	s_mov_b32 s24, 0x7f800001
	s_xor_b32 s10, exec_lo, -1
; %bb.4941:                             ;   in Loop: Header=BB6_4601 Depth=2
	s_or_b32 exec_lo, exec_lo, s26
	s_delay_alu instid0(SALU_CYCLE_1)
	s_and_b32 s10, s10, exec_lo
                                        ; implicit-def: $vgpr39
	s_or_saveexec_b32 s25, s25
	v_mov_b32_e32 v38, s24
	s_xor_b32 exec_lo, exec_lo, s25
	s_cbranch_execz .LBB6_4767
.LBB6_4942:                             ;   in Loop: Header=BB6_4601 Depth=2
	v_cmp_ne_u16_e64 s7, 0, v39
	v_mov_b32_e32 v38, 0
	s_and_not1_b32 s10, s10, exec_lo
	s_delay_alu instid0(VALU_DEP_2) | instskip(NEXT) | instid1(SALU_CYCLE_1)
	s_and_b32 s7, s7, exec_lo
	s_or_b32 s10, s10, s7
	s_or_b32 exec_lo, exec_lo, s25
	s_and_saveexec_b32 s24, s10
	s_cbranch_execnz .LBB6_4768
	s_branch .LBB6_4769
.LBB6_4943:                             ;   in Loop: Header=BB6_4601 Depth=2
	s_mov_b32 s10, -1
	s_mov_b32 s26, exec_lo
                                        ; implicit-def: $sgpr24
	v_cmpx_eq_u16_e32 0x80, v38
; %bb.4944:                             ;   in Loop: Header=BB6_4601 Depth=2
	s_mov_b32 s24, 0x7f800001
	s_xor_b32 s10, exec_lo, -1
; %bb.4945:                             ;   in Loop: Header=BB6_4601 Depth=2
	s_or_b32 exec_lo, exec_lo, s26
	s_delay_alu instid0(SALU_CYCLE_1)
	s_and_b32 s10, s10, exec_lo
	s_or_saveexec_b32 s25, s25
	v_mov_b32_e32 v37, s24
	s_xor_b32 exec_lo, exec_lo, s25
	s_cbranch_execz .LBB6_4779
.LBB6_4946:                             ;   in Loop: Header=BB6_4601 Depth=2
	v_cmp_ne_u16_e64 s7, 0, v38
	v_mov_b32_e32 v37, 0
	s_and_not1_b32 s10, s10, exec_lo
	s_delay_alu instid0(VALU_DEP_2) | instskip(NEXT) | instid1(SALU_CYCLE_1)
	s_and_b32 s7, s7, exec_lo
	s_or_b32 s10, s10, s7
	s_or_b32 exec_lo, exec_lo, s25
	s_and_saveexec_b32 s24, s10
	s_cbranch_execnz .LBB6_4780
	s_branch .LBB6_4781
.LBB6_4947:                             ;   in Loop: Header=BB6_4601 Depth=2
	s_mov_b32 s10, -1
	s_mov_b32 s26, exec_lo
                                        ; implicit-def: $sgpr24
	v_cmpx_eq_u16_e32 0x80, v16
; %bb.4948:                             ;   in Loop: Header=BB6_4601 Depth=2
	s_mov_b32 s24, 0x7f800001
	s_xor_b32 s10, exec_lo, -1
; %bb.4949:                             ;   in Loop: Header=BB6_4601 Depth=2
	s_or_b32 exec_lo, exec_lo, s26
	s_delay_alu instid0(SALU_CYCLE_1)
	s_and_b32 s10, s10, exec_lo
	s_or_saveexec_b32 s25, s25
	v_mov_b32_e32 v38, s24
	s_xor_b32 exec_lo, exec_lo, s25
	s_cbranch_execz .LBB6_4783
.LBB6_4950:                             ;   in Loop: Header=BB6_4601 Depth=2
	v_cmp_ne_u16_e64 s7, 0, v16
	v_mov_b32_e32 v38, 0
	s_and_not1_b32 s10, s10, exec_lo
	s_delay_alu instid0(VALU_DEP_2) | instskip(NEXT) | instid1(SALU_CYCLE_1)
	s_and_b32 s7, s7, exec_lo
	s_or_b32 s10, s10, s7
	s_or_b32 exec_lo, exec_lo, s25
	s_and_saveexec_b32 s24, s10
	s_cbranch_execnz .LBB6_4784
	s_branch .LBB6_4785
.LBB6_4951:                             ;   in Loop: Header=BB6_4601 Depth=2
	s_mov_b32 s10, -1
	s_mov_b32 s26, exec_lo
                                        ; implicit-def: $sgpr24
	v_cmpx_eq_u16_e32 0x80, v37
; %bb.4952:                             ;   in Loop: Header=BB6_4601 Depth=2
	s_mov_b32 s24, 0x7f800001
	s_xor_b32 s10, exec_lo, -1
; %bb.4953:                             ;   in Loop: Header=BB6_4601 Depth=2
	s_or_b32 exec_lo, exec_lo, s26
	s_delay_alu instid0(SALU_CYCLE_1)
	s_and_b32 s10, s10, exec_lo
                                        ; implicit-def: $vgpr37
	s_or_saveexec_b32 s25, s25
	v_mov_b32_e32 v16, s24
	s_xor_b32 exec_lo, exec_lo, s25
	s_cbranch_execz .LBB6_4795
.LBB6_4954:                             ;   in Loop: Header=BB6_4601 Depth=2
	v_cmp_ne_u16_e64 s7, 0, v37
	v_mov_b32_e32 v16, 0
	s_and_not1_b32 s10, s10, exec_lo
	s_delay_alu instid0(VALU_DEP_2) | instskip(NEXT) | instid1(SALU_CYCLE_1)
	s_and_b32 s7, s7, exec_lo
	s_or_b32 s10, s10, s7
	s_or_b32 exec_lo, exec_lo, s25
	s_and_saveexec_b32 s24, s10
	s_cbranch_execnz .LBB6_4796
	s_branch .LBB6_4797
.LBB6_4955:                             ;   in Loop: Header=BB6_4601 Depth=2
	s_mov_b32 s10, -1
	s_mov_b32 s26, exec_lo
                                        ; implicit-def: $sgpr24
	v_cmpx_eq_u16_e32 0x80, v38
; %bb.4956:                             ;   in Loop: Header=BB6_4601 Depth=2
	s_mov_b32 s24, 0x7f800001
	s_xor_b32 s10, exec_lo, -1
; %bb.4957:                             ;   in Loop: Header=BB6_4601 Depth=2
	s_or_b32 exec_lo, exec_lo, s26
	s_delay_alu instid0(SALU_CYCLE_1)
	s_and_b32 s10, s10, exec_lo
                                        ; implicit-def: $vgpr38
	s_or_saveexec_b32 s25, s25
	v_mov_b32_e32 v37, s24
	s_xor_b32 exec_lo, exec_lo, s25
	s_cbranch_execz .LBB6_4799
.LBB6_4958:                             ;   in Loop: Header=BB6_4601 Depth=2
	v_cmp_ne_u16_e64 s7, 0, v38
	v_mov_b32_e32 v37, 0
	s_and_not1_b32 s10, s10, exec_lo
	s_delay_alu instid0(VALU_DEP_2) | instskip(NEXT) | instid1(SALU_CYCLE_1)
	s_and_b32 s7, s7, exec_lo
	s_or_b32 s10, s10, s7
	s_or_b32 exec_lo, exec_lo, s25
	s_and_saveexec_b32 s24, s10
	s_cbranch_execnz .LBB6_4800
	s_branch .LBB6_4801
.LBB6_4959:                             ;   in Loop: Header=BB6_4601 Depth=2
	s_mov_b32 s10, -1
	s_mov_b32 s26, exec_lo
                                        ; implicit-def: $sgpr24
	v_cmpx_eq_u16_e32 0x80, v38
; %bb.4960:                             ;   in Loop: Header=BB6_4601 Depth=2
	s_mov_b32 s24, 0x7f800001
	s_xor_b32 s10, exec_lo, -1
; %bb.4961:                             ;   in Loop: Header=BB6_4601 Depth=2
	s_or_b32 exec_lo, exec_lo, s26
	s_delay_alu instid0(SALU_CYCLE_1)
	s_and_b32 s10, s10, exec_lo
	s_or_saveexec_b32 s25, s25
	v_mov_b32_e32 v37, s24
	s_xor_b32 exec_lo, exec_lo, s25
	s_cbranch_execz .LBB6_4811
.LBB6_4962:                             ;   in Loop: Header=BB6_4601 Depth=2
	v_cmp_ne_u16_e64 s7, 0, v38
	v_mov_b32_e32 v37, 0
	s_and_not1_b32 s10, s10, exec_lo
	s_delay_alu instid0(VALU_DEP_2) | instskip(NEXT) | instid1(SALU_CYCLE_1)
	s_and_b32 s7, s7, exec_lo
	s_or_b32 s10, s10, s7
	s_or_b32 exec_lo, exec_lo, s25
	s_and_saveexec_b32 s24, s10
	s_cbranch_execnz .LBB6_4812
	s_branch .LBB6_4813
.LBB6_4963:                             ;   in Loop: Header=BB6_4601 Depth=2
	s_mov_b32 s10, -1
	s_mov_b32 s26, exec_lo
                                        ; implicit-def: $sgpr24
	v_cmpx_eq_u16_e32 0x80, v38
; %bb.4964:                             ;   in Loop: Header=BB6_4601 Depth=2
	s_mov_b32 s24, 0x7f800001
	s_xor_b32 s10, exec_lo, -1
; %bb.4965:                             ;   in Loop: Header=BB6_4601 Depth=2
	s_or_b32 exec_lo, exec_lo, s26
	s_delay_alu instid0(SALU_CYCLE_1)
	s_and_b32 s10, s10, exec_lo
	s_or_saveexec_b32 s25, s25
	v_mov_b32_e32 v39, s24
	s_xor_b32 exec_lo, exec_lo, s25
	s_cbranch_execz .LBB6_4815
.LBB6_4966:                             ;   in Loop: Header=BB6_4601 Depth=2
	v_cmp_ne_u16_e64 s7, 0, v38
	v_mov_b32_e32 v39, 0
	s_and_not1_b32 s10, s10, exec_lo
	s_delay_alu instid0(VALU_DEP_2) | instskip(NEXT) | instid1(SALU_CYCLE_1)
	s_and_b32 s7, s7, exec_lo
	s_or_b32 s10, s10, s7
	s_or_b32 exec_lo, exec_lo, s25
	s_and_saveexec_b32 s24, s10
	s_cbranch_execnz .LBB6_4816
	s_branch .LBB6_4817
.LBB6_4967:                             ;   in Loop: Header=BB6_4601 Depth=2
	s_mov_b32 s10, -1
	s_mov_b32 s26, exec_lo
                                        ; implicit-def: $sgpr24
	v_cmpx_eq_u16_e32 0x80, v48
; %bb.4968:                             ;   in Loop: Header=BB6_4601 Depth=2
	s_mov_b32 s24, 0x7f800001
	s_xor_b32 s10, exec_lo, -1
; %bb.4969:                             ;   in Loop: Header=BB6_4601 Depth=2
	s_or_b32 exec_lo, exec_lo, s26
	s_delay_alu instid0(SALU_CYCLE_1)
	s_and_b32 s10, s10, exec_lo
                                        ; implicit-def: $vgpr48
	s_or_saveexec_b32 s25, s25
	v_mov_b32_e32 v38, s24
	s_xor_b32 exec_lo, exec_lo, s25
	s_cbranch_execz .LBB6_4827
.LBB6_4970:                             ;   in Loop: Header=BB6_4601 Depth=2
	v_cmp_ne_u16_e64 s7, 0, v48
	v_mov_b32_e32 v38, 0
	s_and_not1_b32 s10, s10, exec_lo
	s_delay_alu instid0(VALU_DEP_2) | instskip(NEXT) | instid1(SALU_CYCLE_1)
	s_and_b32 s7, s7, exec_lo
	s_or_b32 s10, s10, s7
	s_or_b32 exec_lo, exec_lo, s25
	s_and_saveexec_b32 s24, s10
	s_cbranch_execnz .LBB6_4828
	s_branch .LBB6_4829
.LBB6_4971:                             ;   in Loop: Header=BB6_4601 Depth=2
	s_mov_b32 s10, -1
	s_mov_b32 s26, exec_lo
                                        ; implicit-def: $sgpr24
	v_cmpx_eq_u16_e32 0x80, v49
; %bb.4972:                             ;   in Loop: Header=BB6_4601 Depth=2
	s_mov_b32 s24, 0x7f800001
	s_xor_b32 s10, exec_lo, -1
; %bb.4973:                             ;   in Loop: Header=BB6_4601 Depth=2
	s_or_b32 exec_lo, exec_lo, s26
	s_delay_alu instid0(SALU_CYCLE_1)
	s_and_b32 s10, s10, exec_lo
                                        ; implicit-def: $vgpr49
	s_or_saveexec_b32 s25, s25
	v_mov_b32_e32 v48, s24
	s_xor_b32 exec_lo, exec_lo, s25
	s_cbranch_execz .LBB6_4831
.LBB6_4974:                             ;   in Loop: Header=BB6_4601 Depth=2
	v_cmp_ne_u16_e64 s7, 0, v49
	v_mov_b32_e32 v48, 0
	s_and_not1_b32 s10, s10, exec_lo
	s_delay_alu instid0(VALU_DEP_2) | instskip(NEXT) | instid1(SALU_CYCLE_1)
	s_and_b32 s7, s7, exec_lo
	s_or_b32 s10, s10, s7
	s_or_b32 exec_lo, exec_lo, s25
	s_and_saveexec_b32 s24, s10
	s_cbranch_execnz .LBB6_4832
	s_branch .LBB6_4833
.LBB6_4975:                             ;   in Loop: Header=BB6_4601 Depth=2
	s_mov_b32 s10, -1
	s_mov_b32 s26, exec_lo
                                        ; implicit-def: $sgpr24
	v_cmpx_eq_u16_e32 0x80, v48
; %bb.4976:                             ;   in Loop: Header=BB6_4601 Depth=2
	s_mov_b32 s24, 0x7f800001
	s_xor_b32 s10, exec_lo, -1
; %bb.4977:                             ;   in Loop: Header=BB6_4601 Depth=2
	s_or_b32 exec_lo, exec_lo, s26
	s_delay_alu instid0(SALU_CYCLE_1)
	s_and_b32 s10, s10, exec_lo
	s_or_saveexec_b32 s25, s25
	v_mov_b32_e32 v39, s24
	s_xor_b32 exec_lo, exec_lo, s25
	s_cbranch_execz .LBB6_4843
.LBB6_4978:                             ;   in Loop: Header=BB6_4601 Depth=2
	v_cmp_ne_u16_e64 s7, 0, v48
	v_mov_b32_e32 v39, 0
	s_and_not1_b32 s10, s10, exec_lo
	s_delay_alu instid0(VALU_DEP_2) | instskip(NEXT) | instid1(SALU_CYCLE_1)
	s_and_b32 s7, s7, exec_lo
	s_or_b32 s10, s10, s7
	s_or_b32 exec_lo, exec_lo, s25
	s_and_saveexec_b32 s24, s10
	s_cbranch_execnz .LBB6_4844
	s_branch .LBB6_4845
.LBB6_4979:                             ;   in Loop: Header=BB6_4601 Depth=2
	s_mov_b32 s10, -1
	s_mov_b32 s26, exec_lo
                                        ; implicit-def: $sgpr24
	v_cmpx_eq_u16_e32 0x80, v17
; %bb.4980:                             ;   in Loop: Header=BB6_4601 Depth=2
	s_mov_b32 s24, 0x7f800001
	s_xor_b32 s10, exec_lo, -1
; %bb.4981:                             ;   in Loop: Header=BB6_4601 Depth=2
	s_or_b32 exec_lo, exec_lo, s26
	s_delay_alu instid0(SALU_CYCLE_1)
	s_and_b32 s10, s10, exec_lo
	s_or_saveexec_b32 s25, s25
	v_mov_b32_e32 v48, s24
	s_xor_b32 exec_lo, exec_lo, s25
	s_cbranch_execz .LBB6_4847
.LBB6_4982:                             ;   in Loop: Header=BB6_4601 Depth=2
	v_cmp_ne_u16_e64 s7, 0, v17
	v_mov_b32_e32 v48, 0
	s_and_not1_b32 s10, s10, exec_lo
	s_delay_alu instid0(VALU_DEP_2) | instskip(NEXT) | instid1(SALU_CYCLE_1)
	s_and_b32 s7, s7, exec_lo
	s_or_b32 s10, s10, s7
	s_or_b32 exec_lo, exec_lo, s25
	s_and_saveexec_b32 s24, s10
	s_cbranch_execnz .LBB6_4848
	s_branch .LBB6_4849
.LBB6_4983:                             ;   in Loop: Header=BB6_2973 Depth=1
	s_or_b32 exec_lo, exec_lo, s23
.LBB6_4984:                             ;   in Loop: Header=BB6_2973 Depth=1
	s_delay_alu instid0(SALU_CYCLE_1) | instskip(SKIP_3) | instid1(VALU_DEP_1)
	s_or_b32 exec_lo, exec_lo, s22
	v_dual_mov_b32 v16, 0 :: v_dual_and_b32 v11, 15, v134
	s_mov_b32 s10, 0
	s_mov_b32 s22, exec_lo
                                        ; implicit-def: $vgpr18
                                        ; implicit-def: $vgpr10
	v_cndmask_b32_e32 v17, v25, v11, vcc_lo
	s_delay_alu instid0(VALU_DEP_1)
	v_cmpx_ne_u32_e32 0, v17
	s_cbranch_execz .LBB6_4986
; %bb.4985:                             ;   in Loop: Header=BB6_2973 Depth=1
	v_cmp_lt_i32_e64 s7, 0, v26
	v_sub_nc_u32_e32 v11, v25, v11
	v_and_b32_e32 v12, 0x3ffffe00, v134
	s_mov_b32 s10, exec_lo
	s_delay_alu instid0(VALU_DEP_3) | instskip(NEXT) | instid1(VALU_DEP_3)
	v_cndmask_b32_e64 v10, 0, v87, s7
	v_cndmask_b32_e32 v11, 0, v11, vcc_lo
	s_delay_alu instid0(VALU_DEP_2) | instskip(NEXT) | instid1(VALU_DEP_2)
	v_sub_nc_u32_e32 v10, v10, v26
	v_add_nc_u32_e32 v16, v11, v12
	s_delay_alu instid0(VALU_DEP_2) | instskip(NEXT) | instid1(VALU_DEP_1)
	v_lshl_add_u32 v18, v10, 5, v24
	v_ashrrev_i32_e32 v10, 31, v18
	s_delay_alu instid0(VALU_DEP_1) | instskip(NEXT) | instid1(VALU_DEP_1)
	v_lshrrev_b32_e32 v10, 27, v10
	v_add_nc_u32_e32 v10, v18, v10
	s_delay_alu instid0(VALU_DEP_1)
	v_ashrrev_i32_e32 v10, 5, v10
.LBB6_4986:                             ;   in Loop: Header=BB6_2973 Depth=1
	s_or_b32 exec_lo, exec_lo, s22
	s_delay_alu instid0(SALU_CYCLE_1)
	s_and_b32 s7, s10, exec_lo
.LBB6_4987:                             ;   in Loop: Header=BB6_2973 Depth=1
	s_or_b32 exec_lo, exec_lo, s21
.LBB6_4988:                             ;   in Loop: Header=BB6_2973 Depth=1
	s_and_saveexec_b32 s10, s7
	s_cbranch_execz .LBB6_5791
; %bb.4989:                             ;   in Loop: Header=BB6_2973 Depth=1
	s_delay_alu instid0(VALU_DEP_1) | instskip(SKIP_1) | instid1(VALU_DEP_1)
	v_ashrrev_i32_e32 v11, 31, v17
	s_mov_b32 s21, exec_lo
	v_lshrrev_b32_e32 v11, 22, v11
	s_delay_alu instid0(VALU_DEP_1) | instskip(NEXT) | instid1(VALU_DEP_1)
	v_add_nc_u32_e32 v11, v17, v11
	v_ashrrev_i32_e32 v20, 10, v11
	s_delay_alu instid0(VALU_DEP_1) | instskip(NEXT) | instid1(VALU_DEP_1)
	v_sub_nc_u32_e32 v19, v20, v10
	v_cmpx_lt_i32_e32 0, v19
	s_cbranch_execz .LBB6_5762
; %bb.4990:                             ;   in Loop: Header=BB6_2973 Depth=1
	s_cbranch_execnz .LBB6_6267
; %bb.4991:                             ;   in Loop: Header=BB6_2973 Depth=1
	v_ashrrev_i32_e32 v11, 31, v18
	ds_load_b64 v[21:22], v0
	v_lshlrev_b32_e32 v10, 10, v10
	s_mov_b32 s22, 0
	v_lshrrev_b32_e32 v11, 27, v11
	s_delay_alu instid0(VALU_DEP_1) | instskip(NEXT) | instid1(VALU_DEP_1)
	v_add_nc_u32_e32 v11, v18, v11
	v_and_b32_e32 v15, 0xffffffe0, v11
	ds_load_b128 v[11:14], v0
	v_sub_nc_u32_e32 v15, v18, v15
	s_waitcnt lgkmcnt(1)
	v_add_co_u32 v21, vcc_lo, 0x3e0, v21
	v_add_co_ci_u32_e32 v22, vcc_lo, 0, v22, vcc_lo
	s_delay_alu instid0(VALU_DEP_3) | instskip(NEXT) | instid1(VALU_DEP_1)
	v_add3_u32 v15, v16, v15, v10
	v_ashrrev_i32_e32 v23, 31, v15
	s_waitcnt lgkmcnt(0)
	v_add_co_u32 v10, vcc_lo, v11, v15
	s_delay_alu instid0(VALU_DEP_2)
	v_add_co_ci_u32_e32 v11, vcc_lo, v12, v23, vcc_lo
	v_add_co_u32 v12, vcc_lo, v13, v15
	v_add_co_ci_u32_e32 v13, vcc_lo, v14, v23, vcc_lo
	v_add_co_u32 v14, vcc_lo, v21, v15
	v_add_co_ci_u32_e32 v15, vcc_lo, v22, v23, vcc_lo
	s_branch .LBB6_4995
.LBB6_4992:                             ;   in Loop: Header=BB6_4995 Depth=2
	s_or_b32 exec_lo, exec_lo, s7
	s_delay_alu instid0(VALU_DEP_1) | instskip(NEXT) | instid1(VALU_DEP_2)
	v_lshrrev_b32_e32 v25, 21, v25
	v_cmp_gt_i32_e32 vcc_lo, 32, v21
	v_lshrrev_b32_e32 v22, 24, v22
	v_min_i32_e32 v28, 31, v21
	s_delay_alu instid0(VALU_DEP_2) | instskip(NEXT) | instid1(VALU_DEP_1)
	v_dual_cndmask_b32 v25, 3, v25 :: v_dual_and_b32 v22, 0x80, v22
	v_or_b32_e32 v21, v21, v25
	v_and_b32_e32 v33, 3, v25
	s_delay_alu instid0(VALU_DEP_2) | instskip(SKIP_1) | instid1(VALU_DEP_1)
	v_cmp_ne_u32_e32 vcc_lo, 0, v21
	v_lshlrev_b32_e32 v28, 2, v28
	v_or3_b32 v22, v28, v22, v33
	s_delay_alu instid0(VALU_DEP_1)
	v_cndmask_b32_e32 v21, 0, v22, vcc_lo
.LBB6_4993:                             ;   in Loop: Header=BB6_4995 Depth=2
	s_or_b32 exec_lo, exec_lo, s24
.LBB6_4994:                             ;   in Loop: Header=BB6_4995 Depth=2
	s_delay_alu instid0(SALU_CYCLE_1)
	s_or_b32 exec_lo, exec_lo, s23
	v_add_co_u32 v180, vcc_lo, 0xfffffc20, v14
	v_add_co_ci_u32_e32 v181, vcc_lo, -1, v15, vcc_lo
	v_add_co_u32 v22, vcc_lo, 0xfffffc40, v14
	v_sub_nc_u32_e32 v19, v19, v87
	flat_store_b8 v[180:181], v23 glc slc dlc
	v_add_co_ci_u32_e32 v23, vcc_lo, -1, v15, vcc_lo
	v_add_co_u32 v180, vcc_lo, 0xfffffc60, v14
	v_add_co_ci_u32_e32 v181, vcc_lo, -1, v15, vcc_lo
	v_add_co_u32 v182, vcc_lo, 0xfffffc80, v14
	v_add_co_ci_u32_e32 v183, vcc_lo, -1, v15, vcc_lo
	v_add_co_u32 v39, vcc_lo, 0xfffffca0, v14
	v_add_co_ci_u32_e32 v40, vcc_lo, -1, v15, vcc_lo
	v_add_co_u32 v41, vcc_lo, 0xfffffcc0, v14
	v_add_co_ci_u32_e32 v42, vcc_lo, -1, v15, vcc_lo
	flat_store_b8 v[22:23], v26 glc slc dlc
	flat_store_b8 v[180:181], v29 glc slc dlc
	flat_store_b8 v[182:183], v34 glc slc dlc
	flat_store_b8 v[39:40], v37 glc slc dlc
	flat_store_b8 v[41:42], v48 glc slc dlc
	v_add_co_u32 v22, vcc_lo, 0xfffffce0, v14
	v_add_co_ci_u32_e32 v23, vcc_lo, -1, v15, vcc_lo
	v_add_co_u32 v25, vcc_lo, 0xfffffd00, v14
	v_add_co_ci_u32_e32 v26, vcc_lo, -1, v15, vcc_lo
	v_add_co_u32 v28, vcc_lo, 0xfffffd20, v14
	v_add_co_ci_u32_e32 v29, vcc_lo, -1, v15, vcc_lo
	v_add_co_u32 v33, vcc_lo, 0xfffffd40, v14
	v_add_co_ci_u32_e32 v34, vcc_lo, -1, v15, vcc_lo
	v_add_co_u32 v36, vcc_lo, 0xfffffd60, v14
	v_add_co_ci_u32_e32 v37, vcc_lo, -1, v15, vcc_lo
	flat_store_b8 v[22:23], v51 glc slc dlc
	flat_store_b8 v[25:26], v96 glc slc dlc
	flat_store_b8 v[28:29], v99 glc slc dlc
	flat_store_b8 v[33:34], v145 glc slc dlc
	flat_store_b8 v[36:37], v148 glc slc dlc
	v_add_co_u32 v22, vcc_lo, 0xfffffd80, v14
	;; [unrolled: 15-line block ×5, first 2 shown]
	v_add_co_ci_u32_e32 v23, vcc_lo, -1, v15, vcc_lo
	v_add_co_u32 v25, vcc_lo, 0xffffff80, v14
	v_add_co_ci_u32_e32 v26, vcc_lo, -1, v15, vcc_lo
	v_add_co_u32 v28, vcc_lo, 0xffffffa0, v14
	;; [unrolled: 2-line block ×5, first 2 shown]
	v_add_co_ci_u32_e32 v11, vcc_lo, v11, v130, vcc_lo
	v_add_co_u32 v12, vcc_lo, v12, v129
	v_add_co_ci_u32_e32 v13, vcc_lo, v13, v130, vcc_lo
	flat_store_b8 v[22:23], v38 glc slc dlc
	flat_store_b8 v[25:26], v35 glc slc dlc
	;; [unrolled: 1-line block ×6, first 2 shown]
	v_cmp_gt_i32_e32 vcc_lo, 1, v19
	v_add_co_u32 v14, s7, v14, v129
	s_delay_alu instid0(VALU_DEP_1) | instskip(SKIP_1) | instid1(SALU_CYCLE_1)
	v_add_co_ci_u32_e64 v15, s7, v15, v130, s7
	s_or_b32 s22, vcc_lo, s22
	s_and_not1_b32 exec_lo, exec_lo, s22
	s_cbranch_execz .LBB6_5761
.LBB6_4995:                             ;   Parent Loop BB6_2973 Depth=1
                                        ; =>  This Inner Loop Header: Depth=2
	s_clause 0x1f
	flat_load_u8 v59, v[10:11] slc dlc
	flat_load_u8 v58, v[10:11] offset:32 slc dlc
	flat_load_u8 v57, v[10:11] offset:64 slc dlc
	;; [unrolled: 1-line block ×31, first 2 shown]
	s_clause 0x1f
	flat_load_u8 v23, v[12:13] slc dlc
	flat_load_u8 v26, v[12:13] offset:32 slc dlc
	flat_load_u8 v29, v[12:13] offset:64 slc dlc
	;; [unrolled: 1-line block ×31, first 2 shown]
	s_mov_b32 s7, 0
	s_mov_b32 s24, exec_lo
                                        ; implicit-def: $sgpr23
	s_waitcnt vmcnt(62) lgkmcnt(62)
	v_cmpx_lt_i16_e32 0x7f, v59
	s_xor_b32 s24, exec_lo, s24
	s_cbranch_execnz .LBB6_5505
; %bb.4996:                             ;   in Loop: Header=BB6_4995 Depth=2
	s_or_saveexec_b32 s24, s24
	v_mov_b32_e32 v60, s23
	s_xor_b32 exec_lo, exec_lo, s24
	s_cbranch_execnz .LBB6_5508
.LBB6_4997:                             ;   in Loop: Header=BB6_4995 Depth=2
	s_or_b32 exec_lo, exec_lo, s24
	s_and_saveexec_b32 s23, s7
	s_cbranch_execz .LBB6_4999
.LBB6_4998:                             ;   in Loop: Header=BB6_4995 Depth=2
	v_and_b32_e32 v60, 0xffff, v59
	v_lshlrev_b32_e32 v59, 24, v59
	s_delay_alu instid0(VALU_DEP_2) | instskip(NEXT) | instid1(VALU_DEP_2)
	v_and_b32_e32 v61, 3, v60
	v_and_b32_e32 v59, 0x80000000, v59
	s_delay_alu instid0(VALU_DEP_2) | instskip(NEXT) | instid1(VALU_DEP_1)
	v_clz_i32_u32_e32 v62, v61
	v_min_u32_e32 v62, 32, v62
	s_delay_alu instid0(VALU_DEP_1) | instskip(SKIP_1) | instid1(VALU_DEP_2)
	v_subrev_nc_u32_e32 v63, 29, v62
	v_sub_nc_u32_e32 v62, 30, v62
	v_lshlrev_b32_e32 v63, v63, v60
	v_bfe_u32 v60, v60, 2, 5
	s_delay_alu instid0(VALU_DEP_2) | instskip(NEXT) | instid1(VALU_DEP_2)
	v_and_b32_e32 v63, 3, v63
	v_cmp_eq_u32_e32 vcc_lo, 0, v60
	s_delay_alu instid0(VALU_DEP_2) | instskip(NEXT) | instid1(VALU_DEP_1)
	v_dual_cndmask_b32 v60, v60, v62 :: v_dual_cndmask_b32 v61, v61, v63
	v_lshl_add_u32 v60, v60, 23, 0x37800000
	s_delay_alu instid0(VALU_DEP_2) | instskip(NEXT) | instid1(VALU_DEP_1)
	v_lshlrev_b32_e32 v61, 21, v61
	v_or3_b32 v60, v59, v60, v61
.LBB6_4999:                             ;   in Loop: Header=BB6_4995 Depth=2
	s_or_b32 exec_lo, exec_lo, s23
	s_waitcnt vmcnt(31) lgkmcnt(31)
	v_and_b32_e32 v61, 0xff, v23
	s_mov_b32 s7, 0
	s_mov_b32 s24, exec_lo
                                        ; implicit-def: $sgpr23
	s_delay_alu instid0(VALU_DEP_1)
	v_cmpx_lt_i16_e32 0x7f, v61
	s_xor_b32 s24, exec_lo, s24
	s_cbranch_execnz .LBB6_5509
; %bb.5000:                             ;   in Loop: Header=BB6_4995 Depth=2
	s_or_saveexec_b32 s24, s24
	v_mov_b32_e32 v59, s23
	s_xor_b32 exec_lo, exec_lo, s24
	s_cbranch_execnz .LBB6_5512
.LBB6_5001:                             ;   in Loop: Header=BB6_4995 Depth=2
	s_or_b32 exec_lo, exec_lo, s24
	s_and_saveexec_b32 s23, s7
	s_cbranch_execz .LBB6_5003
.LBB6_5002:                             ;   in Loop: Header=BB6_4995 Depth=2
	v_and_b32_e32 v59, 3, v23
	v_lshrrev_b16 v63, 2, v23
	s_delay_alu instid0(VALU_DEP_2) | instskip(NEXT) | instid1(VALU_DEP_2)
	v_clz_i32_u32_e32 v61, v59
	v_and_b32_e32 v63, 31, v63
	s_delay_alu instid0(VALU_DEP_2) | instskip(NEXT) | instid1(VALU_DEP_2)
	v_min_u32_e32 v61, 32, v61
	v_cmp_eq_u32_e32 vcc_lo, 0, v63
	s_delay_alu instid0(VALU_DEP_2) | instskip(SKIP_1) | instid1(VALU_DEP_1)
	v_subrev_nc_u32_e32 v62, 29, v61
	v_sub_nc_u32_e32 v61, 30, v61
	v_dual_cndmask_b32 v61, v63, v61 :: v_dual_lshlrev_b32 v62, v62, v23
	v_lshlrev_b32_e32 v23, 24, v23
	s_delay_alu instid0(VALU_DEP_2) | instskip(NEXT) | instid1(VALU_DEP_3)
	v_and_b32_e32 v62, 3, v62
	v_lshl_add_u32 v61, v61, 23, 0x37800000
	s_delay_alu instid0(VALU_DEP_3) | instskip(NEXT) | instid1(VALU_DEP_3)
	v_and_b32_e32 v23, 0x80000000, v23
	v_cndmask_b32_e32 v59, v59, v62, vcc_lo
	s_delay_alu instid0(VALU_DEP_1) | instskip(NEXT) | instid1(VALU_DEP_1)
	v_lshlrev_b32_e32 v59, 21, v59
	v_or3_b32 v59, v23, v61, v59
.LBB6_5003:                             ;   in Loop: Header=BB6_4995 Depth=2
	s_or_b32 exec_lo, exec_lo, s23
	s_delay_alu instid0(VALU_DEP_1) | instskip(NEXT) | instid1(VALU_DEP_1)
	v_mul_f32_e32 v59, v60, v59
	v_and_b32_e32 v23, 0x7f800000, v59
	s_delay_alu instid0(VALU_DEP_1)
	v_cmp_ne_u32_e32 vcc_lo, 0x7f800000, v23
	v_mov_b32_e32 v23, 0x80
	s_and_saveexec_b32 s23, vcc_lo
	s_cbranch_execz .LBB6_5011
; %bb.5004:                             ;   in Loop: Header=BB6_4995 Depth=2
	v_mov_b32_e32 v23, 0
	s_mov_b32 s24, exec_lo
	v_cmpx_ne_u32_e32 0, v59
	s_cbranch_execz .LBB6_5010
; %bb.5005:                             ;   in Loop: Header=BB6_4995 Depth=2
	v_bfe_u32 v23, v59, 23, 8
	s_delay_alu instid0(VALU_DEP_1) | instskip(SKIP_1) | instid1(VALU_DEP_2)
	v_sub_nc_u32_e32 v61, 0x70, v23
	v_cmp_gt_u32_e32 vcc_lo, 0x71, v23
	v_dual_cndmask_b32 v61, 0, v61 :: v_dual_and_b32 v60, 0x7fffff, v59
	s_delay_alu instid0(VALU_DEP_1) | instskip(SKIP_2) | instid1(VALU_DEP_4)
	v_or_b32_e32 v62, 0x800000, v60
	v_cmp_eq_u32_e32 vcc_lo, 0, v23
	v_add_nc_u32_e32 v23, 0xffffff91, v23
	v_cndmask_b32_e64 v61, v61, 0x6f, vcc_lo
	s_delay_alu instid0(VALU_DEP_4) | instskip(NEXT) | instid1(VALU_DEP_3)
	v_cndmask_b32_e32 v60, v62, v60, vcc_lo
	v_cndmask_b32_e64 v23, v23, 0xffffff92, vcc_lo
	s_delay_alu instid0(VALU_DEP_3) | instskip(NEXT) | instid1(VALU_DEP_3)
	v_lshl_add_u32 v62, 0x200000, v61, -1
	v_lshrrev_b32_e32 v63, v61, v60
	v_lshlrev_b32_e64 v73, v61, 0x100000
	s_delay_alu instid0(VALU_DEP_4) | instskip(NEXT) | instid1(VALU_DEP_4)
	v_add_nc_u32_e32 v61, v61, v23
	v_and_b32_e32 v60, v62, v60
	s_delay_alu instid0(VALU_DEP_4) | instskip(NEXT) | instid1(VALU_DEP_2)
	v_bfe_u32 v72, v63, 21, 1
	v_cmp_eq_u32_e64 s7, v60, v73
	s_delay_alu instid0(VALU_DEP_2) | instskip(NEXT) | instid1(VALU_DEP_1)
	v_add_nc_u32_e32 v62, -1, v72
	v_cndmask_b32_e64 v60, 0, v62, s7
	v_lshrrev_b32_e32 v62, 23, v63
	s_mov_b32 s7, exec_lo
	s_delay_alu instid0(VALU_DEP_2) | instskip(NEXT) | instid1(VALU_DEP_2)
	v_add_nc_u32_e32 v60, v60, v63
	v_xor_b32_e32 v62, 1, v62
	s_delay_alu instid0(VALU_DEP_2) | instskip(NEXT) | instid1(VALU_DEP_1)
	v_and_b32_e32 v23, 0x1fffff, v60
	v_add_nc_u32_e32 v60, v23, v63
                                        ; implicit-def: $vgpr23
	s_delay_alu instid0(VALU_DEP_3)
	v_cmpx_ne_u32_e64 v61, v62
	s_xor_b32 s7, exec_lo, s7
; %bb.5006:                             ;   in Loop: Header=BB6_4995 Depth=2
	s_delay_alu instid0(VALU_DEP_2) | instskip(SKIP_2) | instid1(VALU_DEP_2)
	v_cmp_lt_u32_e32 vcc_lo, 0xffffff, v60
	v_sub_nc_u32_e32 v23, v61, v62
	v_cndmask_b32_e64 v61, 0, 1, vcc_lo
	v_add_co_ci_u32_e32 v23, vcc_lo, 0, v23, vcc_lo
	s_delay_alu instid0(VALU_DEP_2)
	v_lshrrev_b32_e32 v60, v61, v60
; %bb.5007:                             ;   in Loop: Header=BB6_4995 Depth=2
	s_and_not1_saveexec_b32 s7, s7
; %bb.5008:                             ;   in Loop: Header=BB6_4995 Depth=2
	s_delay_alu instid0(VALU_DEP_1)
	v_bfe_u32 v23, v60, 23, 1
; %bb.5009:                             ;   in Loop: Header=BB6_4995 Depth=2
	s_or_b32 exec_lo, exec_lo, s7
	v_lshrrev_b32_e32 v60, 21, v60
	s_delay_alu instid0(VALU_DEP_2) | instskip(SKIP_2) | instid1(VALU_DEP_2)
	v_cmp_gt_i32_e32 vcc_lo, 32, v23
	v_lshrrev_b32_e32 v59, 24, v59
	v_min_i32_e32 v61, 31, v23
	v_dual_cndmask_b32 v60, 3, v60 :: v_dual_and_b32 v59, 0x80, v59
	s_delay_alu instid0(VALU_DEP_2) | instskip(NEXT) | instid1(VALU_DEP_2)
	v_lshlrev_b32_e32 v61, 2, v61
	v_or_b32_e32 v23, v23, v60
	s_delay_alu instid0(VALU_DEP_1) | instskip(SKIP_1) | instid1(VALU_DEP_1)
	v_cmp_ne_u32_e32 vcc_lo, 0, v23
	v_and_b32_e32 v62, 3, v60
	v_or3_b32 v59, v61, v59, v62
	s_delay_alu instid0(VALU_DEP_1)
	v_cndmask_b32_e32 v23, 0, v59, vcc_lo
.LBB6_5010:                             ;   in Loop: Header=BB6_4995 Depth=2
	s_or_b32 exec_lo, exec_lo, s24
.LBB6_5011:                             ;   in Loop: Header=BB6_4995 Depth=2
	s_delay_alu instid0(SALU_CYCLE_1) | instskip(SKIP_3) | instid1(VALU_DEP_1)
	s_or_b32 exec_lo, exec_lo, s23
	v_and_b32_e32 v60, 0xff, v58
	s_mov_b32 s7, 0
	s_mov_b32 s24, exec_lo
                                        ; implicit-def: $sgpr23
	v_cmpx_lt_i16_e32 0x7f, v60
	s_xor_b32 s24, exec_lo, s24
	s_cbranch_execnz .LBB6_5513
; %bb.5012:                             ;   in Loop: Header=BB6_4995 Depth=2
	s_or_saveexec_b32 s24, s24
	v_mov_b32_e32 v59, s23
	s_xor_b32 exec_lo, exec_lo, s24
	s_cbranch_execnz .LBB6_5516
.LBB6_5013:                             ;   in Loop: Header=BB6_4995 Depth=2
	s_or_b32 exec_lo, exec_lo, s24
	s_and_saveexec_b32 s23, s7
	s_cbranch_execz .LBB6_5015
.LBB6_5014:                             ;   in Loop: Header=BB6_4995 Depth=2
	v_lshrrev_b16 v62, 2, v58
	s_delay_alu instid0(VALU_DEP_1) | instskip(NEXT) | instid1(VALU_DEP_1)
	v_and_b32_e32 v62, 31, v62
	v_cmp_eq_u32_e32 vcc_lo, 0, v62
	v_and_b32_e32 v59, 3, v58
	s_delay_alu instid0(VALU_DEP_1) | instskip(NEXT) | instid1(VALU_DEP_1)
	v_clz_i32_u32_e32 v60, v59
	v_min_u32_e32 v60, 32, v60
	s_delay_alu instid0(VALU_DEP_1) | instskip(SKIP_1) | instid1(VALU_DEP_1)
	v_subrev_nc_u32_e32 v61, 29, v60
	v_sub_nc_u32_e32 v60, 30, v60
	v_dual_cndmask_b32 v60, v62, v60 :: v_dual_lshlrev_b32 v61, v61, v58
	v_lshlrev_b32_e32 v58, 24, v58
	s_delay_alu instid0(VALU_DEP_2) | instskip(NEXT) | instid1(VALU_DEP_3)
	v_and_b32_e32 v61, 3, v61
	v_lshl_add_u32 v60, v60, 23, 0x37800000
	s_delay_alu instid0(VALU_DEP_2) | instskip(NEXT) | instid1(VALU_DEP_1)
	v_dual_cndmask_b32 v59, v59, v61 :: v_dual_and_b32 v58, 0x80000000, v58
	v_lshlrev_b32_e32 v59, 21, v59
	s_delay_alu instid0(VALU_DEP_1)
	v_or3_b32 v59, v58, v60, v59
.LBB6_5015:                             ;   in Loop: Header=BB6_4995 Depth=2
	s_or_b32 exec_lo, exec_lo, s23
	s_waitcnt vmcnt(30) lgkmcnt(30)
	v_and_b32_e32 v60, 0xff, v26
	s_mov_b32 s7, 0
	s_mov_b32 s24, exec_lo
                                        ; implicit-def: $sgpr23
	s_delay_alu instid0(VALU_DEP_1)
	v_cmpx_lt_i16_e32 0x7f, v60
	s_xor_b32 s24, exec_lo, s24
	s_cbranch_execnz .LBB6_5517
; %bb.5016:                             ;   in Loop: Header=BB6_4995 Depth=2
	s_or_saveexec_b32 s24, s24
	v_mov_b32_e32 v58, s23
	s_xor_b32 exec_lo, exec_lo, s24
	s_cbranch_execnz .LBB6_5520
.LBB6_5017:                             ;   in Loop: Header=BB6_4995 Depth=2
	s_or_b32 exec_lo, exec_lo, s24
	s_and_saveexec_b32 s23, s7
	s_cbranch_execz .LBB6_5019
.LBB6_5018:                             ;   in Loop: Header=BB6_4995 Depth=2
	v_and_b32_e32 v58, 3, v26
	v_lshrrev_b16 v62, 2, v26
	s_delay_alu instid0(VALU_DEP_2) | instskip(NEXT) | instid1(VALU_DEP_2)
	v_clz_i32_u32_e32 v60, v58
	v_and_b32_e32 v62, 31, v62
	s_delay_alu instid0(VALU_DEP_2) | instskip(NEXT) | instid1(VALU_DEP_2)
	v_min_u32_e32 v60, 32, v60
	v_cmp_eq_u32_e32 vcc_lo, 0, v62
	s_delay_alu instid0(VALU_DEP_2) | instskip(SKIP_1) | instid1(VALU_DEP_1)
	v_subrev_nc_u32_e32 v61, 29, v60
	v_sub_nc_u32_e32 v60, 30, v60
	v_dual_cndmask_b32 v60, v62, v60 :: v_dual_lshlrev_b32 v61, v61, v26
	v_lshlrev_b32_e32 v26, 24, v26
	s_delay_alu instid0(VALU_DEP_2) | instskip(NEXT) | instid1(VALU_DEP_3)
	v_and_b32_e32 v61, 3, v61
	v_lshl_add_u32 v60, v60, 23, 0x37800000
	s_delay_alu instid0(VALU_DEP_3) | instskip(NEXT) | instid1(VALU_DEP_3)
	v_and_b32_e32 v26, 0x80000000, v26
	v_cndmask_b32_e32 v58, v58, v61, vcc_lo
	s_delay_alu instid0(VALU_DEP_1) | instskip(NEXT) | instid1(VALU_DEP_1)
	v_lshlrev_b32_e32 v58, 21, v58
	v_or3_b32 v58, v26, v60, v58
.LBB6_5019:                             ;   in Loop: Header=BB6_4995 Depth=2
	s_or_b32 exec_lo, exec_lo, s23
	s_delay_alu instid0(VALU_DEP_1) | instskip(NEXT) | instid1(VALU_DEP_1)
	v_mul_f32_e32 v58, v59, v58
	v_and_b32_e32 v26, 0x7f800000, v58
	s_delay_alu instid0(VALU_DEP_1)
	v_cmp_ne_u32_e32 vcc_lo, 0x7f800000, v26
	v_mov_b32_e32 v26, 0x80
	s_and_saveexec_b32 s23, vcc_lo
	s_cbranch_execz .LBB6_5027
; %bb.5020:                             ;   in Loop: Header=BB6_4995 Depth=2
	v_mov_b32_e32 v26, 0
	s_mov_b32 s24, exec_lo
	v_cmpx_ne_u32_e32 0, v58
	s_cbranch_execz .LBB6_5026
; %bb.5021:                             ;   in Loop: Header=BB6_4995 Depth=2
	v_bfe_u32 v26, v58, 23, 8
	s_delay_alu instid0(VALU_DEP_1) | instskip(SKIP_1) | instid1(VALU_DEP_2)
	v_sub_nc_u32_e32 v60, 0x70, v26
	v_cmp_gt_u32_e32 vcc_lo, 0x71, v26
	v_dual_cndmask_b32 v60, 0, v60 :: v_dual_and_b32 v59, 0x7fffff, v58
	s_delay_alu instid0(VALU_DEP_1) | instskip(SKIP_2) | instid1(VALU_DEP_4)
	v_or_b32_e32 v61, 0x800000, v59
	v_cmp_eq_u32_e32 vcc_lo, 0, v26
	v_add_nc_u32_e32 v26, 0xffffff91, v26
	v_cndmask_b32_e64 v60, v60, 0x6f, vcc_lo
	s_delay_alu instid0(VALU_DEP_4) | instskip(NEXT) | instid1(VALU_DEP_3)
	v_cndmask_b32_e32 v59, v61, v59, vcc_lo
	v_cndmask_b32_e64 v26, v26, 0xffffff92, vcc_lo
	s_delay_alu instid0(VALU_DEP_3) | instskip(NEXT) | instid1(VALU_DEP_3)
	v_lshl_add_u32 v61, 0x200000, v60, -1
	v_lshrrev_b32_e32 v62, v60, v59
	v_lshlrev_b32_e64 v72, v60, 0x100000
	s_delay_alu instid0(VALU_DEP_4) | instskip(NEXT) | instid1(VALU_DEP_4)
	v_add_nc_u32_e32 v60, v60, v26
	v_and_b32_e32 v59, v61, v59
	s_delay_alu instid0(VALU_DEP_4) | instskip(NEXT) | instid1(VALU_DEP_2)
	v_bfe_u32 v63, v62, 21, 1
	v_cmp_eq_u32_e64 s7, v59, v72
	s_delay_alu instid0(VALU_DEP_2) | instskip(NEXT) | instid1(VALU_DEP_1)
	v_add_nc_u32_e32 v61, -1, v63
	v_cndmask_b32_e64 v59, 0, v61, s7
	v_lshrrev_b32_e32 v61, 23, v62
	s_mov_b32 s7, exec_lo
	s_delay_alu instid0(VALU_DEP_2) | instskip(NEXT) | instid1(VALU_DEP_2)
	v_add_nc_u32_e32 v59, v59, v62
	v_xor_b32_e32 v61, 1, v61
	s_delay_alu instid0(VALU_DEP_2) | instskip(NEXT) | instid1(VALU_DEP_1)
	v_and_b32_e32 v26, 0x1fffff, v59
	v_add_nc_u32_e32 v59, v26, v62
                                        ; implicit-def: $vgpr26
	s_delay_alu instid0(VALU_DEP_3)
	v_cmpx_ne_u32_e64 v60, v61
	s_xor_b32 s7, exec_lo, s7
; %bb.5022:                             ;   in Loop: Header=BB6_4995 Depth=2
	s_delay_alu instid0(VALU_DEP_2) | instskip(SKIP_2) | instid1(VALU_DEP_2)
	v_cmp_lt_u32_e32 vcc_lo, 0xffffff, v59
	v_sub_nc_u32_e32 v26, v60, v61
	v_cndmask_b32_e64 v60, 0, 1, vcc_lo
	v_add_co_ci_u32_e32 v26, vcc_lo, 0, v26, vcc_lo
	s_delay_alu instid0(VALU_DEP_2)
	v_lshrrev_b32_e32 v59, v60, v59
; %bb.5023:                             ;   in Loop: Header=BB6_4995 Depth=2
	s_and_not1_saveexec_b32 s7, s7
; %bb.5024:                             ;   in Loop: Header=BB6_4995 Depth=2
	s_delay_alu instid0(VALU_DEP_1)
	v_bfe_u32 v26, v59, 23, 1
; %bb.5025:                             ;   in Loop: Header=BB6_4995 Depth=2
	s_or_b32 exec_lo, exec_lo, s7
	v_lshrrev_b32_e32 v59, 21, v59
	s_delay_alu instid0(VALU_DEP_2) | instskip(SKIP_2) | instid1(VALU_DEP_2)
	v_cmp_gt_i32_e32 vcc_lo, 32, v26
	v_lshrrev_b32_e32 v58, 24, v58
	v_min_i32_e32 v60, 31, v26
	v_dual_cndmask_b32 v59, 3, v59 :: v_dual_and_b32 v58, 0x80, v58
	s_delay_alu instid0(VALU_DEP_2) | instskip(NEXT) | instid1(VALU_DEP_2)
	v_lshlrev_b32_e32 v60, 2, v60
	v_or_b32_e32 v26, v26, v59
	s_delay_alu instid0(VALU_DEP_1) | instskip(SKIP_1) | instid1(VALU_DEP_1)
	v_cmp_ne_u32_e32 vcc_lo, 0, v26
	v_and_b32_e32 v61, 3, v59
	v_or3_b32 v58, v60, v58, v61
	s_delay_alu instid0(VALU_DEP_1)
	v_cndmask_b32_e32 v26, 0, v58, vcc_lo
.LBB6_5026:                             ;   in Loop: Header=BB6_4995 Depth=2
	s_or_b32 exec_lo, exec_lo, s24
.LBB6_5027:                             ;   in Loop: Header=BB6_4995 Depth=2
	s_delay_alu instid0(SALU_CYCLE_1) | instskip(SKIP_3) | instid1(VALU_DEP_1)
	s_or_b32 exec_lo, exec_lo, s23
	v_and_b32_e32 v59, 0xff, v57
	s_mov_b32 s7, 0
	s_mov_b32 s24, exec_lo
                                        ; implicit-def: $sgpr23
	v_cmpx_lt_i16_e32 0x7f, v59
	s_xor_b32 s24, exec_lo, s24
	s_cbranch_execnz .LBB6_5521
; %bb.5028:                             ;   in Loop: Header=BB6_4995 Depth=2
	s_or_saveexec_b32 s24, s24
	v_mov_b32_e32 v58, s23
	s_xor_b32 exec_lo, exec_lo, s24
	s_cbranch_execnz .LBB6_5524
.LBB6_5029:                             ;   in Loop: Header=BB6_4995 Depth=2
	s_or_b32 exec_lo, exec_lo, s24
	s_and_saveexec_b32 s23, s7
	s_cbranch_execz .LBB6_5031
.LBB6_5030:                             ;   in Loop: Header=BB6_4995 Depth=2
	v_lshrrev_b16 v61, 2, v57
	s_delay_alu instid0(VALU_DEP_1) | instskip(NEXT) | instid1(VALU_DEP_1)
	v_and_b32_e32 v61, 31, v61
	v_cmp_eq_u32_e32 vcc_lo, 0, v61
	v_and_b32_e32 v58, 3, v57
	s_delay_alu instid0(VALU_DEP_1) | instskip(NEXT) | instid1(VALU_DEP_1)
	v_clz_i32_u32_e32 v59, v58
	v_min_u32_e32 v59, 32, v59
	s_delay_alu instid0(VALU_DEP_1) | instskip(SKIP_1) | instid1(VALU_DEP_1)
	v_subrev_nc_u32_e32 v60, 29, v59
	v_sub_nc_u32_e32 v59, 30, v59
	v_dual_cndmask_b32 v59, v61, v59 :: v_dual_lshlrev_b32 v60, v60, v57
	v_lshlrev_b32_e32 v57, 24, v57
	s_delay_alu instid0(VALU_DEP_2) | instskip(NEXT) | instid1(VALU_DEP_3)
	v_and_b32_e32 v60, 3, v60
	v_lshl_add_u32 v59, v59, 23, 0x37800000
	s_delay_alu instid0(VALU_DEP_2) | instskip(NEXT) | instid1(VALU_DEP_1)
	v_dual_cndmask_b32 v58, v58, v60 :: v_dual_and_b32 v57, 0x80000000, v57
	v_lshlrev_b32_e32 v58, 21, v58
	s_delay_alu instid0(VALU_DEP_1)
	v_or3_b32 v58, v57, v59, v58
.LBB6_5031:                             ;   in Loop: Header=BB6_4995 Depth=2
	s_or_b32 exec_lo, exec_lo, s23
	s_waitcnt vmcnt(29) lgkmcnt(29)
	v_and_b32_e32 v59, 0xff, v29
	s_mov_b32 s7, 0
	s_mov_b32 s24, exec_lo
                                        ; implicit-def: $sgpr23
	s_delay_alu instid0(VALU_DEP_1)
	v_cmpx_lt_i16_e32 0x7f, v59
	s_xor_b32 s24, exec_lo, s24
	s_cbranch_execnz .LBB6_5525
; %bb.5032:                             ;   in Loop: Header=BB6_4995 Depth=2
	s_or_saveexec_b32 s24, s24
	v_mov_b32_e32 v57, s23
	s_xor_b32 exec_lo, exec_lo, s24
	s_cbranch_execnz .LBB6_5528
.LBB6_5033:                             ;   in Loop: Header=BB6_4995 Depth=2
	s_or_b32 exec_lo, exec_lo, s24
	s_and_saveexec_b32 s23, s7
	s_cbranch_execz .LBB6_5035
.LBB6_5034:                             ;   in Loop: Header=BB6_4995 Depth=2
	v_and_b32_e32 v57, 3, v29
	v_lshrrev_b16 v61, 2, v29
	s_delay_alu instid0(VALU_DEP_2) | instskip(NEXT) | instid1(VALU_DEP_2)
	v_clz_i32_u32_e32 v59, v57
	v_and_b32_e32 v61, 31, v61
	s_delay_alu instid0(VALU_DEP_2) | instskip(NEXT) | instid1(VALU_DEP_2)
	v_min_u32_e32 v59, 32, v59
	v_cmp_eq_u32_e32 vcc_lo, 0, v61
	s_delay_alu instid0(VALU_DEP_2) | instskip(SKIP_1) | instid1(VALU_DEP_1)
	v_subrev_nc_u32_e32 v60, 29, v59
	v_sub_nc_u32_e32 v59, 30, v59
	v_dual_cndmask_b32 v59, v61, v59 :: v_dual_lshlrev_b32 v60, v60, v29
	v_lshlrev_b32_e32 v29, 24, v29
	s_delay_alu instid0(VALU_DEP_2) | instskip(NEXT) | instid1(VALU_DEP_3)
	v_and_b32_e32 v60, 3, v60
	v_lshl_add_u32 v59, v59, 23, 0x37800000
	s_delay_alu instid0(VALU_DEP_3) | instskip(NEXT) | instid1(VALU_DEP_3)
	v_and_b32_e32 v29, 0x80000000, v29
	v_cndmask_b32_e32 v57, v57, v60, vcc_lo
	s_delay_alu instid0(VALU_DEP_1) | instskip(NEXT) | instid1(VALU_DEP_1)
	v_lshlrev_b32_e32 v57, 21, v57
	v_or3_b32 v57, v29, v59, v57
.LBB6_5035:                             ;   in Loop: Header=BB6_4995 Depth=2
	s_or_b32 exec_lo, exec_lo, s23
	s_delay_alu instid0(VALU_DEP_1) | instskip(NEXT) | instid1(VALU_DEP_1)
	v_mul_f32_e32 v57, v58, v57
	v_and_b32_e32 v29, 0x7f800000, v57
	s_delay_alu instid0(VALU_DEP_1)
	v_cmp_ne_u32_e32 vcc_lo, 0x7f800000, v29
	v_mov_b32_e32 v29, 0x80
	s_and_saveexec_b32 s23, vcc_lo
	s_cbranch_execz .LBB6_5043
; %bb.5036:                             ;   in Loop: Header=BB6_4995 Depth=2
	v_mov_b32_e32 v29, 0
	s_mov_b32 s24, exec_lo
	v_cmpx_ne_u32_e32 0, v57
	s_cbranch_execz .LBB6_5042
; %bb.5037:                             ;   in Loop: Header=BB6_4995 Depth=2
	v_bfe_u32 v29, v57, 23, 8
	s_delay_alu instid0(VALU_DEP_1) | instskip(SKIP_1) | instid1(VALU_DEP_2)
	v_sub_nc_u32_e32 v59, 0x70, v29
	v_cmp_gt_u32_e32 vcc_lo, 0x71, v29
	v_dual_cndmask_b32 v59, 0, v59 :: v_dual_and_b32 v58, 0x7fffff, v57
	s_delay_alu instid0(VALU_DEP_1) | instskip(SKIP_2) | instid1(VALU_DEP_4)
	v_or_b32_e32 v60, 0x800000, v58
	v_cmp_eq_u32_e32 vcc_lo, 0, v29
	v_add_nc_u32_e32 v29, 0xffffff91, v29
	v_cndmask_b32_e64 v59, v59, 0x6f, vcc_lo
	s_delay_alu instid0(VALU_DEP_4) | instskip(NEXT) | instid1(VALU_DEP_3)
	v_cndmask_b32_e32 v58, v60, v58, vcc_lo
	v_cndmask_b32_e64 v29, v29, 0xffffff92, vcc_lo
	s_delay_alu instid0(VALU_DEP_3) | instskip(NEXT) | instid1(VALU_DEP_3)
	v_lshl_add_u32 v60, 0x200000, v59, -1
	v_lshrrev_b32_e32 v61, v59, v58
	v_lshlrev_b32_e64 v63, v59, 0x100000
	s_delay_alu instid0(VALU_DEP_4) | instskip(NEXT) | instid1(VALU_DEP_4)
	v_add_nc_u32_e32 v59, v59, v29
	v_and_b32_e32 v58, v60, v58
	s_delay_alu instid0(VALU_DEP_4) | instskip(NEXT) | instid1(VALU_DEP_2)
	v_bfe_u32 v62, v61, 21, 1
	v_cmp_eq_u32_e64 s7, v58, v63
	s_delay_alu instid0(VALU_DEP_2) | instskip(NEXT) | instid1(VALU_DEP_1)
	v_add_nc_u32_e32 v60, -1, v62
	v_cndmask_b32_e64 v58, 0, v60, s7
	v_lshrrev_b32_e32 v60, 23, v61
	s_mov_b32 s7, exec_lo
	s_delay_alu instid0(VALU_DEP_2) | instskip(NEXT) | instid1(VALU_DEP_2)
	v_add_nc_u32_e32 v58, v58, v61
	v_xor_b32_e32 v60, 1, v60
	s_delay_alu instid0(VALU_DEP_2) | instskip(NEXT) | instid1(VALU_DEP_1)
	v_and_b32_e32 v29, 0x1fffff, v58
	v_add_nc_u32_e32 v58, v29, v61
                                        ; implicit-def: $vgpr29
	s_delay_alu instid0(VALU_DEP_3)
	v_cmpx_ne_u32_e64 v59, v60
	s_xor_b32 s7, exec_lo, s7
; %bb.5038:                             ;   in Loop: Header=BB6_4995 Depth=2
	s_delay_alu instid0(VALU_DEP_2) | instskip(SKIP_2) | instid1(VALU_DEP_2)
	v_cmp_lt_u32_e32 vcc_lo, 0xffffff, v58
	v_sub_nc_u32_e32 v29, v59, v60
	v_cndmask_b32_e64 v59, 0, 1, vcc_lo
	v_add_co_ci_u32_e32 v29, vcc_lo, 0, v29, vcc_lo
	s_delay_alu instid0(VALU_DEP_2)
	v_lshrrev_b32_e32 v58, v59, v58
; %bb.5039:                             ;   in Loop: Header=BB6_4995 Depth=2
	s_and_not1_saveexec_b32 s7, s7
; %bb.5040:                             ;   in Loop: Header=BB6_4995 Depth=2
	s_delay_alu instid0(VALU_DEP_1)
	v_bfe_u32 v29, v58, 23, 1
; %bb.5041:                             ;   in Loop: Header=BB6_4995 Depth=2
	s_or_b32 exec_lo, exec_lo, s7
	v_lshrrev_b32_e32 v58, 21, v58
	s_delay_alu instid0(VALU_DEP_2) | instskip(SKIP_2) | instid1(VALU_DEP_2)
	v_cmp_gt_i32_e32 vcc_lo, 32, v29
	v_lshrrev_b32_e32 v57, 24, v57
	v_min_i32_e32 v59, 31, v29
	v_dual_cndmask_b32 v58, 3, v58 :: v_dual_and_b32 v57, 0x80, v57
	s_delay_alu instid0(VALU_DEP_2) | instskip(NEXT) | instid1(VALU_DEP_2)
	v_lshlrev_b32_e32 v59, 2, v59
	v_or_b32_e32 v29, v29, v58
	s_delay_alu instid0(VALU_DEP_1) | instskip(SKIP_1) | instid1(VALU_DEP_1)
	v_cmp_ne_u32_e32 vcc_lo, 0, v29
	v_and_b32_e32 v60, 3, v58
	v_or3_b32 v57, v59, v57, v60
	s_delay_alu instid0(VALU_DEP_1)
	v_cndmask_b32_e32 v29, 0, v57, vcc_lo
.LBB6_5042:                             ;   in Loop: Header=BB6_4995 Depth=2
	s_or_b32 exec_lo, exec_lo, s24
.LBB6_5043:                             ;   in Loop: Header=BB6_4995 Depth=2
	s_delay_alu instid0(SALU_CYCLE_1) | instskip(SKIP_3) | instid1(VALU_DEP_1)
	s_or_b32 exec_lo, exec_lo, s23
	v_and_b32_e32 v58, 0xff, v56
	s_mov_b32 s7, 0
	s_mov_b32 s24, exec_lo
                                        ; implicit-def: $sgpr23
	v_cmpx_lt_i16_e32 0x7f, v58
	s_xor_b32 s24, exec_lo, s24
	s_cbranch_execnz .LBB6_5529
; %bb.5044:                             ;   in Loop: Header=BB6_4995 Depth=2
	s_or_saveexec_b32 s24, s24
	v_mov_b32_e32 v57, s23
	s_xor_b32 exec_lo, exec_lo, s24
	s_cbranch_execnz .LBB6_5532
.LBB6_5045:                             ;   in Loop: Header=BB6_4995 Depth=2
	s_or_b32 exec_lo, exec_lo, s24
	s_and_saveexec_b32 s23, s7
	s_cbranch_execz .LBB6_5047
.LBB6_5046:                             ;   in Loop: Header=BB6_4995 Depth=2
	v_lshrrev_b16 v60, 2, v56
	s_delay_alu instid0(VALU_DEP_1) | instskip(NEXT) | instid1(VALU_DEP_1)
	v_and_b32_e32 v60, 31, v60
	v_cmp_eq_u32_e32 vcc_lo, 0, v60
	v_and_b32_e32 v57, 3, v56
	s_delay_alu instid0(VALU_DEP_1) | instskip(NEXT) | instid1(VALU_DEP_1)
	v_clz_i32_u32_e32 v58, v57
	v_min_u32_e32 v58, 32, v58
	s_delay_alu instid0(VALU_DEP_1) | instskip(SKIP_1) | instid1(VALU_DEP_1)
	v_subrev_nc_u32_e32 v59, 29, v58
	v_sub_nc_u32_e32 v58, 30, v58
	v_dual_cndmask_b32 v58, v60, v58 :: v_dual_lshlrev_b32 v59, v59, v56
	v_lshlrev_b32_e32 v56, 24, v56
	s_delay_alu instid0(VALU_DEP_2) | instskip(NEXT) | instid1(VALU_DEP_3)
	v_and_b32_e32 v59, 3, v59
	v_lshl_add_u32 v58, v58, 23, 0x37800000
	s_delay_alu instid0(VALU_DEP_2) | instskip(NEXT) | instid1(VALU_DEP_1)
	v_dual_cndmask_b32 v57, v57, v59 :: v_dual_and_b32 v56, 0x80000000, v56
	v_lshlrev_b32_e32 v57, 21, v57
	s_delay_alu instid0(VALU_DEP_1)
	v_or3_b32 v57, v56, v58, v57
.LBB6_5047:                             ;   in Loop: Header=BB6_4995 Depth=2
	s_or_b32 exec_lo, exec_lo, s23
	s_waitcnt vmcnt(28) lgkmcnt(28)
	v_and_b32_e32 v58, 0xff, v34
	s_mov_b32 s7, 0
	s_mov_b32 s24, exec_lo
                                        ; implicit-def: $sgpr23
	s_delay_alu instid0(VALU_DEP_1)
	v_cmpx_lt_i16_e32 0x7f, v58
	s_xor_b32 s24, exec_lo, s24
	s_cbranch_execnz .LBB6_5533
; %bb.5048:                             ;   in Loop: Header=BB6_4995 Depth=2
	s_or_saveexec_b32 s24, s24
	v_mov_b32_e32 v56, s23
	s_xor_b32 exec_lo, exec_lo, s24
	s_cbranch_execnz .LBB6_5536
.LBB6_5049:                             ;   in Loop: Header=BB6_4995 Depth=2
	s_or_b32 exec_lo, exec_lo, s24
	s_and_saveexec_b32 s23, s7
	s_cbranch_execz .LBB6_5051
.LBB6_5050:                             ;   in Loop: Header=BB6_4995 Depth=2
	v_and_b32_e32 v56, 3, v34
	v_lshrrev_b16 v60, 2, v34
	s_delay_alu instid0(VALU_DEP_2) | instskip(NEXT) | instid1(VALU_DEP_2)
	v_clz_i32_u32_e32 v58, v56
	v_and_b32_e32 v60, 31, v60
	s_delay_alu instid0(VALU_DEP_2) | instskip(NEXT) | instid1(VALU_DEP_2)
	v_min_u32_e32 v58, 32, v58
	v_cmp_eq_u32_e32 vcc_lo, 0, v60
	s_delay_alu instid0(VALU_DEP_2) | instskip(SKIP_1) | instid1(VALU_DEP_2)
	v_subrev_nc_u32_e32 v59, 29, v58
	v_sub_nc_u32_e32 v58, 30, v58
	v_lshlrev_b32_e32 v59, v59, v34
	v_lshlrev_b32_e32 v34, 24, v34
	s_delay_alu instid0(VALU_DEP_2) | instskip(NEXT) | instid1(VALU_DEP_2)
	v_dual_cndmask_b32 v58, v60, v58 :: v_dual_and_b32 v59, 3, v59
	v_and_b32_e32 v34, 0x80000000, v34
	s_delay_alu instid0(VALU_DEP_2) | instskip(NEXT) | instid1(VALU_DEP_3)
	v_lshl_add_u32 v58, v58, 23, 0x37800000
	v_cndmask_b32_e32 v56, v56, v59, vcc_lo
	s_delay_alu instid0(VALU_DEP_1) | instskip(NEXT) | instid1(VALU_DEP_1)
	v_lshlrev_b32_e32 v56, 21, v56
	v_or3_b32 v56, v34, v58, v56
.LBB6_5051:                             ;   in Loop: Header=BB6_4995 Depth=2
	s_or_b32 exec_lo, exec_lo, s23
	s_delay_alu instid0(VALU_DEP_1) | instskip(NEXT) | instid1(VALU_DEP_1)
	v_mul_f32_e32 v56, v57, v56
	v_and_b32_e32 v34, 0x7f800000, v56
	s_delay_alu instid0(VALU_DEP_1)
	v_cmp_ne_u32_e32 vcc_lo, 0x7f800000, v34
	v_mov_b32_e32 v34, 0x80
	s_and_saveexec_b32 s23, vcc_lo
	s_cbranch_execz .LBB6_5059
; %bb.5052:                             ;   in Loop: Header=BB6_4995 Depth=2
	v_mov_b32_e32 v34, 0
	s_mov_b32 s24, exec_lo
	v_cmpx_ne_u32_e32 0, v56
	s_cbranch_execz .LBB6_5058
; %bb.5053:                             ;   in Loop: Header=BB6_4995 Depth=2
	v_bfe_u32 v34, v56, 23, 8
	s_delay_alu instid0(VALU_DEP_1) | instskip(SKIP_1) | instid1(VALU_DEP_2)
	v_sub_nc_u32_e32 v58, 0x70, v34
	v_cmp_gt_u32_e32 vcc_lo, 0x71, v34
	v_dual_cndmask_b32 v58, 0, v58 :: v_dual_and_b32 v57, 0x7fffff, v56
	s_delay_alu instid0(VALU_DEP_1) | instskip(SKIP_2) | instid1(VALU_DEP_4)
	v_or_b32_e32 v59, 0x800000, v57
	v_cmp_eq_u32_e32 vcc_lo, 0, v34
	v_add_nc_u32_e32 v34, 0xffffff91, v34
	v_cndmask_b32_e64 v58, v58, 0x6f, vcc_lo
	s_delay_alu instid0(VALU_DEP_4) | instskip(NEXT) | instid1(VALU_DEP_3)
	v_cndmask_b32_e32 v57, v59, v57, vcc_lo
	v_cndmask_b32_e64 v34, v34, 0xffffff92, vcc_lo
	s_delay_alu instid0(VALU_DEP_3) | instskip(NEXT) | instid1(VALU_DEP_3)
	v_lshl_add_u32 v59, 0x200000, v58, -1
	v_lshrrev_b32_e32 v60, v58, v57
	v_lshlrev_b32_e64 v62, v58, 0x100000
	s_delay_alu instid0(VALU_DEP_4) | instskip(NEXT) | instid1(VALU_DEP_4)
	v_add_nc_u32_e32 v58, v58, v34
	v_and_b32_e32 v57, v59, v57
	s_delay_alu instid0(VALU_DEP_4) | instskip(NEXT) | instid1(VALU_DEP_2)
	v_bfe_u32 v61, v60, 21, 1
	v_cmp_eq_u32_e64 s7, v57, v62
	s_delay_alu instid0(VALU_DEP_2) | instskip(NEXT) | instid1(VALU_DEP_1)
	v_add_nc_u32_e32 v59, -1, v61
	v_cndmask_b32_e64 v57, 0, v59, s7
	v_lshrrev_b32_e32 v59, 23, v60
	s_mov_b32 s7, exec_lo
	s_delay_alu instid0(VALU_DEP_2) | instskip(NEXT) | instid1(VALU_DEP_2)
	v_add_nc_u32_e32 v57, v57, v60
	v_xor_b32_e32 v59, 1, v59
	s_delay_alu instid0(VALU_DEP_2) | instskip(NEXT) | instid1(VALU_DEP_1)
	v_and_b32_e32 v34, 0x1fffff, v57
	v_add_nc_u32_e32 v57, v34, v60
                                        ; implicit-def: $vgpr34
	s_delay_alu instid0(VALU_DEP_3)
	v_cmpx_ne_u32_e64 v58, v59
	s_xor_b32 s7, exec_lo, s7
; %bb.5054:                             ;   in Loop: Header=BB6_4995 Depth=2
	s_delay_alu instid0(VALU_DEP_2) | instskip(SKIP_2) | instid1(VALU_DEP_2)
	v_cmp_lt_u32_e32 vcc_lo, 0xffffff, v57
	v_sub_nc_u32_e32 v34, v58, v59
	v_cndmask_b32_e64 v58, 0, 1, vcc_lo
	v_add_co_ci_u32_e32 v34, vcc_lo, 0, v34, vcc_lo
	s_delay_alu instid0(VALU_DEP_2)
	v_lshrrev_b32_e32 v57, v58, v57
; %bb.5055:                             ;   in Loop: Header=BB6_4995 Depth=2
	s_and_not1_saveexec_b32 s7, s7
; %bb.5056:                             ;   in Loop: Header=BB6_4995 Depth=2
	s_delay_alu instid0(VALU_DEP_1)
	v_bfe_u32 v34, v57, 23, 1
; %bb.5057:                             ;   in Loop: Header=BB6_4995 Depth=2
	s_or_b32 exec_lo, exec_lo, s7
	v_lshrrev_b32_e32 v57, 21, v57
	s_delay_alu instid0(VALU_DEP_2) | instskip(SKIP_2) | instid1(VALU_DEP_2)
	v_cmp_gt_i32_e32 vcc_lo, 32, v34
	v_lshrrev_b32_e32 v56, 24, v56
	v_min_i32_e32 v58, 31, v34
	v_dual_cndmask_b32 v57, 3, v57 :: v_dual_and_b32 v56, 0x80, v56
	s_delay_alu instid0(VALU_DEP_2) | instskip(NEXT) | instid1(VALU_DEP_2)
	v_lshlrev_b32_e32 v58, 2, v58
	v_or_b32_e32 v34, v34, v57
	s_delay_alu instid0(VALU_DEP_1) | instskip(SKIP_1) | instid1(VALU_DEP_1)
	v_cmp_ne_u32_e32 vcc_lo, 0, v34
	v_and_b32_e32 v59, 3, v57
	v_or3_b32 v56, v58, v56, v59
	s_delay_alu instid0(VALU_DEP_1)
	v_cndmask_b32_e32 v34, 0, v56, vcc_lo
.LBB6_5058:                             ;   in Loop: Header=BB6_4995 Depth=2
	s_or_b32 exec_lo, exec_lo, s24
.LBB6_5059:                             ;   in Loop: Header=BB6_4995 Depth=2
	s_delay_alu instid0(SALU_CYCLE_1) | instskip(SKIP_3) | instid1(VALU_DEP_1)
	s_or_b32 exec_lo, exec_lo, s23
	v_and_b32_e32 v57, 0xff, v47
	s_mov_b32 s7, 0
	s_mov_b32 s24, exec_lo
                                        ; implicit-def: $sgpr23
	v_cmpx_lt_i16_e32 0x7f, v57
	s_xor_b32 s24, exec_lo, s24
	s_cbranch_execnz .LBB6_5537
; %bb.5060:                             ;   in Loop: Header=BB6_4995 Depth=2
	s_or_saveexec_b32 s24, s24
	v_mov_b32_e32 v56, s23
	s_xor_b32 exec_lo, exec_lo, s24
	s_cbranch_execnz .LBB6_5540
.LBB6_5061:                             ;   in Loop: Header=BB6_4995 Depth=2
	s_or_b32 exec_lo, exec_lo, s24
	s_and_saveexec_b32 s23, s7
	s_cbranch_execz .LBB6_5063
.LBB6_5062:                             ;   in Loop: Header=BB6_4995 Depth=2
	v_lshrrev_b16 v59, 2, v47
	s_delay_alu instid0(VALU_DEP_1) | instskip(NEXT) | instid1(VALU_DEP_1)
	v_and_b32_e32 v59, 31, v59
	v_cmp_eq_u32_e32 vcc_lo, 0, v59
	v_and_b32_e32 v56, 3, v47
	s_delay_alu instid0(VALU_DEP_1) | instskip(NEXT) | instid1(VALU_DEP_1)
	v_clz_i32_u32_e32 v57, v56
	v_min_u32_e32 v57, 32, v57
	s_delay_alu instid0(VALU_DEP_1) | instskip(SKIP_1) | instid1(VALU_DEP_1)
	v_subrev_nc_u32_e32 v58, 29, v57
	v_sub_nc_u32_e32 v57, 30, v57
	v_dual_cndmask_b32 v57, v59, v57 :: v_dual_lshlrev_b32 v58, v58, v47
	v_lshlrev_b32_e32 v47, 24, v47
	s_delay_alu instid0(VALU_DEP_2) | instskip(NEXT) | instid1(VALU_DEP_3)
	v_and_b32_e32 v58, 3, v58
	v_lshl_add_u32 v57, v57, 23, 0x37800000
	s_delay_alu instid0(VALU_DEP_2) | instskip(NEXT) | instid1(VALU_DEP_1)
	v_dual_cndmask_b32 v56, v56, v58 :: v_dual_and_b32 v47, 0x80000000, v47
	v_lshlrev_b32_e32 v56, 21, v56
	s_delay_alu instid0(VALU_DEP_1)
	v_or3_b32 v56, v47, v57, v56
.LBB6_5063:                             ;   in Loop: Header=BB6_4995 Depth=2
	s_or_b32 exec_lo, exec_lo, s23
	s_waitcnt vmcnt(27) lgkmcnt(27)
	v_and_b32_e32 v57, 0xff, v37
	s_mov_b32 s7, 0
	s_mov_b32 s24, exec_lo
                                        ; implicit-def: $sgpr23
	s_delay_alu instid0(VALU_DEP_1)
	v_cmpx_lt_i16_e32 0x7f, v57
	s_xor_b32 s24, exec_lo, s24
	s_cbranch_execnz .LBB6_5541
; %bb.5064:                             ;   in Loop: Header=BB6_4995 Depth=2
	s_or_saveexec_b32 s24, s24
	v_mov_b32_e32 v47, s23
	s_xor_b32 exec_lo, exec_lo, s24
	s_cbranch_execnz .LBB6_5544
.LBB6_5065:                             ;   in Loop: Header=BB6_4995 Depth=2
	s_or_b32 exec_lo, exec_lo, s24
	s_and_saveexec_b32 s23, s7
	s_cbranch_execz .LBB6_5067
.LBB6_5066:                             ;   in Loop: Header=BB6_4995 Depth=2
	v_and_b32_e32 v47, 3, v37
	v_lshrrev_b16 v59, 2, v37
	s_delay_alu instid0(VALU_DEP_2) | instskip(NEXT) | instid1(VALU_DEP_2)
	v_clz_i32_u32_e32 v57, v47
	v_and_b32_e32 v59, 31, v59
	s_delay_alu instid0(VALU_DEP_2) | instskip(NEXT) | instid1(VALU_DEP_2)
	v_min_u32_e32 v57, 32, v57
	v_cmp_eq_u32_e32 vcc_lo, 0, v59
	s_delay_alu instid0(VALU_DEP_2) | instskip(SKIP_1) | instid1(VALU_DEP_2)
	v_subrev_nc_u32_e32 v58, 29, v57
	v_sub_nc_u32_e32 v57, 30, v57
	v_lshlrev_b32_e32 v58, v58, v37
	v_lshlrev_b32_e32 v37, 24, v37
	s_delay_alu instid0(VALU_DEP_2) | instskip(NEXT) | instid1(VALU_DEP_2)
	v_dual_cndmask_b32 v57, v59, v57 :: v_dual_and_b32 v58, 3, v58
	v_and_b32_e32 v37, 0x80000000, v37
	s_delay_alu instid0(VALU_DEP_2) | instskip(NEXT) | instid1(VALU_DEP_3)
	v_lshl_add_u32 v57, v57, 23, 0x37800000
	v_cndmask_b32_e32 v47, v47, v58, vcc_lo
	s_delay_alu instid0(VALU_DEP_1) | instskip(NEXT) | instid1(VALU_DEP_1)
	v_lshlrev_b32_e32 v47, 21, v47
	v_or3_b32 v47, v37, v57, v47
.LBB6_5067:                             ;   in Loop: Header=BB6_4995 Depth=2
	s_or_b32 exec_lo, exec_lo, s23
	s_delay_alu instid0(VALU_DEP_1) | instskip(NEXT) | instid1(VALU_DEP_1)
	v_mul_f32_e32 v47, v56, v47
	v_and_b32_e32 v37, 0x7f800000, v47
	s_delay_alu instid0(VALU_DEP_1)
	v_cmp_ne_u32_e32 vcc_lo, 0x7f800000, v37
	v_mov_b32_e32 v37, 0x80
	s_and_saveexec_b32 s23, vcc_lo
	s_cbranch_execz .LBB6_5075
; %bb.5068:                             ;   in Loop: Header=BB6_4995 Depth=2
	v_mov_b32_e32 v37, 0
	s_mov_b32 s24, exec_lo
	v_cmpx_ne_u32_e32 0, v47
	s_cbranch_execz .LBB6_5074
; %bb.5069:                             ;   in Loop: Header=BB6_4995 Depth=2
	v_bfe_u32 v37, v47, 23, 8
	s_delay_alu instid0(VALU_DEP_1) | instskip(SKIP_1) | instid1(VALU_DEP_2)
	v_sub_nc_u32_e32 v57, 0x70, v37
	v_cmp_gt_u32_e32 vcc_lo, 0x71, v37
	v_dual_cndmask_b32 v57, 0, v57 :: v_dual_and_b32 v56, 0x7fffff, v47
	s_delay_alu instid0(VALU_DEP_1) | instskip(SKIP_2) | instid1(VALU_DEP_4)
	v_or_b32_e32 v58, 0x800000, v56
	v_cmp_eq_u32_e32 vcc_lo, 0, v37
	v_add_nc_u32_e32 v37, 0xffffff91, v37
	v_cndmask_b32_e64 v57, v57, 0x6f, vcc_lo
	s_delay_alu instid0(VALU_DEP_4) | instskip(NEXT) | instid1(VALU_DEP_3)
	v_cndmask_b32_e32 v56, v58, v56, vcc_lo
	v_cndmask_b32_e64 v37, v37, 0xffffff92, vcc_lo
	s_delay_alu instid0(VALU_DEP_3) | instskip(NEXT) | instid1(VALU_DEP_3)
	v_lshl_add_u32 v58, 0x200000, v57, -1
	v_lshrrev_b32_e32 v59, v57, v56
	v_lshlrev_b32_e64 v61, v57, 0x100000
	s_delay_alu instid0(VALU_DEP_4) | instskip(NEXT) | instid1(VALU_DEP_4)
	v_add_nc_u32_e32 v57, v57, v37
	v_and_b32_e32 v56, v58, v56
	s_delay_alu instid0(VALU_DEP_4) | instskip(NEXT) | instid1(VALU_DEP_2)
	v_bfe_u32 v60, v59, 21, 1
	v_cmp_eq_u32_e64 s7, v56, v61
	s_delay_alu instid0(VALU_DEP_2) | instskip(NEXT) | instid1(VALU_DEP_1)
	v_add_nc_u32_e32 v58, -1, v60
	v_cndmask_b32_e64 v56, 0, v58, s7
	v_lshrrev_b32_e32 v58, 23, v59
	s_mov_b32 s7, exec_lo
	s_delay_alu instid0(VALU_DEP_2) | instskip(NEXT) | instid1(VALU_DEP_2)
	v_add_nc_u32_e32 v56, v56, v59
	v_xor_b32_e32 v58, 1, v58
	s_delay_alu instid0(VALU_DEP_2) | instskip(NEXT) | instid1(VALU_DEP_1)
	v_and_b32_e32 v37, 0x1fffff, v56
	v_add_nc_u32_e32 v56, v37, v59
                                        ; implicit-def: $vgpr37
	s_delay_alu instid0(VALU_DEP_3)
	v_cmpx_ne_u32_e64 v57, v58
	s_xor_b32 s7, exec_lo, s7
; %bb.5070:                             ;   in Loop: Header=BB6_4995 Depth=2
	s_delay_alu instid0(VALU_DEP_2) | instskip(SKIP_2) | instid1(VALU_DEP_2)
	v_cmp_lt_u32_e32 vcc_lo, 0xffffff, v56
	v_sub_nc_u32_e32 v37, v57, v58
	v_cndmask_b32_e64 v57, 0, 1, vcc_lo
	v_add_co_ci_u32_e32 v37, vcc_lo, 0, v37, vcc_lo
	s_delay_alu instid0(VALU_DEP_2)
	v_lshrrev_b32_e32 v56, v57, v56
; %bb.5071:                             ;   in Loop: Header=BB6_4995 Depth=2
	s_and_not1_saveexec_b32 s7, s7
; %bb.5072:                             ;   in Loop: Header=BB6_4995 Depth=2
	s_delay_alu instid0(VALU_DEP_1)
	v_bfe_u32 v37, v56, 23, 1
; %bb.5073:                             ;   in Loop: Header=BB6_4995 Depth=2
	s_or_b32 exec_lo, exec_lo, s7
	v_lshrrev_b32_e32 v56, 21, v56
	s_delay_alu instid0(VALU_DEP_2) | instskip(SKIP_2) | instid1(VALU_DEP_2)
	v_cmp_gt_i32_e32 vcc_lo, 32, v37
	v_lshrrev_b32_e32 v47, 24, v47
	v_min_i32_e32 v57, 31, v37
	v_dual_cndmask_b32 v56, 3, v56 :: v_dual_and_b32 v47, 0x80, v47
	s_delay_alu instid0(VALU_DEP_2) | instskip(NEXT) | instid1(VALU_DEP_2)
	v_lshlrev_b32_e32 v57, 2, v57
	v_or_b32_e32 v37, v37, v56
	s_delay_alu instid0(VALU_DEP_1) | instskip(SKIP_1) | instid1(VALU_DEP_1)
	v_cmp_ne_u32_e32 vcc_lo, 0, v37
	v_and_b32_e32 v58, 3, v56
	v_or3_b32 v47, v57, v47, v58
	s_delay_alu instid0(VALU_DEP_1)
	v_cndmask_b32_e32 v37, 0, v47, vcc_lo
.LBB6_5074:                             ;   in Loop: Header=BB6_4995 Depth=2
	s_or_b32 exec_lo, exec_lo, s24
.LBB6_5075:                             ;   in Loop: Header=BB6_4995 Depth=2
	s_delay_alu instid0(SALU_CYCLE_1) | instskip(SKIP_3) | instid1(VALU_DEP_1)
	s_or_b32 exec_lo, exec_lo, s23
	v_and_b32_e32 v56, 0xff, v46
	s_mov_b32 s7, 0
	s_mov_b32 s24, exec_lo
                                        ; implicit-def: $sgpr23
	v_cmpx_lt_i16_e32 0x7f, v56
	s_xor_b32 s24, exec_lo, s24
	s_cbranch_execnz .LBB6_5545
; %bb.5076:                             ;   in Loop: Header=BB6_4995 Depth=2
	s_or_saveexec_b32 s24, s24
	v_mov_b32_e32 v47, s23
	s_xor_b32 exec_lo, exec_lo, s24
	s_cbranch_execnz .LBB6_5548
.LBB6_5077:                             ;   in Loop: Header=BB6_4995 Depth=2
	s_or_b32 exec_lo, exec_lo, s24
	s_and_saveexec_b32 s23, s7
	s_cbranch_execz .LBB6_5079
.LBB6_5078:                             ;   in Loop: Header=BB6_4995 Depth=2
	v_lshrrev_b16 v58, 2, v46
	s_delay_alu instid0(VALU_DEP_1) | instskip(NEXT) | instid1(VALU_DEP_1)
	v_and_b32_e32 v58, 31, v58
	v_cmp_eq_u32_e32 vcc_lo, 0, v58
	v_and_b32_e32 v47, 3, v46
	s_delay_alu instid0(VALU_DEP_1) | instskip(NEXT) | instid1(VALU_DEP_1)
	v_clz_i32_u32_e32 v56, v47
	v_min_u32_e32 v56, 32, v56
	s_delay_alu instid0(VALU_DEP_1) | instskip(SKIP_1) | instid1(VALU_DEP_1)
	v_subrev_nc_u32_e32 v57, 29, v56
	v_sub_nc_u32_e32 v56, 30, v56
	v_dual_cndmask_b32 v56, v58, v56 :: v_dual_lshlrev_b32 v57, v57, v46
	v_lshlrev_b32_e32 v46, 24, v46
	s_delay_alu instid0(VALU_DEP_2) | instskip(NEXT) | instid1(VALU_DEP_3)
	v_and_b32_e32 v57, 3, v57
	v_lshl_add_u32 v56, v56, 23, 0x37800000
	s_delay_alu instid0(VALU_DEP_2) | instskip(NEXT) | instid1(VALU_DEP_1)
	v_dual_cndmask_b32 v47, v47, v57 :: v_dual_and_b32 v46, 0x80000000, v46
	v_lshlrev_b32_e32 v47, 21, v47
	s_delay_alu instid0(VALU_DEP_1)
	v_or3_b32 v47, v46, v56, v47
.LBB6_5079:                             ;   in Loop: Header=BB6_4995 Depth=2
	s_or_b32 exec_lo, exec_lo, s23
	s_waitcnt vmcnt(26) lgkmcnt(26)
	v_and_b32_e32 v56, 0xff, v48
	s_mov_b32 s7, 0
	s_mov_b32 s24, exec_lo
                                        ; implicit-def: $sgpr23
	s_delay_alu instid0(VALU_DEP_1)
	v_cmpx_lt_i16_e32 0x7f, v56
	s_xor_b32 s24, exec_lo, s24
	s_cbranch_execnz .LBB6_5549
; %bb.5080:                             ;   in Loop: Header=BB6_4995 Depth=2
	s_or_saveexec_b32 s24, s24
	v_mov_b32_e32 v46, s23
	s_xor_b32 exec_lo, exec_lo, s24
	s_cbranch_execnz .LBB6_5552
.LBB6_5081:                             ;   in Loop: Header=BB6_4995 Depth=2
	s_or_b32 exec_lo, exec_lo, s24
	s_and_saveexec_b32 s23, s7
	s_cbranch_execz .LBB6_5083
.LBB6_5082:                             ;   in Loop: Header=BB6_4995 Depth=2
	v_and_b32_e32 v46, 3, v48
	v_lshrrev_b16 v58, 2, v48
	s_delay_alu instid0(VALU_DEP_2) | instskip(NEXT) | instid1(VALU_DEP_2)
	v_clz_i32_u32_e32 v56, v46
	v_and_b32_e32 v58, 31, v58
	s_delay_alu instid0(VALU_DEP_2) | instskip(NEXT) | instid1(VALU_DEP_2)
	v_min_u32_e32 v56, 32, v56
	v_cmp_eq_u32_e32 vcc_lo, 0, v58
	s_delay_alu instid0(VALU_DEP_2) | instskip(SKIP_1) | instid1(VALU_DEP_2)
	v_subrev_nc_u32_e32 v57, 29, v56
	v_sub_nc_u32_e32 v56, 30, v56
	v_lshlrev_b32_e32 v57, v57, v48
	v_lshlrev_b32_e32 v48, 24, v48
	s_delay_alu instid0(VALU_DEP_2) | instskip(NEXT) | instid1(VALU_DEP_2)
	v_dual_cndmask_b32 v56, v58, v56 :: v_dual_and_b32 v57, 3, v57
	v_and_b32_e32 v48, 0x80000000, v48
	s_delay_alu instid0(VALU_DEP_2) | instskip(NEXT) | instid1(VALU_DEP_3)
	v_lshl_add_u32 v56, v56, 23, 0x37800000
	v_cndmask_b32_e32 v46, v46, v57, vcc_lo
	s_delay_alu instid0(VALU_DEP_1) | instskip(NEXT) | instid1(VALU_DEP_1)
	v_lshlrev_b32_e32 v46, 21, v46
	v_or3_b32 v46, v48, v56, v46
.LBB6_5083:                             ;   in Loop: Header=BB6_4995 Depth=2
	s_or_b32 exec_lo, exec_lo, s23
	s_delay_alu instid0(VALU_DEP_1) | instskip(NEXT) | instid1(VALU_DEP_1)
	v_mul_f32_e32 v46, v47, v46
	v_and_b32_e32 v48, 0x7f800000, v46
	s_delay_alu instid0(VALU_DEP_1)
	v_cmp_ne_u32_e32 vcc_lo, 0x7f800000, v48
	v_mov_b32_e32 v48, 0x80
	s_and_saveexec_b32 s23, vcc_lo
	s_cbranch_execz .LBB6_5091
; %bb.5084:                             ;   in Loop: Header=BB6_4995 Depth=2
	v_mov_b32_e32 v48, 0
	s_mov_b32 s24, exec_lo
	v_cmpx_ne_u32_e32 0, v46
	s_cbranch_execz .LBB6_5090
; %bb.5085:                             ;   in Loop: Header=BB6_4995 Depth=2
	v_bfe_u32 v48, v46, 23, 8
	s_delay_alu instid0(VALU_DEP_1) | instskip(SKIP_1) | instid1(VALU_DEP_2)
	v_sub_nc_u32_e32 v56, 0x70, v48
	v_cmp_gt_u32_e32 vcc_lo, 0x71, v48
	v_dual_cndmask_b32 v56, 0, v56 :: v_dual_and_b32 v47, 0x7fffff, v46
	s_delay_alu instid0(VALU_DEP_1) | instskip(SKIP_2) | instid1(VALU_DEP_4)
	v_or_b32_e32 v57, 0x800000, v47
	v_cmp_eq_u32_e32 vcc_lo, 0, v48
	v_add_nc_u32_e32 v48, 0xffffff91, v48
	v_cndmask_b32_e64 v56, v56, 0x6f, vcc_lo
	s_delay_alu instid0(VALU_DEP_4) | instskip(NEXT) | instid1(VALU_DEP_3)
	v_cndmask_b32_e32 v47, v57, v47, vcc_lo
	v_cndmask_b32_e64 v48, v48, 0xffffff92, vcc_lo
	s_delay_alu instid0(VALU_DEP_3) | instskip(NEXT) | instid1(VALU_DEP_3)
	v_lshl_add_u32 v57, 0x200000, v56, -1
	v_lshrrev_b32_e32 v58, v56, v47
	v_lshlrev_b32_e64 v60, v56, 0x100000
	s_delay_alu instid0(VALU_DEP_4) | instskip(NEXT) | instid1(VALU_DEP_4)
	v_add_nc_u32_e32 v56, v56, v48
	v_and_b32_e32 v47, v57, v47
	s_delay_alu instid0(VALU_DEP_4) | instskip(NEXT) | instid1(VALU_DEP_2)
	v_bfe_u32 v59, v58, 21, 1
	v_cmp_eq_u32_e64 s7, v47, v60
	s_delay_alu instid0(VALU_DEP_2) | instskip(NEXT) | instid1(VALU_DEP_1)
	v_add_nc_u32_e32 v57, -1, v59
	v_cndmask_b32_e64 v47, 0, v57, s7
	v_lshrrev_b32_e32 v57, 23, v58
	s_mov_b32 s7, exec_lo
	s_delay_alu instid0(VALU_DEP_2) | instskip(NEXT) | instid1(VALU_DEP_2)
	v_add_nc_u32_e32 v47, v47, v58
	v_xor_b32_e32 v57, 1, v57
	s_delay_alu instid0(VALU_DEP_2) | instskip(NEXT) | instid1(VALU_DEP_1)
	v_and_b32_e32 v48, 0x1fffff, v47
	v_add_nc_u32_e32 v47, v48, v58
                                        ; implicit-def: $vgpr48
	s_delay_alu instid0(VALU_DEP_3)
	v_cmpx_ne_u32_e64 v56, v57
	s_xor_b32 s7, exec_lo, s7
; %bb.5086:                             ;   in Loop: Header=BB6_4995 Depth=2
	s_delay_alu instid0(VALU_DEP_2) | instskip(SKIP_2) | instid1(VALU_DEP_2)
	v_cmp_lt_u32_e32 vcc_lo, 0xffffff, v47
	v_sub_nc_u32_e32 v48, v56, v57
	v_cndmask_b32_e64 v56, 0, 1, vcc_lo
	v_add_co_ci_u32_e32 v48, vcc_lo, 0, v48, vcc_lo
	s_delay_alu instid0(VALU_DEP_2)
	v_lshrrev_b32_e32 v47, v56, v47
; %bb.5087:                             ;   in Loop: Header=BB6_4995 Depth=2
	s_and_not1_saveexec_b32 s7, s7
; %bb.5088:                             ;   in Loop: Header=BB6_4995 Depth=2
	s_delay_alu instid0(VALU_DEP_1)
	v_bfe_u32 v48, v47, 23, 1
; %bb.5089:                             ;   in Loop: Header=BB6_4995 Depth=2
	s_or_b32 exec_lo, exec_lo, s7
	v_lshrrev_b32_e32 v47, 21, v47
	s_delay_alu instid0(VALU_DEP_2) | instskip(SKIP_2) | instid1(VALU_DEP_2)
	v_cmp_gt_i32_e32 vcc_lo, 32, v48
	v_lshrrev_b32_e32 v46, 24, v46
	v_min_i32_e32 v56, 31, v48
	v_dual_cndmask_b32 v47, 3, v47 :: v_dual_and_b32 v46, 0x80, v46
	s_delay_alu instid0(VALU_DEP_2) | instskip(NEXT) | instid1(VALU_DEP_2)
	v_lshlrev_b32_e32 v56, 2, v56
	v_or_b32_e32 v48, v48, v47
	s_delay_alu instid0(VALU_DEP_1) | instskip(SKIP_1) | instid1(VALU_DEP_1)
	v_cmp_ne_u32_e32 vcc_lo, 0, v48
	v_and_b32_e32 v57, 3, v47
	v_or3_b32 v46, v56, v46, v57
	s_delay_alu instid0(VALU_DEP_1)
	v_cndmask_b32_e32 v48, 0, v46, vcc_lo
.LBB6_5090:                             ;   in Loop: Header=BB6_4995 Depth=2
	s_or_b32 exec_lo, exec_lo, s24
.LBB6_5091:                             ;   in Loop: Header=BB6_4995 Depth=2
	s_delay_alu instid0(SALU_CYCLE_1) | instskip(SKIP_3) | instid1(VALU_DEP_1)
	s_or_b32 exec_lo, exec_lo, s23
	v_and_b32_e32 v47, 0xff, v45
	s_mov_b32 s7, 0
	s_mov_b32 s24, exec_lo
                                        ; implicit-def: $sgpr23
	v_cmpx_lt_i16_e32 0x7f, v47
	s_xor_b32 s24, exec_lo, s24
	s_cbranch_execnz .LBB6_5553
; %bb.5092:                             ;   in Loop: Header=BB6_4995 Depth=2
	s_or_saveexec_b32 s24, s24
	v_mov_b32_e32 v46, s23
	s_xor_b32 exec_lo, exec_lo, s24
	s_cbranch_execnz .LBB6_5556
.LBB6_5093:                             ;   in Loop: Header=BB6_4995 Depth=2
	s_or_b32 exec_lo, exec_lo, s24
	s_and_saveexec_b32 s23, s7
	s_cbranch_execz .LBB6_5095
.LBB6_5094:                             ;   in Loop: Header=BB6_4995 Depth=2
	v_lshrrev_b16 v57, 2, v45
	s_delay_alu instid0(VALU_DEP_1) | instskip(NEXT) | instid1(VALU_DEP_1)
	v_and_b32_e32 v57, 31, v57
	v_cmp_eq_u32_e32 vcc_lo, 0, v57
	v_and_b32_e32 v46, 3, v45
	s_delay_alu instid0(VALU_DEP_1) | instskip(NEXT) | instid1(VALU_DEP_1)
	v_clz_i32_u32_e32 v47, v46
	v_min_u32_e32 v47, 32, v47
	s_delay_alu instid0(VALU_DEP_1) | instskip(SKIP_1) | instid1(VALU_DEP_1)
	v_subrev_nc_u32_e32 v56, 29, v47
	v_sub_nc_u32_e32 v47, 30, v47
	v_dual_cndmask_b32 v47, v57, v47 :: v_dual_lshlrev_b32 v56, v56, v45
	v_lshlrev_b32_e32 v45, 24, v45
	s_delay_alu instid0(VALU_DEP_2) | instskip(NEXT) | instid1(VALU_DEP_3)
	v_and_b32_e32 v56, 3, v56
	v_lshl_add_u32 v47, v47, 23, 0x37800000
	s_delay_alu instid0(VALU_DEP_2) | instskip(NEXT) | instid1(VALU_DEP_1)
	v_dual_cndmask_b32 v46, v46, v56 :: v_dual_and_b32 v45, 0x80000000, v45
	v_lshlrev_b32_e32 v46, 21, v46
	s_delay_alu instid0(VALU_DEP_1)
	v_or3_b32 v46, v45, v47, v46
.LBB6_5095:                             ;   in Loop: Header=BB6_4995 Depth=2
	s_or_b32 exec_lo, exec_lo, s23
	s_waitcnt vmcnt(25) lgkmcnt(25)
	v_and_b32_e32 v47, 0xff, v51
	s_mov_b32 s7, 0
	s_mov_b32 s24, exec_lo
                                        ; implicit-def: $sgpr23
	s_delay_alu instid0(VALU_DEP_1)
	v_cmpx_lt_i16_e32 0x7f, v47
	s_xor_b32 s24, exec_lo, s24
	s_cbranch_execnz .LBB6_5557
; %bb.5096:                             ;   in Loop: Header=BB6_4995 Depth=2
	s_or_saveexec_b32 s24, s24
	v_mov_b32_e32 v45, s23
	s_xor_b32 exec_lo, exec_lo, s24
	s_cbranch_execnz .LBB6_5560
.LBB6_5097:                             ;   in Loop: Header=BB6_4995 Depth=2
	s_or_b32 exec_lo, exec_lo, s24
	s_and_saveexec_b32 s23, s7
	s_cbranch_execz .LBB6_5099
.LBB6_5098:                             ;   in Loop: Header=BB6_4995 Depth=2
	v_and_b32_e32 v45, 3, v51
	v_lshrrev_b16 v57, 2, v51
	s_delay_alu instid0(VALU_DEP_2) | instskip(NEXT) | instid1(VALU_DEP_2)
	v_clz_i32_u32_e32 v47, v45
	v_and_b32_e32 v57, 31, v57
	s_delay_alu instid0(VALU_DEP_2) | instskip(NEXT) | instid1(VALU_DEP_2)
	v_min_u32_e32 v47, 32, v47
	v_cmp_eq_u32_e32 vcc_lo, 0, v57
	s_delay_alu instid0(VALU_DEP_2) | instskip(SKIP_1) | instid1(VALU_DEP_2)
	v_subrev_nc_u32_e32 v56, 29, v47
	v_sub_nc_u32_e32 v47, 30, v47
	v_lshlrev_b32_e32 v56, v56, v51
	v_lshlrev_b32_e32 v51, 24, v51
	s_delay_alu instid0(VALU_DEP_2) | instskip(NEXT) | instid1(VALU_DEP_2)
	v_dual_cndmask_b32 v47, v57, v47 :: v_dual_and_b32 v56, 3, v56
	v_and_b32_e32 v51, 0x80000000, v51
	s_delay_alu instid0(VALU_DEP_2) | instskip(NEXT) | instid1(VALU_DEP_3)
	v_lshl_add_u32 v47, v47, 23, 0x37800000
	v_cndmask_b32_e32 v45, v45, v56, vcc_lo
	s_delay_alu instid0(VALU_DEP_1) | instskip(NEXT) | instid1(VALU_DEP_1)
	v_lshlrev_b32_e32 v45, 21, v45
	v_or3_b32 v45, v51, v47, v45
.LBB6_5099:                             ;   in Loop: Header=BB6_4995 Depth=2
	s_or_b32 exec_lo, exec_lo, s23
	s_delay_alu instid0(VALU_DEP_1) | instskip(NEXT) | instid1(VALU_DEP_1)
	v_mul_f32_e32 v45, v46, v45
	v_and_b32_e32 v51, 0x7f800000, v45
	s_delay_alu instid0(VALU_DEP_1)
	v_cmp_ne_u32_e32 vcc_lo, 0x7f800000, v51
	v_mov_b32_e32 v51, 0x80
	s_and_saveexec_b32 s23, vcc_lo
	s_cbranch_execz .LBB6_5107
; %bb.5100:                             ;   in Loop: Header=BB6_4995 Depth=2
	v_mov_b32_e32 v51, 0
	s_mov_b32 s24, exec_lo
	v_cmpx_ne_u32_e32 0, v45
	s_cbranch_execz .LBB6_5106
; %bb.5101:                             ;   in Loop: Header=BB6_4995 Depth=2
	v_bfe_u32 v51, v45, 23, 8
	s_delay_alu instid0(VALU_DEP_1) | instskip(SKIP_1) | instid1(VALU_DEP_2)
	v_sub_nc_u32_e32 v47, 0x70, v51
	v_cmp_gt_u32_e32 vcc_lo, 0x71, v51
	v_dual_cndmask_b32 v47, 0, v47 :: v_dual_and_b32 v46, 0x7fffff, v45
	s_delay_alu instid0(VALU_DEP_1) | instskip(SKIP_2) | instid1(VALU_DEP_4)
	v_or_b32_e32 v56, 0x800000, v46
	v_cmp_eq_u32_e32 vcc_lo, 0, v51
	v_add_nc_u32_e32 v51, 0xffffff91, v51
	v_cndmask_b32_e64 v47, v47, 0x6f, vcc_lo
	s_delay_alu instid0(VALU_DEP_4) | instskip(NEXT) | instid1(VALU_DEP_3)
	v_cndmask_b32_e32 v46, v56, v46, vcc_lo
	v_cndmask_b32_e64 v51, v51, 0xffffff92, vcc_lo
	s_delay_alu instid0(VALU_DEP_3) | instskip(NEXT) | instid1(VALU_DEP_3)
	v_lshl_add_u32 v56, 0x200000, v47, -1
	v_lshrrev_b32_e32 v57, v47, v46
	v_lshlrev_b32_e64 v59, v47, 0x100000
	s_delay_alu instid0(VALU_DEP_4) | instskip(NEXT) | instid1(VALU_DEP_4)
	v_add_nc_u32_e32 v47, v47, v51
	v_and_b32_e32 v46, v56, v46
	s_delay_alu instid0(VALU_DEP_4) | instskip(NEXT) | instid1(VALU_DEP_2)
	v_bfe_u32 v58, v57, 21, 1
	v_cmp_eq_u32_e64 s7, v46, v59
	s_delay_alu instid0(VALU_DEP_2) | instskip(NEXT) | instid1(VALU_DEP_1)
	v_add_nc_u32_e32 v56, -1, v58
	v_cndmask_b32_e64 v46, 0, v56, s7
	v_lshrrev_b32_e32 v56, 23, v57
	s_mov_b32 s7, exec_lo
	s_delay_alu instid0(VALU_DEP_2) | instskip(NEXT) | instid1(VALU_DEP_2)
	v_add_nc_u32_e32 v46, v46, v57
	v_xor_b32_e32 v56, 1, v56
	s_delay_alu instid0(VALU_DEP_2) | instskip(NEXT) | instid1(VALU_DEP_1)
	v_and_b32_e32 v51, 0x1fffff, v46
	v_add_nc_u32_e32 v46, v51, v57
                                        ; implicit-def: $vgpr51
	s_delay_alu instid0(VALU_DEP_3)
	v_cmpx_ne_u32_e64 v47, v56
	s_xor_b32 s7, exec_lo, s7
; %bb.5102:                             ;   in Loop: Header=BB6_4995 Depth=2
	s_delay_alu instid0(VALU_DEP_2) | instskip(SKIP_2) | instid1(VALU_DEP_2)
	v_cmp_lt_u32_e32 vcc_lo, 0xffffff, v46
	v_sub_nc_u32_e32 v51, v47, v56
	v_cndmask_b32_e64 v47, 0, 1, vcc_lo
	v_add_co_ci_u32_e32 v51, vcc_lo, 0, v51, vcc_lo
	s_delay_alu instid0(VALU_DEP_2)
	v_lshrrev_b32_e32 v46, v47, v46
; %bb.5103:                             ;   in Loop: Header=BB6_4995 Depth=2
	s_and_not1_saveexec_b32 s7, s7
; %bb.5104:                             ;   in Loop: Header=BB6_4995 Depth=2
	s_delay_alu instid0(VALU_DEP_1)
	v_bfe_u32 v51, v46, 23, 1
; %bb.5105:                             ;   in Loop: Header=BB6_4995 Depth=2
	s_or_b32 exec_lo, exec_lo, s7
	v_lshrrev_b32_e32 v46, 21, v46
	s_delay_alu instid0(VALU_DEP_2) | instskip(SKIP_2) | instid1(VALU_DEP_2)
	v_cmp_gt_i32_e32 vcc_lo, 32, v51
	v_lshrrev_b32_e32 v45, 24, v45
	v_min_i32_e32 v47, 31, v51
	v_dual_cndmask_b32 v46, 3, v46 :: v_dual_and_b32 v45, 0x80, v45
	s_delay_alu instid0(VALU_DEP_2) | instskip(NEXT) | instid1(VALU_DEP_2)
	v_lshlrev_b32_e32 v47, 2, v47
	v_or_b32_e32 v51, v51, v46
	s_delay_alu instid0(VALU_DEP_1) | instskip(SKIP_1) | instid1(VALU_DEP_1)
	v_cmp_ne_u32_e32 vcc_lo, 0, v51
	v_and_b32_e32 v56, 3, v46
	v_or3_b32 v45, v47, v45, v56
	s_delay_alu instid0(VALU_DEP_1)
	v_cndmask_b32_e32 v51, 0, v45, vcc_lo
.LBB6_5106:                             ;   in Loop: Header=BB6_4995 Depth=2
	s_or_b32 exec_lo, exec_lo, s24
.LBB6_5107:                             ;   in Loop: Header=BB6_4995 Depth=2
	s_delay_alu instid0(SALU_CYCLE_1) | instskip(SKIP_3) | instid1(VALU_DEP_1)
	s_or_b32 exec_lo, exec_lo, s23
	v_and_b32_e32 v46, 0xff, v44
	s_mov_b32 s7, 0
	s_mov_b32 s24, exec_lo
                                        ; implicit-def: $sgpr23
	v_cmpx_lt_i16_e32 0x7f, v46
	s_xor_b32 s24, exec_lo, s24
	s_cbranch_execnz .LBB6_5561
; %bb.5108:                             ;   in Loop: Header=BB6_4995 Depth=2
	s_or_saveexec_b32 s24, s24
	v_mov_b32_e32 v45, s23
	s_xor_b32 exec_lo, exec_lo, s24
	s_cbranch_execnz .LBB6_5564
.LBB6_5109:                             ;   in Loop: Header=BB6_4995 Depth=2
	s_or_b32 exec_lo, exec_lo, s24
	s_and_saveexec_b32 s23, s7
	s_cbranch_execz .LBB6_5111
.LBB6_5110:                             ;   in Loop: Header=BB6_4995 Depth=2
	v_lshrrev_b16 v56, 2, v44
	s_delay_alu instid0(VALU_DEP_1) | instskip(NEXT) | instid1(VALU_DEP_1)
	v_and_b32_e32 v56, 31, v56
	v_cmp_eq_u32_e32 vcc_lo, 0, v56
	v_and_b32_e32 v45, 3, v44
	s_delay_alu instid0(VALU_DEP_1) | instskip(NEXT) | instid1(VALU_DEP_1)
	v_clz_i32_u32_e32 v46, v45
	v_min_u32_e32 v46, 32, v46
	s_delay_alu instid0(VALU_DEP_1) | instskip(SKIP_1) | instid1(VALU_DEP_1)
	v_subrev_nc_u32_e32 v47, 29, v46
	v_sub_nc_u32_e32 v46, 30, v46
	v_dual_cndmask_b32 v46, v56, v46 :: v_dual_lshlrev_b32 v47, v47, v44
	v_lshlrev_b32_e32 v44, 24, v44
	s_delay_alu instid0(VALU_DEP_2) | instskip(NEXT) | instid1(VALU_DEP_3)
	v_and_b32_e32 v47, 3, v47
	v_lshl_add_u32 v46, v46, 23, 0x37800000
	s_delay_alu instid0(VALU_DEP_2) | instskip(NEXT) | instid1(VALU_DEP_1)
	v_dual_cndmask_b32 v45, v45, v47 :: v_dual_and_b32 v44, 0x80000000, v44
	v_lshlrev_b32_e32 v45, 21, v45
	s_delay_alu instid0(VALU_DEP_1)
	v_or3_b32 v45, v44, v46, v45
.LBB6_5111:                             ;   in Loop: Header=BB6_4995 Depth=2
	s_or_b32 exec_lo, exec_lo, s23
	s_waitcnt vmcnt(24) lgkmcnt(24)
	v_and_b32_e32 v46, 0xff, v96
	s_mov_b32 s7, 0
	s_mov_b32 s24, exec_lo
                                        ; implicit-def: $sgpr23
	s_delay_alu instid0(VALU_DEP_1)
	v_cmpx_lt_i16_e32 0x7f, v46
	s_xor_b32 s24, exec_lo, s24
	s_cbranch_execnz .LBB6_5565
; %bb.5112:                             ;   in Loop: Header=BB6_4995 Depth=2
	s_or_saveexec_b32 s24, s24
	v_mov_b32_e32 v44, s23
	s_xor_b32 exec_lo, exec_lo, s24
	s_cbranch_execnz .LBB6_5568
.LBB6_5113:                             ;   in Loop: Header=BB6_4995 Depth=2
	s_or_b32 exec_lo, exec_lo, s24
	s_and_saveexec_b32 s23, s7
	s_cbranch_execz .LBB6_5115
.LBB6_5114:                             ;   in Loop: Header=BB6_4995 Depth=2
	v_and_b32_e32 v44, 3, v96
	v_lshrrev_b16 v56, 2, v96
	s_delay_alu instid0(VALU_DEP_2) | instskip(NEXT) | instid1(VALU_DEP_2)
	v_clz_i32_u32_e32 v46, v44
	v_and_b32_e32 v56, 31, v56
	s_delay_alu instid0(VALU_DEP_2) | instskip(NEXT) | instid1(VALU_DEP_2)
	v_min_u32_e32 v46, 32, v46
	v_cmp_eq_u32_e32 vcc_lo, 0, v56
	s_delay_alu instid0(VALU_DEP_2) | instskip(SKIP_1) | instid1(VALU_DEP_1)
	v_subrev_nc_u32_e32 v47, 29, v46
	v_sub_nc_u32_e32 v46, 30, v46
	v_dual_cndmask_b32 v46, v56, v46 :: v_dual_lshlrev_b32 v47, v47, v96
	v_lshlrev_b32_e32 v96, 24, v96
	s_delay_alu instid0(VALU_DEP_2) | instskip(NEXT) | instid1(VALU_DEP_3)
	v_and_b32_e32 v47, 3, v47
	v_lshl_add_u32 v46, v46, 23, 0x37800000
	s_delay_alu instid0(VALU_DEP_3) | instskip(NEXT) | instid1(VALU_DEP_3)
	v_and_b32_e32 v96, 0x80000000, v96
	v_cndmask_b32_e32 v44, v44, v47, vcc_lo
	s_delay_alu instid0(VALU_DEP_1) | instskip(NEXT) | instid1(VALU_DEP_1)
	v_lshlrev_b32_e32 v44, 21, v44
	v_or3_b32 v44, v96, v46, v44
.LBB6_5115:                             ;   in Loop: Header=BB6_4995 Depth=2
	s_or_b32 exec_lo, exec_lo, s23
	s_delay_alu instid0(VALU_DEP_1) | instskip(NEXT) | instid1(VALU_DEP_1)
	v_mul_f32_e32 v44, v45, v44
	v_and_b32_e32 v96, 0x7f800000, v44
	s_delay_alu instid0(VALU_DEP_1)
	v_cmp_ne_u32_e32 vcc_lo, 0x7f800000, v96
	v_mov_b32_e32 v96, 0x80
	s_and_saveexec_b32 s23, vcc_lo
	s_cbranch_execz .LBB6_5123
; %bb.5116:                             ;   in Loop: Header=BB6_4995 Depth=2
	v_mov_b32_e32 v96, 0
	s_mov_b32 s24, exec_lo
	v_cmpx_ne_u32_e32 0, v44
	s_cbranch_execz .LBB6_5122
; %bb.5117:                             ;   in Loop: Header=BB6_4995 Depth=2
	v_bfe_u32 v96, v44, 23, 8
	s_delay_alu instid0(VALU_DEP_1) | instskip(SKIP_1) | instid1(VALU_DEP_2)
	v_sub_nc_u32_e32 v46, 0x70, v96
	v_cmp_gt_u32_e32 vcc_lo, 0x71, v96
	v_dual_cndmask_b32 v46, 0, v46 :: v_dual_and_b32 v45, 0x7fffff, v44
	s_delay_alu instid0(VALU_DEP_1) | instskip(SKIP_2) | instid1(VALU_DEP_4)
	v_or_b32_e32 v47, 0x800000, v45
	v_cmp_eq_u32_e32 vcc_lo, 0, v96
	v_add_nc_u32_e32 v96, 0xffffff91, v96
	v_cndmask_b32_e64 v46, v46, 0x6f, vcc_lo
	s_delay_alu instid0(VALU_DEP_4) | instskip(NEXT) | instid1(VALU_DEP_3)
	v_cndmask_b32_e32 v45, v47, v45, vcc_lo
	v_cndmask_b32_e64 v96, v96, 0xffffff92, vcc_lo
	s_delay_alu instid0(VALU_DEP_3) | instskip(NEXT) | instid1(VALU_DEP_3)
	v_lshl_add_u32 v47, 0x200000, v46, -1
	v_lshrrev_b32_e32 v56, v46, v45
	v_lshlrev_b32_e64 v58, v46, 0x100000
	s_delay_alu instid0(VALU_DEP_4) | instskip(NEXT) | instid1(VALU_DEP_4)
	v_add_nc_u32_e32 v46, v46, v96
	v_and_b32_e32 v45, v47, v45
	s_delay_alu instid0(VALU_DEP_4) | instskip(NEXT) | instid1(VALU_DEP_2)
	v_bfe_u32 v57, v56, 21, 1
	v_cmp_eq_u32_e64 s7, v45, v58
	s_delay_alu instid0(VALU_DEP_2) | instskip(NEXT) | instid1(VALU_DEP_1)
	v_add_nc_u32_e32 v47, -1, v57
	v_cndmask_b32_e64 v45, 0, v47, s7
	v_lshrrev_b32_e32 v47, 23, v56
	s_mov_b32 s7, exec_lo
	s_delay_alu instid0(VALU_DEP_2) | instskip(NEXT) | instid1(VALU_DEP_2)
	v_add_nc_u32_e32 v45, v45, v56
	v_xor_b32_e32 v47, 1, v47
	s_delay_alu instid0(VALU_DEP_2) | instskip(NEXT) | instid1(VALU_DEP_1)
	v_and_b32_e32 v96, 0x1fffff, v45
	v_add_nc_u32_e32 v45, v96, v56
                                        ; implicit-def: $vgpr96
	s_delay_alu instid0(VALU_DEP_3)
	v_cmpx_ne_u32_e64 v46, v47
	s_xor_b32 s7, exec_lo, s7
; %bb.5118:                             ;   in Loop: Header=BB6_4995 Depth=2
	s_delay_alu instid0(VALU_DEP_2) | instskip(SKIP_2) | instid1(VALU_DEP_2)
	v_cmp_lt_u32_e32 vcc_lo, 0xffffff, v45
	v_sub_nc_u32_e32 v96, v46, v47
	v_cndmask_b32_e64 v46, 0, 1, vcc_lo
	v_add_co_ci_u32_e32 v96, vcc_lo, 0, v96, vcc_lo
	s_delay_alu instid0(VALU_DEP_2)
	v_lshrrev_b32_e32 v45, v46, v45
; %bb.5119:                             ;   in Loop: Header=BB6_4995 Depth=2
	s_and_not1_saveexec_b32 s7, s7
; %bb.5120:                             ;   in Loop: Header=BB6_4995 Depth=2
	s_delay_alu instid0(VALU_DEP_1)
	v_bfe_u32 v96, v45, 23, 1
; %bb.5121:                             ;   in Loop: Header=BB6_4995 Depth=2
	s_or_b32 exec_lo, exec_lo, s7
	v_lshrrev_b32_e32 v45, 21, v45
	s_delay_alu instid0(VALU_DEP_2) | instskip(SKIP_2) | instid1(VALU_DEP_2)
	v_cmp_gt_i32_e32 vcc_lo, 32, v96
	v_lshrrev_b32_e32 v44, 24, v44
	v_min_i32_e32 v46, 31, v96
	v_dual_cndmask_b32 v45, 3, v45 :: v_dual_and_b32 v44, 0x80, v44
	s_delay_alu instid0(VALU_DEP_2) | instskip(NEXT) | instid1(VALU_DEP_2)
	v_lshlrev_b32_e32 v46, 2, v46
	v_or_b32_e32 v96, v96, v45
	s_delay_alu instid0(VALU_DEP_1) | instskip(SKIP_1) | instid1(VALU_DEP_1)
	v_cmp_ne_u32_e32 vcc_lo, 0, v96
	v_and_b32_e32 v47, 3, v45
	v_or3_b32 v44, v46, v44, v47
	s_delay_alu instid0(VALU_DEP_1)
	v_cndmask_b32_e32 v96, 0, v44, vcc_lo
.LBB6_5122:                             ;   in Loop: Header=BB6_4995 Depth=2
	s_or_b32 exec_lo, exec_lo, s24
.LBB6_5123:                             ;   in Loop: Header=BB6_4995 Depth=2
	s_delay_alu instid0(SALU_CYCLE_1) | instskip(SKIP_3) | instid1(VALU_DEP_1)
	s_or_b32 exec_lo, exec_lo, s23
	v_and_b32_e32 v45, 0xff, v43
	s_mov_b32 s7, 0
	s_mov_b32 s24, exec_lo
                                        ; implicit-def: $sgpr23
	v_cmpx_lt_i16_e32 0x7f, v45
	s_xor_b32 s24, exec_lo, s24
	s_cbranch_execnz .LBB6_5569
; %bb.5124:                             ;   in Loop: Header=BB6_4995 Depth=2
	s_or_saveexec_b32 s24, s24
	v_mov_b32_e32 v44, s23
	s_xor_b32 exec_lo, exec_lo, s24
	s_cbranch_execnz .LBB6_5572
.LBB6_5125:                             ;   in Loop: Header=BB6_4995 Depth=2
	s_or_b32 exec_lo, exec_lo, s24
	s_and_saveexec_b32 s23, s7
	s_cbranch_execz .LBB6_5127
.LBB6_5126:                             ;   in Loop: Header=BB6_4995 Depth=2
	v_lshrrev_b16 v47, 2, v43
	s_delay_alu instid0(VALU_DEP_1) | instskip(NEXT) | instid1(VALU_DEP_1)
	v_and_b32_e32 v47, 31, v47
	v_cmp_eq_u32_e32 vcc_lo, 0, v47
	v_and_b32_e32 v44, 3, v43
	s_delay_alu instid0(VALU_DEP_1) | instskip(NEXT) | instid1(VALU_DEP_1)
	v_clz_i32_u32_e32 v45, v44
	v_min_u32_e32 v45, 32, v45
	s_delay_alu instid0(VALU_DEP_1) | instskip(SKIP_1) | instid1(VALU_DEP_1)
	v_subrev_nc_u32_e32 v46, 29, v45
	v_sub_nc_u32_e32 v45, 30, v45
	v_dual_cndmask_b32 v45, v47, v45 :: v_dual_lshlrev_b32 v46, v46, v43
	v_lshlrev_b32_e32 v43, 24, v43
	s_delay_alu instid0(VALU_DEP_2) | instskip(NEXT) | instid1(VALU_DEP_3)
	v_and_b32_e32 v46, 3, v46
	v_lshl_add_u32 v45, v45, 23, 0x37800000
	s_delay_alu instid0(VALU_DEP_2) | instskip(NEXT) | instid1(VALU_DEP_1)
	v_dual_cndmask_b32 v44, v44, v46 :: v_dual_and_b32 v43, 0x80000000, v43
	v_lshlrev_b32_e32 v44, 21, v44
	s_delay_alu instid0(VALU_DEP_1)
	v_or3_b32 v44, v43, v45, v44
.LBB6_5127:                             ;   in Loop: Header=BB6_4995 Depth=2
	s_or_b32 exec_lo, exec_lo, s23
	s_waitcnt vmcnt(23) lgkmcnt(23)
	v_and_b32_e32 v45, 0xff, v99
	s_mov_b32 s7, 0
	s_mov_b32 s24, exec_lo
                                        ; implicit-def: $sgpr23
	s_delay_alu instid0(VALU_DEP_1)
	v_cmpx_lt_i16_e32 0x7f, v45
	s_xor_b32 s24, exec_lo, s24
	s_cbranch_execnz .LBB6_5573
; %bb.5128:                             ;   in Loop: Header=BB6_4995 Depth=2
	s_or_saveexec_b32 s24, s24
	v_mov_b32_e32 v43, s23
	s_xor_b32 exec_lo, exec_lo, s24
	s_cbranch_execnz .LBB6_5576
.LBB6_5129:                             ;   in Loop: Header=BB6_4995 Depth=2
	s_or_b32 exec_lo, exec_lo, s24
	s_and_saveexec_b32 s23, s7
	s_cbranch_execz .LBB6_5131
.LBB6_5130:                             ;   in Loop: Header=BB6_4995 Depth=2
	v_and_b32_e32 v43, 3, v99
	v_lshrrev_b16 v47, 2, v99
	s_delay_alu instid0(VALU_DEP_2) | instskip(NEXT) | instid1(VALU_DEP_2)
	v_clz_i32_u32_e32 v45, v43
	v_and_b32_e32 v47, 31, v47
	s_delay_alu instid0(VALU_DEP_2) | instskip(NEXT) | instid1(VALU_DEP_2)
	v_min_u32_e32 v45, 32, v45
	v_cmp_eq_u32_e32 vcc_lo, 0, v47
	s_delay_alu instid0(VALU_DEP_2) | instskip(SKIP_1) | instid1(VALU_DEP_1)
	v_subrev_nc_u32_e32 v46, 29, v45
	v_sub_nc_u32_e32 v45, 30, v45
	v_dual_cndmask_b32 v45, v47, v45 :: v_dual_lshlrev_b32 v46, v46, v99
	v_lshlrev_b32_e32 v99, 24, v99
	s_delay_alu instid0(VALU_DEP_2) | instskip(NEXT) | instid1(VALU_DEP_3)
	v_and_b32_e32 v46, 3, v46
	v_lshl_add_u32 v45, v45, 23, 0x37800000
	s_delay_alu instid0(VALU_DEP_3) | instskip(NEXT) | instid1(VALU_DEP_3)
	v_and_b32_e32 v99, 0x80000000, v99
	v_cndmask_b32_e32 v43, v43, v46, vcc_lo
	s_delay_alu instid0(VALU_DEP_1) | instskip(NEXT) | instid1(VALU_DEP_1)
	v_lshlrev_b32_e32 v43, 21, v43
	v_or3_b32 v43, v99, v45, v43
.LBB6_5131:                             ;   in Loop: Header=BB6_4995 Depth=2
	s_or_b32 exec_lo, exec_lo, s23
	s_delay_alu instid0(VALU_DEP_1) | instskip(NEXT) | instid1(VALU_DEP_1)
	v_mul_f32_e32 v43, v44, v43
	v_and_b32_e32 v99, 0x7f800000, v43
	s_delay_alu instid0(VALU_DEP_1)
	v_cmp_ne_u32_e32 vcc_lo, 0x7f800000, v99
	v_mov_b32_e32 v99, 0x80
	s_and_saveexec_b32 s23, vcc_lo
	s_cbranch_execz .LBB6_5139
; %bb.5132:                             ;   in Loop: Header=BB6_4995 Depth=2
	v_mov_b32_e32 v99, 0
	s_mov_b32 s24, exec_lo
	v_cmpx_ne_u32_e32 0, v43
	s_cbranch_execz .LBB6_5138
; %bb.5133:                             ;   in Loop: Header=BB6_4995 Depth=2
	v_bfe_u32 v99, v43, 23, 8
	s_delay_alu instid0(VALU_DEP_1) | instskip(SKIP_1) | instid1(VALU_DEP_2)
	v_sub_nc_u32_e32 v45, 0x70, v99
	v_cmp_gt_u32_e32 vcc_lo, 0x71, v99
	v_dual_cndmask_b32 v45, 0, v45 :: v_dual_and_b32 v44, 0x7fffff, v43
	s_delay_alu instid0(VALU_DEP_1) | instskip(SKIP_2) | instid1(VALU_DEP_4)
	v_or_b32_e32 v46, 0x800000, v44
	v_cmp_eq_u32_e32 vcc_lo, 0, v99
	v_add_nc_u32_e32 v99, 0xffffff91, v99
	v_cndmask_b32_e64 v45, v45, 0x6f, vcc_lo
	s_delay_alu instid0(VALU_DEP_4) | instskip(NEXT) | instid1(VALU_DEP_3)
	v_cndmask_b32_e32 v44, v46, v44, vcc_lo
	v_cndmask_b32_e64 v99, v99, 0xffffff92, vcc_lo
	s_delay_alu instid0(VALU_DEP_3) | instskip(NEXT) | instid1(VALU_DEP_3)
	v_lshl_add_u32 v46, 0x200000, v45, -1
	v_lshrrev_b32_e32 v47, v45, v44
	v_lshlrev_b32_e64 v57, v45, 0x100000
	s_delay_alu instid0(VALU_DEP_4) | instskip(NEXT) | instid1(VALU_DEP_4)
	v_add_nc_u32_e32 v45, v45, v99
	v_and_b32_e32 v44, v46, v44
	s_delay_alu instid0(VALU_DEP_4) | instskip(NEXT) | instid1(VALU_DEP_2)
	v_bfe_u32 v56, v47, 21, 1
	v_cmp_eq_u32_e64 s7, v44, v57
	s_delay_alu instid0(VALU_DEP_2) | instskip(NEXT) | instid1(VALU_DEP_1)
	v_add_nc_u32_e32 v46, -1, v56
	v_cndmask_b32_e64 v44, 0, v46, s7
	v_lshrrev_b32_e32 v46, 23, v47
	s_mov_b32 s7, exec_lo
	s_delay_alu instid0(VALU_DEP_2) | instskip(NEXT) | instid1(VALU_DEP_2)
	v_add_nc_u32_e32 v44, v44, v47
	v_xor_b32_e32 v46, 1, v46
	s_delay_alu instid0(VALU_DEP_2) | instskip(NEXT) | instid1(VALU_DEP_1)
	v_and_b32_e32 v99, 0x1fffff, v44
	v_add_nc_u32_e32 v44, v99, v47
                                        ; implicit-def: $vgpr99
	s_delay_alu instid0(VALU_DEP_3)
	v_cmpx_ne_u32_e64 v45, v46
	s_xor_b32 s7, exec_lo, s7
; %bb.5134:                             ;   in Loop: Header=BB6_4995 Depth=2
	s_delay_alu instid0(VALU_DEP_2) | instskip(SKIP_2) | instid1(VALU_DEP_2)
	v_cmp_lt_u32_e32 vcc_lo, 0xffffff, v44
	v_sub_nc_u32_e32 v99, v45, v46
	v_cndmask_b32_e64 v45, 0, 1, vcc_lo
	v_add_co_ci_u32_e32 v99, vcc_lo, 0, v99, vcc_lo
	s_delay_alu instid0(VALU_DEP_2)
	v_lshrrev_b32_e32 v44, v45, v44
; %bb.5135:                             ;   in Loop: Header=BB6_4995 Depth=2
	s_and_not1_saveexec_b32 s7, s7
; %bb.5136:                             ;   in Loop: Header=BB6_4995 Depth=2
	s_delay_alu instid0(VALU_DEP_1)
	v_bfe_u32 v99, v44, 23, 1
; %bb.5137:                             ;   in Loop: Header=BB6_4995 Depth=2
	s_or_b32 exec_lo, exec_lo, s7
	v_lshrrev_b32_e32 v44, 21, v44
	s_delay_alu instid0(VALU_DEP_2) | instskip(SKIP_2) | instid1(VALU_DEP_2)
	v_cmp_gt_i32_e32 vcc_lo, 32, v99
	v_lshrrev_b32_e32 v43, 24, v43
	v_min_i32_e32 v45, 31, v99
	v_dual_cndmask_b32 v44, 3, v44 :: v_dual_and_b32 v43, 0x80, v43
	s_delay_alu instid0(VALU_DEP_2) | instskip(NEXT) | instid1(VALU_DEP_2)
	v_lshlrev_b32_e32 v45, 2, v45
	v_or_b32_e32 v99, v99, v44
	s_delay_alu instid0(VALU_DEP_1) | instskip(SKIP_1) | instid1(VALU_DEP_1)
	v_cmp_ne_u32_e32 vcc_lo, 0, v99
	v_and_b32_e32 v46, 3, v44
	v_or3_b32 v43, v45, v43, v46
	s_delay_alu instid0(VALU_DEP_1)
	v_cndmask_b32_e32 v99, 0, v43, vcc_lo
.LBB6_5138:                             ;   in Loop: Header=BB6_4995 Depth=2
	s_or_b32 exec_lo, exec_lo, s24
.LBB6_5139:                             ;   in Loop: Header=BB6_4995 Depth=2
	s_delay_alu instid0(SALU_CYCLE_1) | instskip(SKIP_3) | instid1(VALU_DEP_1)
	s_or_b32 exec_lo, exec_lo, s23
	v_and_b32_e32 v44, 0xff, v42
	s_mov_b32 s7, 0
	s_mov_b32 s24, exec_lo
                                        ; implicit-def: $sgpr23
	v_cmpx_lt_i16_e32 0x7f, v44
	s_xor_b32 s24, exec_lo, s24
	s_cbranch_execnz .LBB6_5577
; %bb.5140:                             ;   in Loop: Header=BB6_4995 Depth=2
	s_or_saveexec_b32 s24, s24
	v_mov_b32_e32 v43, s23
	s_xor_b32 exec_lo, exec_lo, s24
	s_cbranch_execnz .LBB6_5580
.LBB6_5141:                             ;   in Loop: Header=BB6_4995 Depth=2
	s_or_b32 exec_lo, exec_lo, s24
	s_and_saveexec_b32 s23, s7
	s_cbranch_execz .LBB6_5143
.LBB6_5142:                             ;   in Loop: Header=BB6_4995 Depth=2
	v_lshrrev_b16 v46, 2, v42
	s_delay_alu instid0(VALU_DEP_1) | instskip(NEXT) | instid1(VALU_DEP_1)
	v_and_b32_e32 v46, 31, v46
	v_cmp_eq_u32_e32 vcc_lo, 0, v46
	v_and_b32_e32 v43, 3, v42
	s_delay_alu instid0(VALU_DEP_1) | instskip(NEXT) | instid1(VALU_DEP_1)
	v_clz_i32_u32_e32 v44, v43
	v_min_u32_e32 v44, 32, v44
	s_delay_alu instid0(VALU_DEP_1) | instskip(SKIP_1) | instid1(VALU_DEP_1)
	v_subrev_nc_u32_e32 v45, 29, v44
	v_sub_nc_u32_e32 v44, 30, v44
	v_dual_cndmask_b32 v44, v46, v44 :: v_dual_lshlrev_b32 v45, v45, v42
	v_lshlrev_b32_e32 v42, 24, v42
	s_delay_alu instid0(VALU_DEP_2) | instskip(NEXT) | instid1(VALU_DEP_3)
	v_and_b32_e32 v45, 3, v45
	v_lshl_add_u32 v44, v44, 23, 0x37800000
	s_delay_alu instid0(VALU_DEP_2) | instskip(NEXT) | instid1(VALU_DEP_1)
	v_dual_cndmask_b32 v43, v43, v45 :: v_dual_and_b32 v42, 0x80000000, v42
	v_lshlrev_b32_e32 v43, 21, v43
	s_delay_alu instid0(VALU_DEP_1)
	v_or3_b32 v43, v42, v44, v43
.LBB6_5143:                             ;   in Loop: Header=BB6_4995 Depth=2
	s_or_b32 exec_lo, exec_lo, s23
	s_waitcnt vmcnt(22) lgkmcnt(22)
	v_and_b32_e32 v44, 0xff, v145
	s_mov_b32 s7, 0
	s_mov_b32 s24, exec_lo
                                        ; implicit-def: $sgpr23
	s_delay_alu instid0(VALU_DEP_1)
	v_cmpx_lt_i16_e32 0x7f, v44
	s_xor_b32 s24, exec_lo, s24
	s_cbranch_execnz .LBB6_5581
; %bb.5144:                             ;   in Loop: Header=BB6_4995 Depth=2
	s_or_saveexec_b32 s24, s24
	v_mov_b32_e32 v42, s23
	s_xor_b32 exec_lo, exec_lo, s24
	s_cbranch_execnz .LBB6_5584
.LBB6_5145:                             ;   in Loop: Header=BB6_4995 Depth=2
	s_or_b32 exec_lo, exec_lo, s24
	s_and_saveexec_b32 s23, s7
	s_cbranch_execz .LBB6_5147
.LBB6_5146:                             ;   in Loop: Header=BB6_4995 Depth=2
	v_and_b32_e32 v42, 3, v145
	v_lshrrev_b16 v46, 2, v145
	s_delay_alu instid0(VALU_DEP_2) | instskip(NEXT) | instid1(VALU_DEP_2)
	v_clz_i32_u32_e32 v44, v42
	v_and_b32_e32 v46, 31, v46
	s_delay_alu instid0(VALU_DEP_2) | instskip(NEXT) | instid1(VALU_DEP_2)
	v_min_u32_e32 v44, 32, v44
	v_cmp_eq_u32_e32 vcc_lo, 0, v46
	s_delay_alu instid0(VALU_DEP_2) | instskip(SKIP_1) | instid1(VALU_DEP_1)
	v_subrev_nc_u32_e32 v45, 29, v44
	v_sub_nc_u32_e32 v44, 30, v44
	v_dual_cndmask_b32 v44, v46, v44 :: v_dual_lshlrev_b32 v45, v45, v145
	v_lshlrev_b32_e32 v145, 24, v145
	s_delay_alu instid0(VALU_DEP_2) | instskip(NEXT) | instid1(VALU_DEP_3)
	v_and_b32_e32 v45, 3, v45
	v_lshl_add_u32 v44, v44, 23, 0x37800000
	s_delay_alu instid0(VALU_DEP_3) | instskip(NEXT) | instid1(VALU_DEP_3)
	v_and_b32_e32 v145, 0x80000000, v145
	v_cndmask_b32_e32 v42, v42, v45, vcc_lo
	s_delay_alu instid0(VALU_DEP_1) | instskip(NEXT) | instid1(VALU_DEP_1)
	v_lshlrev_b32_e32 v42, 21, v42
	v_or3_b32 v42, v145, v44, v42
.LBB6_5147:                             ;   in Loop: Header=BB6_4995 Depth=2
	s_or_b32 exec_lo, exec_lo, s23
	s_delay_alu instid0(VALU_DEP_1) | instskip(NEXT) | instid1(VALU_DEP_1)
	v_mul_f32_e32 v42, v43, v42
	v_and_b32_e32 v145, 0x7f800000, v42
	s_delay_alu instid0(VALU_DEP_1)
	v_cmp_ne_u32_e32 vcc_lo, 0x7f800000, v145
	v_mov_b32_e32 v145, 0x80
	s_and_saveexec_b32 s23, vcc_lo
	s_cbranch_execz .LBB6_5155
; %bb.5148:                             ;   in Loop: Header=BB6_4995 Depth=2
	v_mov_b32_e32 v145, 0
	s_mov_b32 s24, exec_lo
	v_cmpx_ne_u32_e32 0, v42
	s_cbranch_execz .LBB6_5154
; %bb.5149:                             ;   in Loop: Header=BB6_4995 Depth=2
	v_bfe_u32 v145, v42, 23, 8
	s_delay_alu instid0(VALU_DEP_1) | instskip(SKIP_1) | instid1(VALU_DEP_2)
	v_sub_nc_u32_e32 v44, 0x70, v145
	v_cmp_gt_u32_e32 vcc_lo, 0x71, v145
	v_dual_cndmask_b32 v44, 0, v44 :: v_dual_and_b32 v43, 0x7fffff, v42
	s_delay_alu instid0(VALU_DEP_1) | instskip(SKIP_2) | instid1(VALU_DEP_4)
	v_or_b32_e32 v45, 0x800000, v43
	v_cmp_eq_u32_e32 vcc_lo, 0, v145
	v_add_nc_u32_e32 v145, 0xffffff91, v145
	v_cndmask_b32_e64 v44, v44, 0x6f, vcc_lo
	s_delay_alu instid0(VALU_DEP_2) | instskip(SKIP_1) | instid1(VALU_DEP_3)
	v_cndmask_b32_e64 v145, v145, 0xffffff92, vcc_lo
	v_cndmask_b32_e32 v43, v45, v43, vcc_lo
	v_lshl_add_u32 v45, 0x200000, v44, -1
	v_lshlrev_b32_e64 v56, v44, 0x100000
	s_delay_alu instid0(VALU_DEP_3) | instskip(SKIP_1) | instid1(VALU_DEP_4)
	v_lshrrev_b32_e32 v46, v44, v43
	v_add_nc_u32_e32 v44, v44, v145
	v_and_b32_e32 v43, v45, v43
	s_delay_alu instid0(VALU_DEP_3) | instskip(NEXT) | instid1(VALU_DEP_2)
	v_bfe_u32 v47, v46, 21, 1
	v_cmp_eq_u32_e64 s7, v43, v56
	s_delay_alu instid0(VALU_DEP_2) | instskip(NEXT) | instid1(VALU_DEP_1)
	v_add_nc_u32_e32 v45, -1, v47
	v_cndmask_b32_e64 v43, 0, v45, s7
	v_lshrrev_b32_e32 v45, 23, v46
	s_mov_b32 s7, exec_lo
	s_delay_alu instid0(VALU_DEP_2) | instskip(NEXT) | instid1(VALU_DEP_2)
	v_add_nc_u32_e32 v43, v43, v46
	v_xor_b32_e32 v45, 1, v45
	s_delay_alu instid0(VALU_DEP_2) | instskip(NEXT) | instid1(VALU_DEP_1)
	v_and_b32_e32 v145, 0x1fffff, v43
	v_add_nc_u32_e32 v43, v145, v46
                                        ; implicit-def: $vgpr145
	s_delay_alu instid0(VALU_DEP_3)
	v_cmpx_ne_u32_e64 v44, v45
	s_xor_b32 s7, exec_lo, s7
; %bb.5150:                             ;   in Loop: Header=BB6_4995 Depth=2
	s_delay_alu instid0(VALU_DEP_2) | instskip(SKIP_2) | instid1(VALU_DEP_2)
	v_cmp_lt_u32_e32 vcc_lo, 0xffffff, v43
	v_sub_nc_u32_e32 v145, v44, v45
	v_cndmask_b32_e64 v44, 0, 1, vcc_lo
	v_add_co_ci_u32_e32 v145, vcc_lo, 0, v145, vcc_lo
	s_delay_alu instid0(VALU_DEP_2)
	v_lshrrev_b32_e32 v43, v44, v43
; %bb.5151:                             ;   in Loop: Header=BB6_4995 Depth=2
	s_and_not1_saveexec_b32 s7, s7
; %bb.5152:                             ;   in Loop: Header=BB6_4995 Depth=2
	s_delay_alu instid0(VALU_DEP_1)
	v_bfe_u32 v145, v43, 23, 1
; %bb.5153:                             ;   in Loop: Header=BB6_4995 Depth=2
	s_or_b32 exec_lo, exec_lo, s7
	v_lshrrev_b32_e32 v43, 21, v43
	s_delay_alu instid0(VALU_DEP_2) | instskip(SKIP_2) | instid1(VALU_DEP_2)
	v_cmp_gt_i32_e32 vcc_lo, 32, v145
	v_lshrrev_b32_e32 v42, 24, v42
	v_min_i32_e32 v44, 31, v145
	v_dual_cndmask_b32 v43, 3, v43 :: v_dual_and_b32 v42, 0x80, v42
	s_delay_alu instid0(VALU_DEP_1) | instskip(SKIP_1) | instid1(VALU_DEP_2)
	v_or_b32_e32 v145, v145, v43
	v_and_b32_e32 v45, 3, v43
	v_cmp_ne_u32_e32 vcc_lo, 0, v145
	v_lshlrev_b32_e32 v44, 2, v44
	s_delay_alu instid0(VALU_DEP_1) | instskip(NEXT) | instid1(VALU_DEP_1)
	v_or3_b32 v42, v44, v42, v45
	v_cndmask_b32_e32 v145, 0, v42, vcc_lo
.LBB6_5154:                             ;   in Loop: Header=BB6_4995 Depth=2
	s_or_b32 exec_lo, exec_lo, s24
.LBB6_5155:                             ;   in Loop: Header=BB6_4995 Depth=2
	s_delay_alu instid0(SALU_CYCLE_1) | instskip(SKIP_3) | instid1(VALU_DEP_1)
	s_or_b32 exec_lo, exec_lo, s23
	v_and_b32_e32 v43, 0xff, v41
	s_mov_b32 s7, 0
	s_mov_b32 s24, exec_lo
                                        ; implicit-def: $sgpr23
	v_cmpx_lt_i16_e32 0x7f, v43
	s_xor_b32 s24, exec_lo, s24
	s_cbranch_execnz .LBB6_5585
; %bb.5156:                             ;   in Loop: Header=BB6_4995 Depth=2
	s_or_saveexec_b32 s24, s24
	v_mov_b32_e32 v42, s23
	s_xor_b32 exec_lo, exec_lo, s24
	s_cbranch_execnz .LBB6_5588
.LBB6_5157:                             ;   in Loop: Header=BB6_4995 Depth=2
	s_or_b32 exec_lo, exec_lo, s24
	s_and_saveexec_b32 s23, s7
	s_cbranch_execz .LBB6_5159
.LBB6_5158:                             ;   in Loop: Header=BB6_4995 Depth=2
	v_lshrrev_b16 v45, 2, v41
	s_delay_alu instid0(VALU_DEP_1) | instskip(NEXT) | instid1(VALU_DEP_1)
	v_and_b32_e32 v45, 31, v45
	v_cmp_eq_u32_e32 vcc_lo, 0, v45
	v_and_b32_e32 v42, 3, v41
	s_delay_alu instid0(VALU_DEP_1) | instskip(NEXT) | instid1(VALU_DEP_1)
	v_clz_i32_u32_e32 v43, v42
	v_min_u32_e32 v43, 32, v43
	s_delay_alu instid0(VALU_DEP_1) | instskip(SKIP_1) | instid1(VALU_DEP_1)
	v_subrev_nc_u32_e32 v44, 29, v43
	v_sub_nc_u32_e32 v43, 30, v43
	v_dual_cndmask_b32 v43, v45, v43 :: v_dual_lshlrev_b32 v44, v44, v41
	v_lshlrev_b32_e32 v41, 24, v41
	s_delay_alu instid0(VALU_DEP_2) | instskip(NEXT) | instid1(VALU_DEP_3)
	v_and_b32_e32 v44, 3, v44
	v_lshl_add_u32 v43, v43, 23, 0x37800000
	s_delay_alu instid0(VALU_DEP_2) | instskip(NEXT) | instid1(VALU_DEP_1)
	v_dual_cndmask_b32 v42, v42, v44 :: v_dual_and_b32 v41, 0x80000000, v41
	v_lshlrev_b32_e32 v42, 21, v42
	s_delay_alu instid0(VALU_DEP_1)
	v_or3_b32 v42, v41, v43, v42
.LBB6_5159:                             ;   in Loop: Header=BB6_4995 Depth=2
	s_or_b32 exec_lo, exec_lo, s23
	s_waitcnt vmcnt(21) lgkmcnt(21)
	v_and_b32_e32 v43, 0xff, v148
	s_mov_b32 s7, 0
	s_mov_b32 s24, exec_lo
                                        ; implicit-def: $sgpr23
	s_delay_alu instid0(VALU_DEP_1)
	v_cmpx_lt_i16_e32 0x7f, v43
	s_xor_b32 s24, exec_lo, s24
	s_cbranch_execnz .LBB6_5589
; %bb.5160:                             ;   in Loop: Header=BB6_4995 Depth=2
	s_or_saveexec_b32 s24, s24
	v_mov_b32_e32 v41, s23
	s_xor_b32 exec_lo, exec_lo, s24
	s_cbranch_execnz .LBB6_5592
.LBB6_5161:                             ;   in Loop: Header=BB6_4995 Depth=2
	s_or_b32 exec_lo, exec_lo, s24
	s_and_saveexec_b32 s23, s7
	s_cbranch_execz .LBB6_5163
.LBB6_5162:                             ;   in Loop: Header=BB6_4995 Depth=2
	v_and_b32_e32 v41, 3, v148
	v_lshrrev_b16 v45, 2, v148
	s_delay_alu instid0(VALU_DEP_2) | instskip(NEXT) | instid1(VALU_DEP_2)
	v_clz_i32_u32_e32 v43, v41
	v_and_b32_e32 v45, 31, v45
	s_delay_alu instid0(VALU_DEP_2) | instskip(NEXT) | instid1(VALU_DEP_2)
	v_min_u32_e32 v43, 32, v43
	v_cmp_eq_u32_e32 vcc_lo, 0, v45
	s_delay_alu instid0(VALU_DEP_2) | instskip(SKIP_1) | instid1(VALU_DEP_1)
	v_subrev_nc_u32_e32 v44, 29, v43
	v_sub_nc_u32_e32 v43, 30, v43
	v_dual_cndmask_b32 v43, v45, v43 :: v_dual_lshlrev_b32 v44, v44, v148
	v_lshlrev_b32_e32 v148, 24, v148
	s_delay_alu instid0(VALU_DEP_2) | instskip(NEXT) | instid1(VALU_DEP_3)
	v_and_b32_e32 v44, 3, v44
	v_lshl_add_u32 v43, v43, 23, 0x37800000
	s_delay_alu instid0(VALU_DEP_3) | instskip(NEXT) | instid1(VALU_DEP_3)
	v_and_b32_e32 v148, 0x80000000, v148
	v_cndmask_b32_e32 v41, v41, v44, vcc_lo
	s_delay_alu instid0(VALU_DEP_1) | instskip(NEXT) | instid1(VALU_DEP_1)
	v_lshlrev_b32_e32 v41, 21, v41
	v_or3_b32 v41, v148, v43, v41
.LBB6_5163:                             ;   in Loop: Header=BB6_4995 Depth=2
	s_or_b32 exec_lo, exec_lo, s23
	s_delay_alu instid0(VALU_DEP_1) | instskip(NEXT) | instid1(VALU_DEP_1)
	v_mul_f32_e32 v41, v42, v41
	v_and_b32_e32 v148, 0x7f800000, v41
	s_delay_alu instid0(VALU_DEP_1)
	v_cmp_ne_u32_e32 vcc_lo, 0x7f800000, v148
	v_mov_b32_e32 v148, 0x80
	s_and_saveexec_b32 s23, vcc_lo
	s_cbranch_execz .LBB6_5171
; %bb.5164:                             ;   in Loop: Header=BB6_4995 Depth=2
	v_mov_b32_e32 v148, 0
	s_mov_b32 s24, exec_lo
	v_cmpx_ne_u32_e32 0, v41
	s_cbranch_execz .LBB6_5170
; %bb.5165:                             ;   in Loop: Header=BB6_4995 Depth=2
	v_bfe_u32 v148, v41, 23, 8
	s_delay_alu instid0(VALU_DEP_1) | instskip(SKIP_1) | instid1(VALU_DEP_2)
	v_sub_nc_u32_e32 v43, 0x70, v148
	v_cmp_gt_u32_e32 vcc_lo, 0x71, v148
	v_dual_cndmask_b32 v43, 0, v43 :: v_dual_and_b32 v42, 0x7fffff, v41
	s_delay_alu instid0(VALU_DEP_1) | instskip(SKIP_2) | instid1(VALU_DEP_4)
	v_or_b32_e32 v44, 0x800000, v42
	v_cmp_eq_u32_e32 vcc_lo, 0, v148
	v_add_nc_u32_e32 v148, 0xffffff91, v148
	v_cndmask_b32_e64 v43, v43, 0x6f, vcc_lo
	s_delay_alu instid0(VALU_DEP_2) | instskip(SKIP_1) | instid1(VALU_DEP_3)
	v_cndmask_b32_e64 v148, v148, 0xffffff92, vcc_lo
	v_cndmask_b32_e32 v42, v44, v42, vcc_lo
	v_lshl_add_u32 v44, 0x200000, v43, -1
	v_lshlrev_b32_e64 v47, v43, 0x100000
	s_delay_alu instid0(VALU_DEP_3) | instskip(SKIP_1) | instid1(VALU_DEP_4)
	v_lshrrev_b32_e32 v45, v43, v42
	v_add_nc_u32_e32 v43, v43, v148
	v_and_b32_e32 v42, v44, v42
	s_delay_alu instid0(VALU_DEP_3) | instskip(NEXT) | instid1(VALU_DEP_2)
	v_bfe_u32 v46, v45, 21, 1
	v_cmp_eq_u32_e64 s7, v42, v47
	s_delay_alu instid0(VALU_DEP_2) | instskip(NEXT) | instid1(VALU_DEP_1)
	v_add_nc_u32_e32 v44, -1, v46
	v_cndmask_b32_e64 v42, 0, v44, s7
	v_lshrrev_b32_e32 v44, 23, v45
	s_mov_b32 s7, exec_lo
	s_delay_alu instid0(VALU_DEP_2) | instskip(NEXT) | instid1(VALU_DEP_2)
	v_add_nc_u32_e32 v42, v42, v45
	v_xor_b32_e32 v44, 1, v44
	s_delay_alu instid0(VALU_DEP_2) | instskip(NEXT) | instid1(VALU_DEP_1)
	v_and_b32_e32 v148, 0x1fffff, v42
	v_add_nc_u32_e32 v42, v148, v45
                                        ; implicit-def: $vgpr148
	s_delay_alu instid0(VALU_DEP_3)
	v_cmpx_ne_u32_e64 v43, v44
	s_xor_b32 s7, exec_lo, s7
; %bb.5166:                             ;   in Loop: Header=BB6_4995 Depth=2
	s_delay_alu instid0(VALU_DEP_2) | instskip(SKIP_2) | instid1(VALU_DEP_2)
	v_cmp_lt_u32_e32 vcc_lo, 0xffffff, v42
	v_sub_nc_u32_e32 v148, v43, v44
	v_cndmask_b32_e64 v43, 0, 1, vcc_lo
	v_add_co_ci_u32_e32 v148, vcc_lo, 0, v148, vcc_lo
	s_delay_alu instid0(VALU_DEP_2)
	v_lshrrev_b32_e32 v42, v43, v42
; %bb.5167:                             ;   in Loop: Header=BB6_4995 Depth=2
	s_and_not1_saveexec_b32 s7, s7
; %bb.5168:                             ;   in Loop: Header=BB6_4995 Depth=2
	s_delay_alu instid0(VALU_DEP_1)
	v_bfe_u32 v148, v42, 23, 1
; %bb.5169:                             ;   in Loop: Header=BB6_4995 Depth=2
	s_or_b32 exec_lo, exec_lo, s7
	v_lshrrev_b32_e32 v42, 21, v42
	s_delay_alu instid0(VALU_DEP_2) | instskip(SKIP_2) | instid1(VALU_DEP_2)
	v_cmp_gt_i32_e32 vcc_lo, 32, v148
	v_lshrrev_b32_e32 v41, 24, v41
	v_min_i32_e32 v43, 31, v148
	v_dual_cndmask_b32 v42, 3, v42 :: v_dual_and_b32 v41, 0x80, v41
	s_delay_alu instid0(VALU_DEP_1) | instskip(SKIP_1) | instid1(VALU_DEP_2)
	v_or_b32_e32 v148, v148, v42
	v_and_b32_e32 v44, 3, v42
	v_cmp_ne_u32_e32 vcc_lo, 0, v148
	v_lshlrev_b32_e32 v43, 2, v43
	s_delay_alu instid0(VALU_DEP_1) | instskip(NEXT) | instid1(VALU_DEP_1)
	v_or3_b32 v41, v43, v41, v44
	v_cndmask_b32_e32 v148, 0, v41, vcc_lo
.LBB6_5170:                             ;   in Loop: Header=BB6_4995 Depth=2
	s_or_b32 exec_lo, exec_lo, s24
.LBB6_5171:                             ;   in Loop: Header=BB6_4995 Depth=2
	s_delay_alu instid0(SALU_CYCLE_1) | instskip(SKIP_3) | instid1(VALU_DEP_1)
	s_or_b32 exec_lo, exec_lo, s23
	v_and_b32_e32 v42, 0xff, v40
	s_mov_b32 s7, 0
	s_mov_b32 s24, exec_lo
                                        ; implicit-def: $sgpr23
	v_cmpx_lt_i16_e32 0x7f, v42
	s_xor_b32 s24, exec_lo, s24
	s_cbranch_execnz .LBB6_5593
; %bb.5172:                             ;   in Loop: Header=BB6_4995 Depth=2
	s_or_saveexec_b32 s24, s24
	v_mov_b32_e32 v41, s23
	s_xor_b32 exec_lo, exec_lo, s24
	s_cbranch_execnz .LBB6_5596
.LBB6_5173:                             ;   in Loop: Header=BB6_4995 Depth=2
	s_or_b32 exec_lo, exec_lo, s24
	s_and_saveexec_b32 s23, s7
	s_cbranch_execz .LBB6_5175
.LBB6_5174:                             ;   in Loop: Header=BB6_4995 Depth=2
	v_lshrrev_b16 v44, 2, v40
	s_delay_alu instid0(VALU_DEP_1) | instskip(NEXT) | instid1(VALU_DEP_1)
	v_and_b32_e32 v44, 31, v44
	v_cmp_eq_u32_e32 vcc_lo, 0, v44
	v_and_b32_e32 v41, 3, v40
	s_delay_alu instid0(VALU_DEP_1) | instskip(NEXT) | instid1(VALU_DEP_1)
	v_clz_i32_u32_e32 v42, v41
	v_min_u32_e32 v42, 32, v42
	s_delay_alu instid0(VALU_DEP_1) | instskip(SKIP_1) | instid1(VALU_DEP_1)
	v_subrev_nc_u32_e32 v43, 29, v42
	v_sub_nc_u32_e32 v42, 30, v42
	v_dual_cndmask_b32 v42, v44, v42 :: v_dual_lshlrev_b32 v43, v43, v40
	v_lshlrev_b32_e32 v40, 24, v40
	s_delay_alu instid0(VALU_DEP_2) | instskip(NEXT) | instid1(VALU_DEP_3)
	v_and_b32_e32 v43, 3, v43
	v_lshl_add_u32 v42, v42, 23, 0x37800000
	s_delay_alu instid0(VALU_DEP_2) | instskip(NEXT) | instid1(VALU_DEP_1)
	v_dual_cndmask_b32 v41, v41, v43 :: v_dual_and_b32 v40, 0x80000000, v40
	v_lshlrev_b32_e32 v41, 21, v41
	s_delay_alu instid0(VALU_DEP_1)
	v_or3_b32 v41, v40, v42, v41
.LBB6_5175:                             ;   in Loop: Header=BB6_4995 Depth=2
	s_or_b32 exec_lo, exec_lo, s23
	s_waitcnt vmcnt(20) lgkmcnt(20)
	v_and_b32_e32 v42, 0xff, v151
	s_mov_b32 s7, 0
	s_mov_b32 s24, exec_lo
                                        ; implicit-def: $sgpr23
	s_delay_alu instid0(VALU_DEP_1)
	v_cmpx_lt_i16_e32 0x7f, v42
	s_xor_b32 s24, exec_lo, s24
	s_cbranch_execnz .LBB6_5597
; %bb.5176:                             ;   in Loop: Header=BB6_4995 Depth=2
	s_or_saveexec_b32 s24, s24
	v_mov_b32_e32 v40, s23
	s_xor_b32 exec_lo, exec_lo, s24
	s_cbranch_execnz .LBB6_5600
.LBB6_5177:                             ;   in Loop: Header=BB6_4995 Depth=2
	s_or_b32 exec_lo, exec_lo, s24
	s_and_saveexec_b32 s23, s7
	s_cbranch_execz .LBB6_5179
.LBB6_5178:                             ;   in Loop: Header=BB6_4995 Depth=2
	v_and_b32_e32 v40, 3, v151
	v_lshrrev_b16 v44, 2, v151
	s_delay_alu instid0(VALU_DEP_2) | instskip(NEXT) | instid1(VALU_DEP_2)
	v_clz_i32_u32_e32 v42, v40
	v_and_b32_e32 v44, 31, v44
	s_delay_alu instid0(VALU_DEP_2) | instskip(NEXT) | instid1(VALU_DEP_2)
	v_min_u32_e32 v42, 32, v42
	v_cmp_eq_u32_e32 vcc_lo, 0, v44
	s_delay_alu instid0(VALU_DEP_2) | instskip(SKIP_1) | instid1(VALU_DEP_1)
	v_subrev_nc_u32_e32 v43, 29, v42
	v_sub_nc_u32_e32 v42, 30, v42
	v_dual_cndmask_b32 v42, v44, v42 :: v_dual_lshlrev_b32 v43, v43, v151
	v_lshlrev_b32_e32 v151, 24, v151
	s_delay_alu instid0(VALU_DEP_2) | instskip(NEXT) | instid1(VALU_DEP_3)
	v_and_b32_e32 v43, 3, v43
	v_lshl_add_u32 v42, v42, 23, 0x37800000
	s_delay_alu instid0(VALU_DEP_3) | instskip(NEXT) | instid1(VALU_DEP_3)
	v_and_b32_e32 v151, 0x80000000, v151
	v_cndmask_b32_e32 v40, v40, v43, vcc_lo
	s_delay_alu instid0(VALU_DEP_1) | instskip(NEXT) | instid1(VALU_DEP_1)
	v_lshlrev_b32_e32 v40, 21, v40
	v_or3_b32 v40, v151, v42, v40
.LBB6_5179:                             ;   in Loop: Header=BB6_4995 Depth=2
	s_or_b32 exec_lo, exec_lo, s23
	s_delay_alu instid0(VALU_DEP_1) | instskip(NEXT) | instid1(VALU_DEP_1)
	v_mul_f32_e32 v40, v41, v40
	v_and_b32_e32 v151, 0x7f800000, v40
	s_delay_alu instid0(VALU_DEP_1)
	v_cmp_ne_u32_e32 vcc_lo, 0x7f800000, v151
	v_mov_b32_e32 v151, 0x80
	s_and_saveexec_b32 s23, vcc_lo
	s_cbranch_execz .LBB6_5187
; %bb.5180:                             ;   in Loop: Header=BB6_4995 Depth=2
	v_mov_b32_e32 v151, 0
	s_mov_b32 s24, exec_lo
	v_cmpx_ne_u32_e32 0, v40
	s_cbranch_execz .LBB6_5186
; %bb.5181:                             ;   in Loop: Header=BB6_4995 Depth=2
	v_bfe_u32 v151, v40, 23, 8
	s_delay_alu instid0(VALU_DEP_1) | instskip(SKIP_1) | instid1(VALU_DEP_2)
	v_sub_nc_u32_e32 v42, 0x70, v151
	v_cmp_gt_u32_e32 vcc_lo, 0x71, v151
	v_dual_cndmask_b32 v42, 0, v42 :: v_dual_and_b32 v41, 0x7fffff, v40
	s_delay_alu instid0(VALU_DEP_1) | instskip(SKIP_2) | instid1(VALU_DEP_4)
	v_or_b32_e32 v43, 0x800000, v41
	v_cmp_eq_u32_e32 vcc_lo, 0, v151
	v_add_nc_u32_e32 v151, 0xffffff91, v151
	v_cndmask_b32_e64 v42, v42, 0x6f, vcc_lo
	s_delay_alu instid0(VALU_DEP_2) | instskip(SKIP_1) | instid1(VALU_DEP_3)
	v_cndmask_b32_e64 v151, v151, 0xffffff92, vcc_lo
	v_cndmask_b32_e32 v41, v43, v41, vcc_lo
	v_lshl_add_u32 v43, 0x200000, v42, -1
	v_lshlrev_b32_e64 v46, v42, 0x100000
	s_delay_alu instid0(VALU_DEP_3) | instskip(SKIP_1) | instid1(VALU_DEP_4)
	v_lshrrev_b32_e32 v44, v42, v41
	v_add_nc_u32_e32 v42, v42, v151
	v_and_b32_e32 v41, v43, v41
	s_delay_alu instid0(VALU_DEP_3) | instskip(NEXT) | instid1(VALU_DEP_2)
	v_bfe_u32 v45, v44, 21, 1
	v_cmp_eq_u32_e64 s7, v41, v46
	s_delay_alu instid0(VALU_DEP_2) | instskip(NEXT) | instid1(VALU_DEP_1)
	v_add_nc_u32_e32 v43, -1, v45
	v_cndmask_b32_e64 v41, 0, v43, s7
	v_lshrrev_b32_e32 v43, 23, v44
	s_mov_b32 s7, exec_lo
	s_delay_alu instid0(VALU_DEP_2) | instskip(NEXT) | instid1(VALU_DEP_2)
	v_add_nc_u32_e32 v41, v41, v44
	v_xor_b32_e32 v43, 1, v43
	s_delay_alu instid0(VALU_DEP_2) | instskip(NEXT) | instid1(VALU_DEP_1)
	v_and_b32_e32 v151, 0x1fffff, v41
	v_add_nc_u32_e32 v41, v151, v44
                                        ; implicit-def: $vgpr151
	s_delay_alu instid0(VALU_DEP_3)
	v_cmpx_ne_u32_e64 v42, v43
	s_xor_b32 s7, exec_lo, s7
; %bb.5182:                             ;   in Loop: Header=BB6_4995 Depth=2
	s_delay_alu instid0(VALU_DEP_2) | instskip(SKIP_2) | instid1(VALU_DEP_2)
	v_cmp_lt_u32_e32 vcc_lo, 0xffffff, v41
	v_sub_nc_u32_e32 v151, v42, v43
	v_cndmask_b32_e64 v42, 0, 1, vcc_lo
	v_add_co_ci_u32_e32 v151, vcc_lo, 0, v151, vcc_lo
	s_delay_alu instid0(VALU_DEP_2)
	v_lshrrev_b32_e32 v41, v42, v41
; %bb.5183:                             ;   in Loop: Header=BB6_4995 Depth=2
	s_and_not1_saveexec_b32 s7, s7
; %bb.5184:                             ;   in Loop: Header=BB6_4995 Depth=2
	s_delay_alu instid0(VALU_DEP_1)
	v_bfe_u32 v151, v41, 23, 1
; %bb.5185:                             ;   in Loop: Header=BB6_4995 Depth=2
	s_or_b32 exec_lo, exec_lo, s7
	v_lshrrev_b32_e32 v41, 21, v41
	s_delay_alu instid0(VALU_DEP_2) | instskip(SKIP_2) | instid1(VALU_DEP_2)
	v_cmp_gt_i32_e32 vcc_lo, 32, v151
	v_lshrrev_b32_e32 v40, 24, v40
	v_min_i32_e32 v42, 31, v151
	v_dual_cndmask_b32 v41, 3, v41 :: v_dual_and_b32 v40, 0x80, v40
	s_delay_alu instid0(VALU_DEP_1) | instskip(SKIP_1) | instid1(VALU_DEP_2)
	v_or_b32_e32 v151, v151, v41
	v_and_b32_e32 v43, 3, v41
	v_cmp_ne_u32_e32 vcc_lo, 0, v151
	v_lshlrev_b32_e32 v42, 2, v42
	s_delay_alu instid0(VALU_DEP_1) | instskip(NEXT) | instid1(VALU_DEP_1)
	v_or3_b32 v40, v42, v40, v43
	v_cndmask_b32_e32 v151, 0, v40, vcc_lo
.LBB6_5186:                             ;   in Loop: Header=BB6_4995 Depth=2
	s_or_b32 exec_lo, exec_lo, s24
.LBB6_5187:                             ;   in Loop: Header=BB6_4995 Depth=2
	s_delay_alu instid0(SALU_CYCLE_1) | instskip(SKIP_3) | instid1(VALU_DEP_1)
	s_or_b32 exec_lo, exec_lo, s23
	v_and_b32_e32 v41, 0xff, v183
	s_mov_b32 s7, 0
	s_mov_b32 s24, exec_lo
                                        ; implicit-def: $sgpr23
	v_cmpx_lt_i16_e32 0x7f, v41
	s_xor_b32 s24, exec_lo, s24
	s_cbranch_execnz .LBB6_5601
; %bb.5188:                             ;   in Loop: Header=BB6_4995 Depth=2
	s_or_saveexec_b32 s24, s24
	v_mov_b32_e32 v40, s23
	s_xor_b32 exec_lo, exec_lo, s24
	s_cbranch_execnz .LBB6_5604
.LBB6_5189:                             ;   in Loop: Header=BB6_4995 Depth=2
	s_or_b32 exec_lo, exec_lo, s24
	s_and_saveexec_b32 s23, s7
	s_cbranch_execz .LBB6_5191
.LBB6_5190:                             ;   in Loop: Header=BB6_4995 Depth=2
	v_lshrrev_b16 v43, 2, v183
	s_delay_alu instid0(VALU_DEP_1) | instskip(NEXT) | instid1(VALU_DEP_1)
	v_and_b32_e32 v43, 31, v43
	v_cmp_eq_u32_e32 vcc_lo, 0, v43
	v_and_b32_e32 v40, 3, v183
	s_delay_alu instid0(VALU_DEP_1) | instskip(NEXT) | instid1(VALU_DEP_1)
	v_clz_i32_u32_e32 v41, v40
	v_min_u32_e32 v41, 32, v41
	s_delay_alu instid0(VALU_DEP_1) | instskip(SKIP_1) | instid1(VALU_DEP_1)
	v_subrev_nc_u32_e32 v42, 29, v41
	v_sub_nc_u32_e32 v41, 30, v41
	v_dual_cndmask_b32 v41, v43, v41 :: v_dual_lshlrev_b32 v42, v42, v183
	v_lshlrev_b32_e32 v183, 24, v183
	s_delay_alu instid0(VALU_DEP_2) | instskip(NEXT) | instid1(VALU_DEP_3)
	v_and_b32_e32 v42, 3, v42
	v_lshl_add_u32 v41, v41, 23, 0x37800000
	s_delay_alu instid0(VALU_DEP_2) | instskip(NEXT) | instid1(VALU_DEP_1)
	v_dual_cndmask_b32 v40, v40, v42 :: v_dual_and_b32 v183, 0x80000000, v183
	v_lshlrev_b32_e32 v40, 21, v40
	s_delay_alu instid0(VALU_DEP_1)
	v_or3_b32 v40, v183, v41, v40
.LBB6_5191:                             ;   in Loop: Header=BB6_4995 Depth=2
	s_or_b32 exec_lo, exec_lo, s23
	s_waitcnt vmcnt(19) lgkmcnt(19)
	v_and_b32_e32 v41, 0xff, v162
	s_mov_b32 s7, 0
	s_mov_b32 s24, exec_lo
                                        ; implicit-def: $sgpr23
	s_delay_alu instid0(VALU_DEP_1)
	v_cmpx_lt_i16_e32 0x7f, v41
	s_xor_b32 s24, exec_lo, s24
	s_cbranch_execnz .LBB6_5605
; %bb.5192:                             ;   in Loop: Header=BB6_4995 Depth=2
	s_or_saveexec_b32 s24, s24
	v_mov_b32_e32 v183, s23
	s_xor_b32 exec_lo, exec_lo, s24
	s_cbranch_execnz .LBB6_5608
.LBB6_5193:                             ;   in Loop: Header=BB6_4995 Depth=2
	s_or_b32 exec_lo, exec_lo, s24
	s_and_saveexec_b32 s23, s7
	s_cbranch_execz .LBB6_5195
.LBB6_5194:                             ;   in Loop: Header=BB6_4995 Depth=2
	v_and_b32_e32 v183, 3, v162
	v_lshrrev_b16 v43, 2, v162
	s_delay_alu instid0(VALU_DEP_2) | instskip(NEXT) | instid1(VALU_DEP_2)
	v_clz_i32_u32_e32 v41, v183
	v_and_b32_e32 v43, 31, v43
	s_delay_alu instid0(VALU_DEP_2) | instskip(NEXT) | instid1(VALU_DEP_2)
	v_min_u32_e32 v41, 32, v41
	v_cmp_eq_u32_e32 vcc_lo, 0, v43
	s_delay_alu instid0(VALU_DEP_2) | instskip(SKIP_1) | instid1(VALU_DEP_1)
	v_subrev_nc_u32_e32 v42, 29, v41
	v_sub_nc_u32_e32 v41, 30, v41
	v_dual_cndmask_b32 v41, v43, v41 :: v_dual_lshlrev_b32 v42, v42, v162
	v_lshlrev_b32_e32 v162, 24, v162
	s_delay_alu instid0(VALU_DEP_2) | instskip(NEXT) | instid1(VALU_DEP_3)
	v_and_b32_e32 v42, 3, v42
	v_lshl_add_u32 v41, v41, 23, 0x37800000
	s_delay_alu instid0(VALU_DEP_3) | instskip(NEXT) | instid1(VALU_DEP_3)
	v_and_b32_e32 v162, 0x80000000, v162
	v_cndmask_b32_e32 v183, v183, v42, vcc_lo
	s_delay_alu instid0(VALU_DEP_1) | instskip(NEXT) | instid1(VALU_DEP_1)
	v_lshlrev_b32_e32 v183, 21, v183
	v_or3_b32 v183, v162, v41, v183
.LBB6_5195:                             ;   in Loop: Header=BB6_4995 Depth=2
	s_or_b32 exec_lo, exec_lo, s23
	s_delay_alu instid0(VALU_DEP_1) | instskip(NEXT) | instid1(VALU_DEP_1)
	v_mul_f32_e32 v183, v40, v183
	v_and_b32_e32 v162, 0x7f800000, v183
	s_delay_alu instid0(VALU_DEP_1)
	v_cmp_ne_u32_e32 vcc_lo, 0x7f800000, v162
	v_mov_b32_e32 v162, 0x80
	s_and_saveexec_b32 s23, vcc_lo
	s_cbranch_execz .LBB6_5203
; %bb.5196:                             ;   in Loop: Header=BB6_4995 Depth=2
	v_mov_b32_e32 v162, 0
	s_mov_b32 s24, exec_lo
	v_cmpx_ne_u32_e32 0, v183
	s_cbranch_execz .LBB6_5202
; %bb.5197:                             ;   in Loop: Header=BB6_4995 Depth=2
	v_bfe_u32 v162, v183, 23, 8
	s_delay_alu instid0(VALU_DEP_1) | instskip(SKIP_1) | instid1(VALU_DEP_2)
	v_sub_nc_u32_e32 v41, 0x70, v162
	v_cmp_gt_u32_e32 vcc_lo, 0x71, v162
	v_dual_cndmask_b32 v41, 0, v41 :: v_dual_and_b32 v40, 0x7fffff, v183
	s_delay_alu instid0(VALU_DEP_1) | instskip(SKIP_2) | instid1(VALU_DEP_4)
	v_or_b32_e32 v42, 0x800000, v40
	v_cmp_eq_u32_e32 vcc_lo, 0, v162
	v_add_nc_u32_e32 v162, 0xffffff91, v162
	v_cndmask_b32_e64 v41, v41, 0x6f, vcc_lo
	s_delay_alu instid0(VALU_DEP_2) | instskip(SKIP_1) | instid1(VALU_DEP_3)
	v_cndmask_b32_e64 v162, v162, 0xffffff92, vcc_lo
	v_cndmask_b32_e32 v40, v42, v40, vcc_lo
	v_lshl_add_u32 v42, 0x200000, v41, -1
	v_lshlrev_b32_e64 v45, v41, 0x100000
	s_delay_alu instid0(VALU_DEP_3) | instskip(SKIP_1) | instid1(VALU_DEP_4)
	v_lshrrev_b32_e32 v43, v41, v40
	v_add_nc_u32_e32 v41, v41, v162
	v_and_b32_e32 v40, v42, v40
	s_delay_alu instid0(VALU_DEP_3) | instskip(NEXT) | instid1(VALU_DEP_2)
	v_bfe_u32 v44, v43, 21, 1
	v_cmp_eq_u32_e64 s7, v40, v45
	s_delay_alu instid0(VALU_DEP_2) | instskip(NEXT) | instid1(VALU_DEP_1)
	v_add_nc_u32_e32 v42, -1, v44
	v_cndmask_b32_e64 v40, 0, v42, s7
	v_lshrrev_b32_e32 v42, 23, v43
	s_mov_b32 s7, exec_lo
	s_delay_alu instid0(VALU_DEP_2) | instskip(NEXT) | instid1(VALU_DEP_2)
	v_add_nc_u32_e32 v40, v40, v43
	v_xor_b32_e32 v42, 1, v42
	s_delay_alu instid0(VALU_DEP_2) | instskip(NEXT) | instid1(VALU_DEP_1)
	v_and_b32_e32 v162, 0x1fffff, v40
	v_add_nc_u32_e32 v40, v162, v43
                                        ; implicit-def: $vgpr162
	s_delay_alu instid0(VALU_DEP_3)
	v_cmpx_ne_u32_e64 v41, v42
	s_xor_b32 s7, exec_lo, s7
; %bb.5198:                             ;   in Loop: Header=BB6_4995 Depth=2
	s_delay_alu instid0(VALU_DEP_2) | instskip(SKIP_2) | instid1(VALU_DEP_2)
	v_cmp_lt_u32_e32 vcc_lo, 0xffffff, v40
	v_sub_nc_u32_e32 v162, v41, v42
	v_cndmask_b32_e64 v41, 0, 1, vcc_lo
	v_add_co_ci_u32_e32 v162, vcc_lo, 0, v162, vcc_lo
	s_delay_alu instid0(VALU_DEP_2)
	v_lshrrev_b32_e32 v40, v41, v40
; %bb.5199:                             ;   in Loop: Header=BB6_4995 Depth=2
	s_and_not1_saveexec_b32 s7, s7
; %bb.5200:                             ;   in Loop: Header=BB6_4995 Depth=2
	s_delay_alu instid0(VALU_DEP_1)
	v_bfe_u32 v162, v40, 23, 1
; %bb.5201:                             ;   in Loop: Header=BB6_4995 Depth=2
	s_or_b32 exec_lo, exec_lo, s7
	v_lshrrev_b32_e32 v40, 21, v40
	s_delay_alu instid0(VALU_DEP_2) | instskip(SKIP_2) | instid1(VALU_DEP_2)
	v_cmp_gt_i32_e32 vcc_lo, 32, v162
	v_lshrrev_b32_e32 v183, 24, v183
	v_min_i32_e32 v41, 31, v162
	v_dual_cndmask_b32 v40, 3, v40 :: v_dual_and_b32 v183, 0x80, v183
	s_delay_alu instid0(VALU_DEP_1) | instskip(SKIP_1) | instid1(VALU_DEP_2)
	v_or_b32_e32 v162, v162, v40
	v_and_b32_e32 v42, 3, v40
	v_cmp_ne_u32_e32 vcc_lo, 0, v162
	v_lshlrev_b32_e32 v41, 2, v41
	s_delay_alu instid0(VALU_DEP_1) | instskip(NEXT) | instid1(VALU_DEP_1)
	v_or3_b32 v183, v41, v183, v42
	v_cndmask_b32_e32 v162, 0, v183, vcc_lo
.LBB6_5202:                             ;   in Loop: Header=BB6_4995 Depth=2
	s_or_b32 exec_lo, exec_lo, s24
.LBB6_5203:                             ;   in Loop: Header=BB6_4995 Depth=2
	s_delay_alu instid0(SALU_CYCLE_1) | instskip(SKIP_3) | instid1(VALU_DEP_1)
	s_or_b32 exec_lo, exec_lo, s23
	v_and_b32_e32 v40, 0xff, v182
	s_mov_b32 s7, 0
	s_mov_b32 s24, exec_lo
                                        ; implicit-def: $sgpr23
	v_cmpx_lt_i16_e32 0x7f, v40
	s_xor_b32 s24, exec_lo, s24
	s_cbranch_execnz .LBB6_5609
; %bb.5204:                             ;   in Loop: Header=BB6_4995 Depth=2
	s_or_saveexec_b32 s24, s24
	v_mov_b32_e32 v183, s23
	s_xor_b32 exec_lo, exec_lo, s24
	s_cbranch_execnz .LBB6_5612
.LBB6_5205:                             ;   in Loop: Header=BB6_4995 Depth=2
	s_or_b32 exec_lo, exec_lo, s24
	s_and_saveexec_b32 s23, s7
	s_cbranch_execz .LBB6_5207
.LBB6_5206:                             ;   in Loop: Header=BB6_4995 Depth=2
	v_lshrrev_b16 v42, 2, v182
	s_delay_alu instid0(VALU_DEP_1) | instskip(NEXT) | instid1(VALU_DEP_1)
	v_and_b32_e32 v42, 31, v42
	v_cmp_eq_u32_e32 vcc_lo, 0, v42
	v_and_b32_e32 v183, 3, v182
	s_delay_alu instid0(VALU_DEP_1) | instskip(NEXT) | instid1(VALU_DEP_1)
	v_clz_i32_u32_e32 v40, v183
	v_min_u32_e32 v40, 32, v40
	s_delay_alu instid0(VALU_DEP_1) | instskip(SKIP_1) | instid1(VALU_DEP_1)
	v_subrev_nc_u32_e32 v41, 29, v40
	v_sub_nc_u32_e32 v40, 30, v40
	v_dual_cndmask_b32 v40, v42, v40 :: v_dual_lshlrev_b32 v41, v41, v182
	v_lshlrev_b32_e32 v182, 24, v182
	s_delay_alu instid0(VALU_DEP_2) | instskip(NEXT) | instid1(VALU_DEP_3)
	v_and_b32_e32 v41, 3, v41
	v_lshl_add_u32 v40, v40, 23, 0x37800000
	s_delay_alu instid0(VALU_DEP_2) | instskip(NEXT) | instid1(VALU_DEP_1)
	v_dual_cndmask_b32 v183, v183, v41 :: v_dual_and_b32 v182, 0x80000000, v182
	v_lshlrev_b32_e32 v183, 21, v183
	s_delay_alu instid0(VALU_DEP_1)
	v_or3_b32 v183, v182, v40, v183
.LBB6_5207:                             ;   in Loop: Header=BB6_4995 Depth=2
	s_or_b32 exec_lo, exec_lo, s23
	s_waitcnt vmcnt(18) lgkmcnt(18)
	v_and_b32_e32 v40, 0xff, v165
	s_mov_b32 s7, 0
	s_mov_b32 s24, exec_lo
                                        ; implicit-def: $sgpr23
	s_delay_alu instid0(VALU_DEP_1)
	v_cmpx_lt_i16_e32 0x7f, v40
	s_xor_b32 s24, exec_lo, s24
	s_cbranch_execnz .LBB6_5613
; %bb.5208:                             ;   in Loop: Header=BB6_4995 Depth=2
	s_or_saveexec_b32 s24, s24
	v_mov_b32_e32 v182, s23
	s_xor_b32 exec_lo, exec_lo, s24
	s_cbranch_execnz .LBB6_5616
.LBB6_5209:                             ;   in Loop: Header=BB6_4995 Depth=2
	s_or_b32 exec_lo, exec_lo, s24
	s_and_saveexec_b32 s23, s7
	s_cbranch_execz .LBB6_5211
.LBB6_5210:                             ;   in Loop: Header=BB6_4995 Depth=2
	v_and_b32_e32 v182, 3, v165
	v_lshrrev_b16 v42, 2, v165
	s_delay_alu instid0(VALU_DEP_2) | instskip(NEXT) | instid1(VALU_DEP_2)
	v_clz_i32_u32_e32 v40, v182
	v_and_b32_e32 v42, 31, v42
	s_delay_alu instid0(VALU_DEP_2) | instskip(NEXT) | instid1(VALU_DEP_2)
	v_min_u32_e32 v40, 32, v40
	v_cmp_eq_u32_e32 vcc_lo, 0, v42
	s_delay_alu instid0(VALU_DEP_2) | instskip(SKIP_1) | instid1(VALU_DEP_1)
	v_subrev_nc_u32_e32 v41, 29, v40
	v_sub_nc_u32_e32 v40, 30, v40
	v_dual_cndmask_b32 v40, v42, v40 :: v_dual_lshlrev_b32 v41, v41, v165
	v_lshlrev_b32_e32 v165, 24, v165
	s_delay_alu instid0(VALU_DEP_2) | instskip(NEXT) | instid1(VALU_DEP_3)
	v_and_b32_e32 v41, 3, v41
	v_lshl_add_u32 v40, v40, 23, 0x37800000
	s_delay_alu instid0(VALU_DEP_3) | instskip(NEXT) | instid1(VALU_DEP_3)
	v_and_b32_e32 v165, 0x80000000, v165
	v_cndmask_b32_e32 v182, v182, v41, vcc_lo
	s_delay_alu instid0(VALU_DEP_1) | instskip(NEXT) | instid1(VALU_DEP_1)
	v_lshlrev_b32_e32 v182, 21, v182
	v_or3_b32 v182, v165, v40, v182
.LBB6_5211:                             ;   in Loop: Header=BB6_4995 Depth=2
	s_or_b32 exec_lo, exec_lo, s23
	s_delay_alu instid0(VALU_DEP_1) | instskip(NEXT) | instid1(VALU_DEP_1)
	v_mul_f32_e32 v182, v183, v182
	v_and_b32_e32 v165, 0x7f800000, v182
	s_delay_alu instid0(VALU_DEP_1)
	v_cmp_ne_u32_e32 vcc_lo, 0x7f800000, v165
	v_mov_b32_e32 v165, 0x80
	s_and_saveexec_b32 s23, vcc_lo
	s_cbranch_execz .LBB6_5219
; %bb.5212:                             ;   in Loop: Header=BB6_4995 Depth=2
	v_mov_b32_e32 v165, 0
	s_mov_b32 s24, exec_lo
	v_cmpx_ne_u32_e32 0, v182
	s_cbranch_execz .LBB6_5218
; %bb.5213:                             ;   in Loop: Header=BB6_4995 Depth=2
	v_bfe_u32 v165, v182, 23, 8
	s_delay_alu instid0(VALU_DEP_1) | instskip(SKIP_1) | instid1(VALU_DEP_2)
	v_sub_nc_u32_e32 v40, 0x70, v165
	v_cmp_gt_u32_e32 vcc_lo, 0x71, v165
	v_dual_cndmask_b32 v40, 0, v40 :: v_dual_and_b32 v183, 0x7fffff, v182
	s_delay_alu instid0(VALU_DEP_1) | instskip(SKIP_2) | instid1(VALU_DEP_4)
	v_or_b32_e32 v41, 0x800000, v183
	v_cmp_eq_u32_e32 vcc_lo, 0, v165
	v_add_nc_u32_e32 v165, 0xffffff91, v165
	v_cndmask_b32_e64 v40, v40, 0x6f, vcc_lo
	s_delay_alu instid0(VALU_DEP_2) | instskip(SKIP_1) | instid1(VALU_DEP_3)
	v_cndmask_b32_e64 v165, v165, 0xffffff92, vcc_lo
	v_cndmask_b32_e32 v183, v41, v183, vcc_lo
	v_lshl_add_u32 v41, 0x200000, v40, -1
	v_lshlrev_b32_e64 v44, v40, 0x100000
	s_delay_alu instid0(VALU_DEP_3) | instskip(SKIP_1) | instid1(VALU_DEP_4)
	v_lshrrev_b32_e32 v42, v40, v183
	v_add_nc_u32_e32 v40, v40, v165
	v_and_b32_e32 v183, v41, v183
	s_delay_alu instid0(VALU_DEP_3) | instskip(NEXT) | instid1(VALU_DEP_2)
	v_bfe_u32 v43, v42, 21, 1
	v_cmp_eq_u32_e64 s7, v183, v44
	s_delay_alu instid0(VALU_DEP_2) | instskip(NEXT) | instid1(VALU_DEP_1)
	v_add_nc_u32_e32 v41, -1, v43
	v_cndmask_b32_e64 v183, 0, v41, s7
	v_lshrrev_b32_e32 v41, 23, v42
	s_mov_b32 s7, exec_lo
	s_delay_alu instid0(VALU_DEP_2) | instskip(NEXT) | instid1(VALU_DEP_2)
	v_add_nc_u32_e32 v183, v183, v42
	v_xor_b32_e32 v41, 1, v41
	s_delay_alu instid0(VALU_DEP_2) | instskip(NEXT) | instid1(VALU_DEP_1)
	v_and_b32_e32 v165, 0x1fffff, v183
	v_add_nc_u32_e32 v183, v165, v42
                                        ; implicit-def: $vgpr165
	s_delay_alu instid0(VALU_DEP_3)
	v_cmpx_ne_u32_e64 v40, v41
	s_xor_b32 s7, exec_lo, s7
; %bb.5214:                             ;   in Loop: Header=BB6_4995 Depth=2
	s_delay_alu instid0(VALU_DEP_2) | instskip(SKIP_2) | instid1(VALU_DEP_2)
	v_cmp_lt_u32_e32 vcc_lo, 0xffffff, v183
	v_sub_nc_u32_e32 v165, v40, v41
	v_cndmask_b32_e64 v40, 0, 1, vcc_lo
	v_add_co_ci_u32_e32 v165, vcc_lo, 0, v165, vcc_lo
	s_delay_alu instid0(VALU_DEP_2)
	v_lshrrev_b32_e32 v183, v40, v183
; %bb.5215:                             ;   in Loop: Header=BB6_4995 Depth=2
	s_and_not1_saveexec_b32 s7, s7
; %bb.5216:                             ;   in Loop: Header=BB6_4995 Depth=2
	s_delay_alu instid0(VALU_DEP_1)
	v_bfe_u32 v165, v183, 23, 1
; %bb.5217:                             ;   in Loop: Header=BB6_4995 Depth=2
	s_or_b32 exec_lo, exec_lo, s7
	v_lshrrev_b32_e32 v183, 21, v183
	s_delay_alu instid0(VALU_DEP_2) | instskip(SKIP_2) | instid1(VALU_DEP_2)
	v_cmp_gt_i32_e32 vcc_lo, 32, v165
	v_lshrrev_b32_e32 v182, 24, v182
	v_min_i32_e32 v40, 31, v165
	v_dual_cndmask_b32 v183, 3, v183 :: v_dual_and_b32 v182, 0x80, v182
	s_delay_alu instid0(VALU_DEP_1) | instskip(SKIP_1) | instid1(VALU_DEP_2)
	v_or_b32_e32 v165, v165, v183
	v_and_b32_e32 v41, 3, v183
	v_cmp_ne_u32_e32 vcc_lo, 0, v165
	v_lshlrev_b32_e32 v40, 2, v40
	s_delay_alu instid0(VALU_DEP_1) | instskip(NEXT) | instid1(VALU_DEP_1)
	v_or3_b32 v182, v40, v182, v41
	v_cndmask_b32_e32 v165, 0, v182, vcc_lo
.LBB6_5218:                             ;   in Loop: Header=BB6_4995 Depth=2
	s_or_b32 exec_lo, exec_lo, s24
.LBB6_5219:                             ;   in Loop: Header=BB6_4995 Depth=2
	s_delay_alu instid0(SALU_CYCLE_1) | instskip(SKIP_3) | instid1(VALU_DEP_1)
	s_or_b32 exec_lo, exec_lo, s23
	v_and_b32_e32 v183, 0xff, v181
	s_mov_b32 s7, 0
	s_mov_b32 s24, exec_lo
                                        ; implicit-def: $sgpr23
	v_cmpx_lt_i16_e64 0x7f, v183
	s_xor_b32 s24, exec_lo, s24
	s_cbranch_execnz .LBB6_5617
; %bb.5220:                             ;   in Loop: Header=BB6_4995 Depth=2
	s_or_saveexec_b32 s24, s24
	v_mov_b32_e32 v182, s23
	s_xor_b32 exec_lo, exec_lo, s24
	s_cbranch_execnz .LBB6_5620
.LBB6_5221:                             ;   in Loop: Header=BB6_4995 Depth=2
	s_or_b32 exec_lo, exec_lo, s24
	s_and_saveexec_b32 s23, s7
	s_cbranch_execz .LBB6_5223
.LBB6_5222:                             ;   in Loop: Header=BB6_4995 Depth=2
	v_lshrrev_b16 v41, 2, v181
	s_delay_alu instid0(VALU_DEP_1) | instskip(NEXT) | instid1(VALU_DEP_1)
	v_and_b32_e32 v41, 31, v41
	v_cmp_eq_u32_e32 vcc_lo, 0, v41
	v_and_b32_e32 v182, 3, v181
	s_delay_alu instid0(VALU_DEP_1) | instskip(NEXT) | instid1(VALU_DEP_1)
	v_clz_i32_u32_e32 v183, v182
	v_min_u32_e32 v183, 32, v183
	s_delay_alu instid0(VALU_DEP_1) | instskip(SKIP_1) | instid1(VALU_DEP_1)
	v_subrev_nc_u32_e32 v40, 29, v183
	v_sub_nc_u32_e32 v183, 30, v183
	v_dual_cndmask_b32 v183, v41, v183 :: v_dual_lshlrev_b32 v40, v40, v181
	v_lshlrev_b32_e32 v181, 24, v181
	s_delay_alu instid0(VALU_DEP_2) | instskip(NEXT) | instid1(VALU_DEP_3)
	v_and_b32_e32 v40, 3, v40
	v_lshl_add_u32 v183, v183, 23, 0x37800000
	s_delay_alu instid0(VALU_DEP_2) | instskip(NEXT) | instid1(VALU_DEP_1)
	v_dual_cndmask_b32 v182, v182, v40 :: v_dual_and_b32 v181, 0x80000000, v181
	v_lshlrev_b32_e32 v182, 21, v182
	s_delay_alu instid0(VALU_DEP_1)
	v_or3_b32 v182, v181, v183, v182
.LBB6_5223:                             ;   in Loop: Header=BB6_4995 Depth=2
	s_or_b32 exec_lo, exec_lo, s23
	s_waitcnt vmcnt(17) lgkmcnt(17)
	v_and_b32_e32 v183, 0xff, v176
	s_mov_b32 s7, 0
	s_mov_b32 s24, exec_lo
                                        ; implicit-def: $sgpr23
	s_delay_alu instid0(VALU_DEP_1)
	v_cmpx_lt_i16_e64 0x7f, v183
	s_xor_b32 s24, exec_lo, s24
	s_cbranch_execnz .LBB6_5621
; %bb.5224:                             ;   in Loop: Header=BB6_4995 Depth=2
	s_or_saveexec_b32 s24, s24
	v_mov_b32_e32 v181, s23
	s_xor_b32 exec_lo, exec_lo, s24
	s_cbranch_execnz .LBB6_5624
.LBB6_5225:                             ;   in Loop: Header=BB6_4995 Depth=2
	s_or_b32 exec_lo, exec_lo, s24
	s_and_saveexec_b32 s23, s7
	s_cbranch_execz .LBB6_5227
.LBB6_5226:                             ;   in Loop: Header=BB6_4995 Depth=2
	v_and_b32_e32 v181, 3, v176
	v_lshrrev_b16 v41, 2, v176
	s_delay_alu instid0(VALU_DEP_2) | instskip(NEXT) | instid1(VALU_DEP_2)
	v_clz_i32_u32_e32 v183, v181
	v_and_b32_e32 v41, 31, v41
	s_delay_alu instid0(VALU_DEP_2) | instskip(NEXT) | instid1(VALU_DEP_2)
	v_min_u32_e32 v183, 32, v183
	v_cmp_eq_u32_e32 vcc_lo, 0, v41
	s_delay_alu instid0(VALU_DEP_2) | instskip(SKIP_1) | instid1(VALU_DEP_1)
	v_subrev_nc_u32_e32 v40, 29, v183
	v_sub_nc_u32_e32 v183, 30, v183
	v_dual_cndmask_b32 v183, v41, v183 :: v_dual_lshlrev_b32 v40, v40, v176
	v_lshlrev_b32_e32 v176, 24, v176
	s_delay_alu instid0(VALU_DEP_2) | instskip(NEXT) | instid1(VALU_DEP_3)
	v_and_b32_e32 v40, 3, v40
	v_lshl_add_u32 v183, v183, 23, 0x37800000
	s_delay_alu instid0(VALU_DEP_3) | instskip(NEXT) | instid1(VALU_DEP_3)
	v_and_b32_e32 v176, 0x80000000, v176
	v_cndmask_b32_e32 v181, v181, v40, vcc_lo
	s_delay_alu instid0(VALU_DEP_1) | instskip(NEXT) | instid1(VALU_DEP_1)
	v_lshlrev_b32_e32 v181, 21, v181
	v_or3_b32 v181, v176, v183, v181
.LBB6_5227:                             ;   in Loop: Header=BB6_4995 Depth=2
	s_or_b32 exec_lo, exec_lo, s23
	s_delay_alu instid0(VALU_DEP_1) | instskip(NEXT) | instid1(VALU_DEP_1)
	v_mul_f32_e32 v181, v182, v181
	v_and_b32_e32 v176, 0x7f800000, v181
	s_delay_alu instid0(VALU_DEP_1)
	v_cmp_ne_u32_e32 vcc_lo, 0x7f800000, v176
	v_mov_b32_e32 v176, 0x80
	s_and_saveexec_b32 s23, vcc_lo
	s_cbranch_execz .LBB6_5235
; %bb.5228:                             ;   in Loop: Header=BB6_4995 Depth=2
	v_mov_b32_e32 v176, 0
	s_mov_b32 s24, exec_lo
	v_cmpx_ne_u32_e32 0, v181
	s_cbranch_execz .LBB6_5234
; %bb.5229:                             ;   in Loop: Header=BB6_4995 Depth=2
	v_bfe_u32 v176, v181, 23, 8
	s_delay_alu instid0(VALU_DEP_1) | instskip(SKIP_1) | instid1(VALU_DEP_2)
	v_sub_nc_u32_e32 v183, 0x70, v176
	v_cmp_gt_u32_e32 vcc_lo, 0x71, v176
	v_dual_cndmask_b32 v183, 0, v183 :: v_dual_and_b32 v182, 0x7fffff, v181
	s_delay_alu instid0(VALU_DEP_1) | instskip(SKIP_2) | instid1(VALU_DEP_4)
	v_or_b32_e32 v40, 0x800000, v182
	v_cmp_eq_u32_e32 vcc_lo, 0, v176
	v_add_nc_u32_e32 v176, 0xffffff91, v176
	v_cndmask_b32_e64 v183, v183, 0x6f, vcc_lo
	s_delay_alu instid0(VALU_DEP_2) | instskip(SKIP_1) | instid1(VALU_DEP_3)
	v_cndmask_b32_e64 v176, v176, 0xffffff92, vcc_lo
	v_cndmask_b32_e32 v182, v40, v182, vcc_lo
	v_lshl_add_u32 v40, 0x200000, v183, -1
	v_lshlrev_b32_e64 v43, v183, 0x100000
	s_delay_alu instid0(VALU_DEP_3) | instskip(SKIP_1) | instid1(VALU_DEP_4)
	v_lshrrev_b32_e32 v41, v183, v182
	v_add_nc_u32_e32 v183, v183, v176
	v_and_b32_e32 v182, v40, v182
	s_delay_alu instid0(VALU_DEP_3) | instskip(NEXT) | instid1(VALU_DEP_2)
	v_bfe_u32 v42, v41, 21, 1
	v_cmp_eq_u32_e64 s7, v182, v43
	s_delay_alu instid0(VALU_DEP_2) | instskip(NEXT) | instid1(VALU_DEP_1)
	v_add_nc_u32_e32 v40, -1, v42
	v_cndmask_b32_e64 v182, 0, v40, s7
	v_lshrrev_b32_e32 v40, 23, v41
	s_mov_b32 s7, exec_lo
	s_delay_alu instid0(VALU_DEP_2) | instskip(NEXT) | instid1(VALU_DEP_2)
	v_add_nc_u32_e32 v182, v182, v41
	v_xor_b32_e32 v40, 1, v40
	s_delay_alu instid0(VALU_DEP_2) | instskip(NEXT) | instid1(VALU_DEP_1)
	v_and_b32_e32 v176, 0x1fffff, v182
	v_add_nc_u32_e32 v182, v176, v41
                                        ; implicit-def: $vgpr176
	s_delay_alu instid0(VALU_DEP_3)
	v_cmpx_ne_u32_e64 v183, v40
	s_xor_b32 s7, exec_lo, s7
; %bb.5230:                             ;   in Loop: Header=BB6_4995 Depth=2
	s_delay_alu instid0(VALU_DEP_2) | instskip(SKIP_2) | instid1(VALU_DEP_2)
	v_cmp_lt_u32_e32 vcc_lo, 0xffffff, v182
	v_sub_nc_u32_e32 v176, v183, v40
	v_cndmask_b32_e64 v183, 0, 1, vcc_lo
	v_add_co_ci_u32_e32 v176, vcc_lo, 0, v176, vcc_lo
	s_delay_alu instid0(VALU_DEP_2)
	v_lshrrev_b32_e32 v182, v183, v182
; %bb.5231:                             ;   in Loop: Header=BB6_4995 Depth=2
	s_and_not1_saveexec_b32 s7, s7
; %bb.5232:                             ;   in Loop: Header=BB6_4995 Depth=2
	s_delay_alu instid0(VALU_DEP_1)
	v_bfe_u32 v176, v182, 23, 1
; %bb.5233:                             ;   in Loop: Header=BB6_4995 Depth=2
	s_or_b32 exec_lo, exec_lo, s7
	v_lshrrev_b32_e32 v182, 21, v182
	s_delay_alu instid0(VALU_DEP_2) | instskip(SKIP_2) | instid1(VALU_DEP_2)
	v_cmp_gt_i32_e32 vcc_lo, 32, v176
	v_lshrrev_b32_e32 v181, 24, v181
	v_min_i32_e32 v183, 31, v176
	v_dual_cndmask_b32 v182, 3, v182 :: v_dual_and_b32 v181, 0x80, v181
	s_delay_alu instid0(VALU_DEP_1) | instskip(SKIP_1) | instid1(VALU_DEP_2)
	v_or_b32_e32 v176, v176, v182
	v_and_b32_e32 v40, 3, v182
	v_cmp_ne_u32_e32 vcc_lo, 0, v176
	v_lshlrev_b32_e32 v183, 2, v183
	s_delay_alu instid0(VALU_DEP_1) | instskip(NEXT) | instid1(VALU_DEP_1)
	v_or3_b32 v181, v183, v181, v40
	v_cndmask_b32_e32 v176, 0, v181, vcc_lo
.LBB6_5234:                             ;   in Loop: Header=BB6_4995 Depth=2
	s_or_b32 exec_lo, exec_lo, s24
.LBB6_5235:                             ;   in Loop: Header=BB6_4995 Depth=2
	s_delay_alu instid0(SALU_CYCLE_1) | instskip(SKIP_3) | instid1(VALU_DEP_1)
	s_or_b32 exec_lo, exec_lo, s23
	v_and_b32_e32 v182, 0xff, v180
	s_mov_b32 s7, 0
	s_mov_b32 s24, exec_lo
                                        ; implicit-def: $sgpr23
	v_cmpx_lt_i16_e64 0x7f, v182
	s_xor_b32 s24, exec_lo, s24
	s_cbranch_execnz .LBB6_5625
; %bb.5236:                             ;   in Loop: Header=BB6_4995 Depth=2
	s_or_saveexec_b32 s24, s24
	v_mov_b32_e32 v181, s23
	s_xor_b32 exec_lo, exec_lo, s24
	s_cbranch_execnz .LBB6_5628
.LBB6_5237:                             ;   in Loop: Header=BB6_4995 Depth=2
	s_or_b32 exec_lo, exec_lo, s24
	s_and_saveexec_b32 s23, s7
	s_cbranch_execz .LBB6_5239
.LBB6_5238:                             ;   in Loop: Header=BB6_4995 Depth=2
	v_lshrrev_b16 v40, 2, v180
	s_delay_alu instid0(VALU_DEP_1) | instskip(NEXT) | instid1(VALU_DEP_1)
	v_and_b32_e32 v40, 31, v40
	v_cmp_eq_u32_e32 vcc_lo, 0, v40
	v_and_b32_e32 v181, 3, v180
	s_delay_alu instid0(VALU_DEP_1) | instskip(NEXT) | instid1(VALU_DEP_1)
	v_clz_i32_u32_e32 v182, v181
	v_min_u32_e32 v182, 32, v182
	s_delay_alu instid0(VALU_DEP_1) | instskip(SKIP_1) | instid1(VALU_DEP_1)
	v_subrev_nc_u32_e32 v183, 29, v182
	v_sub_nc_u32_e32 v182, 30, v182
	v_dual_cndmask_b32 v182, v40, v182 :: v_dual_lshlrev_b32 v183, v183, v180
	v_lshlrev_b32_e32 v180, 24, v180
	s_delay_alu instid0(VALU_DEP_2) | instskip(NEXT) | instid1(VALU_DEP_3)
	v_and_b32_e32 v183, 3, v183
	v_lshl_add_u32 v182, v182, 23, 0x37800000
	s_delay_alu instid0(VALU_DEP_2) | instskip(NEXT) | instid1(VALU_DEP_1)
	v_dual_cndmask_b32 v181, v181, v183 :: v_dual_and_b32 v180, 0x80000000, v180
	v_lshlrev_b32_e32 v181, 21, v181
	s_delay_alu instid0(VALU_DEP_1)
	v_or3_b32 v181, v180, v182, v181
.LBB6_5239:                             ;   in Loop: Header=BB6_4995 Depth=2
	s_or_b32 exec_lo, exec_lo, s23
	s_waitcnt vmcnt(16) lgkmcnt(16)
	v_and_b32_e32 v182, 0xff, v179
	s_mov_b32 s7, 0
	s_mov_b32 s24, exec_lo
                                        ; implicit-def: $sgpr23
	s_delay_alu instid0(VALU_DEP_1)
	v_cmpx_lt_i16_e64 0x7f, v182
	s_xor_b32 s24, exec_lo, s24
	s_cbranch_execnz .LBB6_5629
; %bb.5240:                             ;   in Loop: Header=BB6_4995 Depth=2
	s_or_saveexec_b32 s24, s24
	v_mov_b32_e32 v180, s23
	s_xor_b32 exec_lo, exec_lo, s24
	s_cbranch_execnz .LBB6_5632
.LBB6_5241:                             ;   in Loop: Header=BB6_4995 Depth=2
	s_or_b32 exec_lo, exec_lo, s24
	s_and_saveexec_b32 s23, s7
	s_cbranch_execz .LBB6_5243
.LBB6_5242:                             ;   in Loop: Header=BB6_4995 Depth=2
	v_and_b32_e32 v180, 3, v179
	v_lshrrev_b16 v40, 2, v179
	s_delay_alu instid0(VALU_DEP_2) | instskip(NEXT) | instid1(VALU_DEP_2)
	v_clz_i32_u32_e32 v182, v180
	v_and_b32_e32 v40, 31, v40
	s_delay_alu instid0(VALU_DEP_2) | instskip(NEXT) | instid1(VALU_DEP_2)
	v_min_u32_e32 v182, 32, v182
	v_cmp_eq_u32_e32 vcc_lo, 0, v40
	s_delay_alu instid0(VALU_DEP_2) | instskip(SKIP_1) | instid1(VALU_DEP_1)
	v_subrev_nc_u32_e32 v183, 29, v182
	v_sub_nc_u32_e32 v182, 30, v182
	v_dual_cndmask_b32 v182, v40, v182 :: v_dual_lshlrev_b32 v183, v183, v179
	v_lshlrev_b32_e32 v179, 24, v179
	s_delay_alu instid0(VALU_DEP_2) | instskip(NEXT) | instid1(VALU_DEP_3)
	v_and_b32_e32 v183, 3, v183
	v_lshl_add_u32 v182, v182, 23, 0x37800000
	s_delay_alu instid0(VALU_DEP_3) | instskip(NEXT) | instid1(VALU_DEP_3)
	v_and_b32_e32 v179, 0x80000000, v179
	v_cndmask_b32_e32 v180, v180, v183, vcc_lo
	s_delay_alu instid0(VALU_DEP_1) | instskip(NEXT) | instid1(VALU_DEP_1)
	v_lshlrev_b32_e32 v180, 21, v180
	v_or3_b32 v180, v179, v182, v180
.LBB6_5243:                             ;   in Loop: Header=BB6_4995 Depth=2
	s_or_b32 exec_lo, exec_lo, s23
	s_delay_alu instid0(VALU_DEP_1) | instskip(NEXT) | instid1(VALU_DEP_1)
	v_mul_f32_e32 v180, v181, v180
	v_and_b32_e32 v179, 0x7f800000, v180
	s_delay_alu instid0(VALU_DEP_1)
	v_cmp_ne_u32_e32 vcc_lo, 0x7f800000, v179
	v_mov_b32_e32 v179, 0x80
	s_and_saveexec_b32 s23, vcc_lo
	s_cbranch_execz .LBB6_5251
; %bb.5244:                             ;   in Loop: Header=BB6_4995 Depth=2
	v_mov_b32_e32 v179, 0
	s_mov_b32 s24, exec_lo
	v_cmpx_ne_u32_e32 0, v180
	s_cbranch_execz .LBB6_5250
; %bb.5245:                             ;   in Loop: Header=BB6_4995 Depth=2
	v_bfe_u32 v179, v180, 23, 8
	s_delay_alu instid0(VALU_DEP_1) | instskip(SKIP_1) | instid1(VALU_DEP_2)
	v_sub_nc_u32_e32 v182, 0x70, v179
	v_cmp_gt_u32_e32 vcc_lo, 0x71, v179
	v_dual_cndmask_b32 v182, 0, v182 :: v_dual_and_b32 v181, 0x7fffff, v180
	s_delay_alu instid0(VALU_DEP_1) | instskip(SKIP_2) | instid1(VALU_DEP_4)
	v_or_b32_e32 v183, 0x800000, v181
	v_cmp_eq_u32_e32 vcc_lo, 0, v179
	v_add_nc_u32_e32 v179, 0xffffff91, v179
	v_cndmask_b32_e64 v182, v182, 0x6f, vcc_lo
	s_delay_alu instid0(VALU_DEP_2) | instskip(SKIP_1) | instid1(VALU_DEP_3)
	v_cndmask_b32_e64 v179, v179, 0xffffff92, vcc_lo
	v_cndmask_b32_e32 v181, v183, v181, vcc_lo
	v_lshl_add_u32 v183, 0x200000, v182, -1
	v_lshlrev_b32_e64 v42, v182, 0x100000
	s_delay_alu instid0(VALU_DEP_3) | instskip(SKIP_1) | instid1(VALU_DEP_4)
	v_lshrrev_b32_e32 v40, v182, v181
	v_add_nc_u32_e32 v182, v182, v179
	v_and_b32_e32 v181, v183, v181
	s_delay_alu instid0(VALU_DEP_3) | instskip(NEXT) | instid1(VALU_DEP_2)
	v_bfe_u32 v41, v40, 21, 1
	v_cmp_eq_u32_e64 s7, v181, v42
	s_delay_alu instid0(VALU_DEP_2) | instskip(NEXT) | instid1(VALU_DEP_1)
	v_add_nc_u32_e32 v183, -1, v41
	v_cndmask_b32_e64 v181, 0, v183, s7
	v_lshrrev_b32_e32 v183, 23, v40
	s_mov_b32 s7, exec_lo
	s_delay_alu instid0(VALU_DEP_2) | instskip(NEXT) | instid1(VALU_DEP_2)
	v_add_nc_u32_e32 v181, v181, v40
	v_xor_b32_e32 v183, 1, v183
	s_delay_alu instid0(VALU_DEP_2) | instskip(NEXT) | instid1(VALU_DEP_1)
	v_and_b32_e32 v179, 0x1fffff, v181
	v_add_nc_u32_e32 v181, v179, v40
                                        ; implicit-def: $vgpr179
	s_delay_alu instid0(VALU_DEP_3)
	v_cmpx_ne_u32_e64 v182, v183
	s_xor_b32 s7, exec_lo, s7
; %bb.5246:                             ;   in Loop: Header=BB6_4995 Depth=2
	s_delay_alu instid0(VALU_DEP_2) | instskip(SKIP_2) | instid1(VALU_DEP_2)
	v_cmp_lt_u32_e32 vcc_lo, 0xffffff, v181
	v_sub_nc_u32_e32 v179, v182, v183
	v_cndmask_b32_e64 v182, 0, 1, vcc_lo
	v_add_co_ci_u32_e32 v179, vcc_lo, 0, v179, vcc_lo
	s_delay_alu instid0(VALU_DEP_2)
	v_lshrrev_b32_e32 v181, v182, v181
; %bb.5247:                             ;   in Loop: Header=BB6_4995 Depth=2
	s_and_not1_saveexec_b32 s7, s7
; %bb.5248:                             ;   in Loop: Header=BB6_4995 Depth=2
	s_delay_alu instid0(VALU_DEP_1)
	v_bfe_u32 v179, v181, 23, 1
; %bb.5249:                             ;   in Loop: Header=BB6_4995 Depth=2
	s_or_b32 exec_lo, exec_lo, s7
	v_lshrrev_b32_e32 v181, 21, v181
	s_delay_alu instid0(VALU_DEP_2) | instskip(SKIP_2) | instid1(VALU_DEP_2)
	v_cmp_gt_i32_e32 vcc_lo, 32, v179
	v_lshrrev_b32_e32 v180, 24, v180
	v_min_i32_e32 v182, 31, v179
	v_dual_cndmask_b32 v181, 3, v181 :: v_dual_and_b32 v180, 0x80, v180
	s_delay_alu instid0(VALU_DEP_1) | instskip(SKIP_1) | instid1(VALU_DEP_2)
	v_or_b32_e32 v179, v179, v181
	v_and_b32_e32 v183, 3, v181
	v_cmp_ne_u32_e32 vcc_lo, 0, v179
	v_lshlrev_b32_e32 v182, 2, v182
	s_delay_alu instid0(VALU_DEP_1) | instskip(NEXT) | instid1(VALU_DEP_1)
	v_or3_b32 v180, v182, v180, v183
	v_cndmask_b32_e32 v179, 0, v180, vcc_lo
.LBB6_5250:                             ;   in Loop: Header=BB6_4995 Depth=2
	s_or_b32 exec_lo, exec_lo, s24
.LBB6_5251:                             ;   in Loop: Header=BB6_4995 Depth=2
	s_delay_alu instid0(SALU_CYCLE_1) | instskip(SKIP_3) | instid1(VALU_DEP_1)
	s_or_b32 exec_lo, exec_lo, s23
	v_and_b32_e32 v181, 0xff, v178
	s_mov_b32 s7, 0
	s_mov_b32 s24, exec_lo
                                        ; implicit-def: $sgpr23
	v_cmpx_lt_i16_e64 0x7f, v181
	s_xor_b32 s24, exec_lo, s24
	s_cbranch_execnz .LBB6_5633
; %bb.5252:                             ;   in Loop: Header=BB6_4995 Depth=2
	s_or_saveexec_b32 s24, s24
	v_mov_b32_e32 v180, s23
	s_xor_b32 exec_lo, exec_lo, s24
	s_cbranch_execnz .LBB6_5636
.LBB6_5253:                             ;   in Loop: Header=BB6_4995 Depth=2
	s_or_b32 exec_lo, exec_lo, s24
	s_and_saveexec_b32 s23, s7
	s_cbranch_execz .LBB6_5255
.LBB6_5254:                             ;   in Loop: Header=BB6_4995 Depth=2
	v_lshrrev_b16 v183, 2, v178
	s_delay_alu instid0(VALU_DEP_1) | instskip(NEXT) | instid1(VALU_DEP_1)
	v_and_b32_e32 v183, 31, v183
	v_cmp_eq_u32_e32 vcc_lo, 0, v183
	v_and_b32_e32 v180, 3, v178
	s_delay_alu instid0(VALU_DEP_1) | instskip(NEXT) | instid1(VALU_DEP_1)
	v_clz_i32_u32_e32 v181, v180
	v_min_u32_e32 v181, 32, v181
	s_delay_alu instid0(VALU_DEP_1) | instskip(SKIP_1) | instid1(VALU_DEP_1)
	v_subrev_nc_u32_e32 v182, 29, v181
	v_sub_nc_u32_e32 v181, 30, v181
	v_dual_cndmask_b32 v181, v183, v181 :: v_dual_lshlrev_b32 v182, v182, v178
	v_lshlrev_b32_e32 v178, 24, v178
	s_delay_alu instid0(VALU_DEP_2) | instskip(NEXT) | instid1(VALU_DEP_3)
	v_and_b32_e32 v182, 3, v182
	v_lshl_add_u32 v181, v181, 23, 0x37800000
	s_delay_alu instid0(VALU_DEP_3) | instskip(NEXT) | instid1(VALU_DEP_3)
	v_and_b32_e32 v178, 0x80000000, v178
	v_cndmask_b32_e32 v180, v180, v182, vcc_lo
	s_delay_alu instid0(VALU_DEP_1) | instskip(NEXT) | instid1(VALU_DEP_1)
	v_lshlrev_b32_e32 v180, 21, v180
	v_or3_b32 v180, v178, v181, v180
.LBB6_5255:                             ;   in Loop: Header=BB6_4995 Depth=2
	s_or_b32 exec_lo, exec_lo, s23
	s_waitcnt vmcnt(15) lgkmcnt(15)
	v_and_b32_e32 v181, 0xff, v177
	s_mov_b32 s7, 0
	s_mov_b32 s24, exec_lo
                                        ; implicit-def: $sgpr23
	s_delay_alu instid0(VALU_DEP_1)
	v_cmpx_lt_i16_e64 0x7f, v181
	s_xor_b32 s24, exec_lo, s24
	s_cbranch_execnz .LBB6_5637
; %bb.5256:                             ;   in Loop: Header=BB6_4995 Depth=2
	s_or_saveexec_b32 s24, s24
	v_mov_b32_e32 v178, s23
	s_xor_b32 exec_lo, exec_lo, s24
	s_cbranch_execnz .LBB6_5640
.LBB6_5257:                             ;   in Loop: Header=BB6_4995 Depth=2
	s_or_b32 exec_lo, exec_lo, s24
	s_and_saveexec_b32 s23, s7
	s_cbranch_execz .LBB6_5259
.LBB6_5258:                             ;   in Loop: Header=BB6_4995 Depth=2
	v_and_b32_e32 v178, 3, v177
	v_lshrrev_b16 v183, 2, v177
	s_delay_alu instid0(VALU_DEP_2) | instskip(NEXT) | instid1(VALU_DEP_1)
	v_clz_i32_u32_e32 v181, v178
	v_min_u32_e32 v181, 32, v181
	s_delay_alu instid0(VALU_DEP_1) | instskip(SKIP_1) | instid1(VALU_DEP_2)
	v_subrev_nc_u32_e32 v182, 29, v181
	v_sub_nc_u32_e32 v181, 30, v181
	v_lshlrev_b32_e32 v182, v182, v177
	v_lshlrev_b32_e32 v177, 24, v177
	s_delay_alu instid0(VALU_DEP_2) | instskip(SKIP_1) | instid1(VALU_DEP_3)
	v_and_b32_e32 v182, 3, v182
	v_and_b32_e32 v183, 31, v183
	;; [unrolled: 1-line block ×3, first 2 shown]
	s_delay_alu instid0(VALU_DEP_2) | instskip(NEXT) | instid1(VALU_DEP_4)
	v_cmp_eq_u32_e32 vcc_lo, 0, v183
	v_dual_cndmask_b32 v178, v178, v182 :: v_dual_cndmask_b32 v181, v183, v181
	s_delay_alu instid0(VALU_DEP_1) | instskip(NEXT) | instid1(VALU_DEP_2)
	v_lshlrev_b32_e32 v178, 21, v178
	v_lshl_add_u32 v181, v181, 23, 0x37800000
	s_delay_alu instid0(VALU_DEP_1)
	v_or3_b32 v178, v177, v181, v178
.LBB6_5259:                             ;   in Loop: Header=BB6_4995 Depth=2
	s_or_b32 exec_lo, exec_lo, s23
	s_delay_alu instid0(VALU_DEP_1) | instskip(NEXT) | instid1(VALU_DEP_1)
	v_mul_f32_e32 v178, v180, v178
	v_and_b32_e32 v177, 0x7f800000, v178
	s_delay_alu instid0(VALU_DEP_1)
	v_cmp_ne_u32_e32 vcc_lo, 0x7f800000, v177
	v_mov_b32_e32 v177, 0x80
	s_and_saveexec_b32 s23, vcc_lo
	s_cbranch_execz .LBB6_5267
; %bb.5260:                             ;   in Loop: Header=BB6_4995 Depth=2
	v_mov_b32_e32 v177, 0
	s_mov_b32 s24, exec_lo
	v_cmpx_ne_u32_e32 0, v178
	s_cbranch_execz .LBB6_5266
; %bb.5261:                             ;   in Loop: Header=BB6_4995 Depth=2
	v_bfe_u32 v177, v178, 23, 8
	s_delay_alu instid0(VALU_DEP_1) | instskip(SKIP_1) | instid1(VALU_DEP_2)
	v_sub_nc_u32_e32 v181, 0x70, v177
	v_cmp_gt_u32_e32 vcc_lo, 0x71, v177
	v_dual_cndmask_b32 v181, 0, v181 :: v_dual_and_b32 v180, 0x7fffff, v178
	s_delay_alu instid0(VALU_DEP_1) | instskip(SKIP_2) | instid1(VALU_DEP_4)
	v_or_b32_e32 v182, 0x800000, v180
	v_cmp_eq_u32_e32 vcc_lo, 0, v177
	v_add_nc_u32_e32 v177, 0xffffff91, v177
	v_cndmask_b32_e64 v181, v181, 0x6f, vcc_lo
	s_delay_alu instid0(VALU_DEP_4) | instskip(NEXT) | instid1(VALU_DEP_3)
	v_cndmask_b32_e32 v180, v182, v180, vcc_lo
	v_cndmask_b32_e64 v177, v177, 0xffffff92, vcc_lo
	s_delay_alu instid0(VALU_DEP_3) | instskip(NEXT) | instid1(VALU_DEP_3)
	v_lshl_add_u32 v182, 0x200000, v181, -1
	v_lshrrev_b32_e32 v183, v181, v180
	v_lshlrev_b32_e64 v41, v181, 0x100000
	s_delay_alu instid0(VALU_DEP_4) | instskip(NEXT) | instid1(VALU_DEP_4)
	v_add_nc_u32_e32 v181, v181, v177
	v_and_b32_e32 v180, v182, v180
	s_delay_alu instid0(VALU_DEP_4) | instskip(NEXT) | instid1(VALU_DEP_2)
	v_bfe_u32 v40, v183, 21, 1
	v_cmp_eq_u32_e64 s7, v180, v41
	s_delay_alu instid0(VALU_DEP_2) | instskip(NEXT) | instid1(VALU_DEP_1)
	v_add_nc_u32_e32 v182, -1, v40
	v_cndmask_b32_e64 v180, 0, v182, s7
	v_lshrrev_b32_e32 v182, 23, v183
	s_mov_b32 s7, exec_lo
	s_delay_alu instid0(VALU_DEP_2) | instskip(NEXT) | instid1(VALU_DEP_2)
	v_add_nc_u32_e32 v180, v180, v183
	v_xor_b32_e32 v182, 1, v182
	s_delay_alu instid0(VALU_DEP_2) | instskip(NEXT) | instid1(VALU_DEP_1)
	v_and_b32_e32 v177, 0x1fffff, v180
	v_add_nc_u32_e32 v180, v177, v183
                                        ; implicit-def: $vgpr177
	s_delay_alu instid0(VALU_DEP_3)
	v_cmpx_ne_u32_e64 v181, v182
	s_xor_b32 s7, exec_lo, s7
; %bb.5262:                             ;   in Loop: Header=BB6_4995 Depth=2
	s_delay_alu instid0(VALU_DEP_2) | instskip(SKIP_2) | instid1(VALU_DEP_2)
	v_cmp_lt_u32_e32 vcc_lo, 0xffffff, v180
	v_sub_nc_u32_e32 v177, v181, v182
	v_cndmask_b32_e64 v181, 0, 1, vcc_lo
	v_add_co_ci_u32_e32 v177, vcc_lo, 0, v177, vcc_lo
	s_delay_alu instid0(VALU_DEP_2)
	v_lshrrev_b32_e32 v180, v181, v180
; %bb.5263:                             ;   in Loop: Header=BB6_4995 Depth=2
	s_and_not1_saveexec_b32 s7, s7
; %bb.5264:                             ;   in Loop: Header=BB6_4995 Depth=2
	s_delay_alu instid0(VALU_DEP_1)
	v_bfe_u32 v177, v180, 23, 1
; %bb.5265:                             ;   in Loop: Header=BB6_4995 Depth=2
	s_or_b32 exec_lo, exec_lo, s7
	v_lshrrev_b32_e32 v180, 21, v180
	s_delay_alu instid0(VALU_DEP_2) | instskip(SKIP_2) | instid1(VALU_DEP_2)
	v_cmp_gt_i32_e32 vcc_lo, 32, v177
	v_min_i32_e32 v181, 31, v177
	v_lshrrev_b32_e32 v178, 24, v178
	v_dual_cndmask_b32 v180, 3, v180 :: v_dual_lshlrev_b32 v181, 2, v181
	s_delay_alu instid0(VALU_DEP_2) | instskip(NEXT) | instid1(VALU_DEP_2)
	v_and_b32_e32 v178, 0x80, v178
	v_or_b32_e32 v177, v177, v180
	s_delay_alu instid0(VALU_DEP_1) | instskip(SKIP_1) | instid1(VALU_DEP_1)
	v_cmp_ne_u32_e32 vcc_lo, 0, v177
	v_and_b32_e32 v182, 3, v180
	v_or3_b32 v178, v181, v178, v182
	s_delay_alu instid0(VALU_DEP_1)
	v_cndmask_b32_e32 v177, 0, v178, vcc_lo
.LBB6_5266:                             ;   in Loop: Header=BB6_4995 Depth=2
	s_or_b32 exec_lo, exec_lo, s24
.LBB6_5267:                             ;   in Loop: Header=BB6_4995 Depth=2
	s_delay_alu instid0(SALU_CYCLE_1) | instskip(SKIP_3) | instid1(VALU_DEP_1)
	s_or_b32 exec_lo, exec_lo, s23
	v_and_b32_e32 v180, 0xff, v167
	s_mov_b32 s7, 0
	s_mov_b32 s24, exec_lo
                                        ; implicit-def: $sgpr23
	v_cmpx_lt_i16_e64 0x7f, v180
	s_xor_b32 s24, exec_lo, s24
	s_cbranch_execnz .LBB6_5641
; %bb.5268:                             ;   in Loop: Header=BB6_4995 Depth=2
	s_or_saveexec_b32 s24, s24
	v_mov_b32_e32 v178, s23
	s_xor_b32 exec_lo, exec_lo, s24
	s_cbranch_execnz .LBB6_5644
.LBB6_5269:                             ;   in Loop: Header=BB6_4995 Depth=2
	s_or_b32 exec_lo, exec_lo, s24
	s_and_saveexec_b32 s23, s7
	s_cbranch_execz .LBB6_5271
.LBB6_5270:                             ;   in Loop: Header=BB6_4995 Depth=2
	v_and_b32_e32 v178, 3, v167
	v_lshrrev_b16 v182, 2, v167
	s_delay_alu instid0(VALU_DEP_2) | instskip(NEXT) | instid1(VALU_DEP_2)
	v_clz_i32_u32_e32 v180, v178
	v_and_b32_e32 v182, 31, v182
	s_delay_alu instid0(VALU_DEP_2) | instskip(NEXT) | instid1(VALU_DEP_2)
	v_min_u32_e32 v180, 32, v180
	v_cmp_eq_u32_e32 vcc_lo, 0, v182
	s_delay_alu instid0(VALU_DEP_2) | instskip(SKIP_1) | instid1(VALU_DEP_1)
	v_subrev_nc_u32_e32 v181, 29, v180
	v_sub_nc_u32_e32 v180, 30, v180
	v_dual_cndmask_b32 v180, v182, v180 :: v_dual_lshlrev_b32 v181, v181, v167
	s_delay_alu instid0(VALU_DEP_1) | instskip(SKIP_1) | instid1(VALU_DEP_3)
	v_and_b32_e32 v181, 3, v181
	v_lshlrev_b32_e32 v167, 24, v167
	v_lshl_add_u32 v180, v180, 23, 0x37800000
	s_delay_alu instid0(VALU_DEP_2) | instskip(NEXT) | instid1(VALU_DEP_1)
	v_dual_cndmask_b32 v178, v178, v181 :: v_dual_and_b32 v167, 0x80000000, v167
	v_lshlrev_b32_e32 v178, 21, v178
	s_delay_alu instid0(VALU_DEP_1)
	v_or3_b32 v178, v167, v180, v178
.LBB6_5271:                             ;   in Loop: Header=BB6_4995 Depth=2
	s_or_b32 exec_lo, exec_lo, s23
	s_waitcnt vmcnt(14) lgkmcnt(14)
	v_and_b32_e32 v180, 0xff, v166
	s_mov_b32 s7, 0
	s_mov_b32 s24, exec_lo
                                        ; implicit-def: $sgpr23
	s_delay_alu instid0(VALU_DEP_1)
	v_cmpx_lt_i16_e64 0x7f, v180
	s_xor_b32 s24, exec_lo, s24
	s_cbranch_execnz .LBB6_5645
; %bb.5272:                             ;   in Loop: Header=BB6_4995 Depth=2
	s_or_saveexec_b32 s24, s24
	v_mov_b32_e32 v167, s23
	s_xor_b32 exec_lo, exec_lo, s24
	s_cbranch_execnz .LBB6_5648
.LBB6_5273:                             ;   in Loop: Header=BB6_4995 Depth=2
	s_or_b32 exec_lo, exec_lo, s24
	s_and_saveexec_b32 s23, s7
	s_cbranch_execz .LBB6_5275
.LBB6_5274:                             ;   in Loop: Header=BB6_4995 Depth=2
	v_lshrrev_b16 v182, 2, v166
	s_delay_alu instid0(VALU_DEP_1) | instskip(NEXT) | instid1(VALU_DEP_1)
	v_and_b32_e32 v182, 31, v182
	v_cmp_eq_u32_e32 vcc_lo, 0, v182
	v_and_b32_e32 v167, 3, v166
	s_delay_alu instid0(VALU_DEP_1) | instskip(NEXT) | instid1(VALU_DEP_1)
	v_clz_i32_u32_e32 v180, v167
	v_min_u32_e32 v180, 32, v180
	s_delay_alu instid0(VALU_DEP_1) | instskip(SKIP_1) | instid1(VALU_DEP_1)
	v_subrev_nc_u32_e32 v181, 29, v180
	v_sub_nc_u32_e32 v180, 30, v180
	v_dual_cndmask_b32 v180, v182, v180 :: v_dual_lshlrev_b32 v181, v181, v166
	v_lshlrev_b32_e32 v166, 24, v166
	s_delay_alu instid0(VALU_DEP_2) | instskip(NEXT) | instid1(VALU_DEP_3)
	v_and_b32_e32 v181, 3, v181
	v_lshl_add_u32 v180, v180, 23, 0x37800000
	s_delay_alu instid0(VALU_DEP_2) | instskip(NEXT) | instid1(VALU_DEP_1)
	v_dual_cndmask_b32 v167, v167, v181 :: v_dual_and_b32 v166, 0x80000000, v166
	v_lshlrev_b32_e32 v167, 21, v167
	s_delay_alu instid0(VALU_DEP_1)
	v_or3_b32 v167, v166, v180, v167
.LBB6_5275:                             ;   in Loop: Header=BB6_4995 Depth=2
	s_or_b32 exec_lo, exec_lo, s23
	s_delay_alu instid0(VALU_DEP_1) | instskip(NEXT) | instid1(VALU_DEP_1)
	v_mul_f32_e32 v167, v178, v167
	v_and_b32_e32 v166, 0x7f800000, v167
	s_delay_alu instid0(VALU_DEP_1)
	v_cmp_ne_u32_e32 vcc_lo, 0x7f800000, v166
	v_mov_b32_e32 v166, 0x80
	s_and_saveexec_b32 s23, vcc_lo
	s_cbranch_execz .LBB6_5283
; %bb.5276:                             ;   in Loop: Header=BB6_4995 Depth=2
	v_mov_b32_e32 v166, 0
	s_mov_b32 s24, exec_lo
	v_cmpx_ne_u32_e32 0, v167
	s_cbranch_execz .LBB6_5282
; %bb.5277:                             ;   in Loop: Header=BB6_4995 Depth=2
	v_bfe_u32 v166, v167, 23, 8
	v_and_b32_e32 v178, 0x7fffff, v167
	s_delay_alu instid0(VALU_DEP_2) | instskip(SKIP_1) | instid1(VALU_DEP_3)
	v_sub_nc_u32_e32 v180, 0x70, v166
	v_cmp_gt_u32_e32 vcc_lo, 0x71, v166
	v_or_b32_e32 v181, 0x800000, v178
	s_delay_alu instid0(VALU_DEP_3) | instskip(SKIP_2) | instid1(VALU_DEP_3)
	v_cndmask_b32_e32 v180, 0, v180, vcc_lo
	v_cmp_eq_u32_e32 vcc_lo, 0, v166
	v_add_nc_u32_e32 v166, 0xffffff91, v166
	v_cndmask_b32_e64 v180, v180, 0x6f, vcc_lo
	v_cndmask_b32_e32 v178, v181, v178, vcc_lo
	s_delay_alu instid0(VALU_DEP_3) | instskip(NEXT) | instid1(VALU_DEP_3)
	v_cndmask_b32_e64 v166, v166, 0xffffff92, vcc_lo
	v_lshl_add_u32 v181, 0x200000, v180, -1
	s_delay_alu instid0(VALU_DEP_3) | instskip(SKIP_1) | instid1(VALU_DEP_4)
	v_lshrrev_b32_e32 v182, v180, v178
	v_lshlrev_b32_e64 v40, v180, 0x100000
	v_add_nc_u32_e32 v180, v180, v166
	s_delay_alu instid0(VALU_DEP_4) | instskip(NEXT) | instid1(VALU_DEP_4)
	v_and_b32_e32 v178, v181, v178
	v_bfe_u32 v183, v182, 21, 1
	s_delay_alu instid0(VALU_DEP_2) | instskip(NEXT) | instid1(VALU_DEP_2)
	v_cmp_eq_u32_e64 s7, v178, v40
	v_add_nc_u32_e32 v181, -1, v183
	s_delay_alu instid0(VALU_DEP_1) | instskip(SKIP_2) | instid1(VALU_DEP_2)
	v_cndmask_b32_e64 v178, 0, v181, s7
	v_lshrrev_b32_e32 v181, 23, v182
	s_mov_b32 s7, exec_lo
	v_add_nc_u32_e32 v178, v178, v182
	s_delay_alu instid0(VALU_DEP_2) | instskip(NEXT) | instid1(VALU_DEP_2)
	v_xor_b32_e32 v181, 1, v181
	v_and_b32_e32 v166, 0x1fffff, v178
	s_delay_alu instid0(VALU_DEP_1) | instskip(NEXT) | instid1(VALU_DEP_3)
	v_add_nc_u32_e32 v178, v166, v182
                                        ; implicit-def: $vgpr166
	v_cmpx_ne_u32_e64 v180, v181
	s_xor_b32 s7, exec_lo, s7
; %bb.5278:                             ;   in Loop: Header=BB6_4995 Depth=2
	s_delay_alu instid0(VALU_DEP_2) | instskip(SKIP_2) | instid1(VALU_DEP_2)
	v_cmp_lt_u32_e32 vcc_lo, 0xffffff, v178
	v_sub_nc_u32_e32 v166, v180, v181
	v_cndmask_b32_e64 v180, 0, 1, vcc_lo
	v_add_co_ci_u32_e32 v166, vcc_lo, 0, v166, vcc_lo
	s_delay_alu instid0(VALU_DEP_2)
	v_lshrrev_b32_e32 v178, v180, v178
; %bb.5279:                             ;   in Loop: Header=BB6_4995 Depth=2
	s_and_not1_saveexec_b32 s7, s7
; %bb.5280:                             ;   in Loop: Header=BB6_4995 Depth=2
	s_delay_alu instid0(VALU_DEP_1)
	v_bfe_u32 v166, v178, 23, 1
; %bb.5281:                             ;   in Loop: Header=BB6_4995 Depth=2
	s_or_b32 exec_lo, exec_lo, s7
	v_lshrrev_b32_e32 v178, 21, v178
	s_delay_alu instid0(VALU_DEP_2) | instskip(SKIP_2) | instid1(VALU_DEP_2)
	v_cmp_gt_i32_e32 vcc_lo, 32, v166
	v_lshrrev_b32_e32 v167, 24, v167
	v_min_i32_e32 v180, 31, v166
	v_dual_cndmask_b32 v178, 3, v178 :: v_dual_and_b32 v167, 0x80, v167
	s_delay_alu instid0(VALU_DEP_2) | instskip(NEXT) | instid1(VALU_DEP_2)
	v_lshlrev_b32_e32 v180, 2, v180
	v_or_b32_e32 v166, v166, v178
	s_delay_alu instid0(VALU_DEP_1) | instskip(SKIP_1) | instid1(VALU_DEP_1)
	v_cmp_ne_u32_e32 vcc_lo, 0, v166
	v_and_b32_e32 v181, 3, v178
	v_or3_b32 v167, v180, v167, v181
	s_delay_alu instid0(VALU_DEP_1)
	v_cndmask_b32_e32 v166, 0, v167, vcc_lo
.LBB6_5282:                             ;   in Loop: Header=BB6_4995 Depth=2
	s_or_b32 exec_lo, exec_lo, s24
.LBB6_5283:                             ;   in Loop: Header=BB6_4995 Depth=2
	s_delay_alu instid0(SALU_CYCLE_1) | instskip(SKIP_3) | instid1(VALU_DEP_1)
	s_or_b32 exec_lo, exec_lo, s23
	v_and_b32_e32 v178, 0xff, v164
	s_mov_b32 s7, 0
	s_mov_b32 s24, exec_lo
                                        ; implicit-def: $sgpr23
	v_cmpx_lt_i16_e64 0x7f, v178
	s_xor_b32 s24, exec_lo, s24
	s_cbranch_execnz .LBB6_5649
; %bb.5284:                             ;   in Loop: Header=BB6_4995 Depth=2
	s_or_saveexec_b32 s24, s24
	v_mov_b32_e32 v167, s23
	s_xor_b32 exec_lo, exec_lo, s24
	s_cbranch_execnz .LBB6_5652
.LBB6_5285:                             ;   in Loop: Header=BB6_4995 Depth=2
	s_or_b32 exec_lo, exec_lo, s24
	s_and_saveexec_b32 s23, s7
	s_cbranch_execz .LBB6_5287
.LBB6_5286:                             ;   in Loop: Header=BB6_4995 Depth=2
	v_lshrrev_b16 v181, 2, v164
	s_delay_alu instid0(VALU_DEP_1) | instskip(NEXT) | instid1(VALU_DEP_1)
	v_and_b32_e32 v181, 31, v181
	v_cmp_eq_u32_e32 vcc_lo, 0, v181
	v_and_b32_e32 v167, 3, v164
	s_delay_alu instid0(VALU_DEP_1) | instskip(NEXT) | instid1(VALU_DEP_1)
	v_clz_i32_u32_e32 v178, v167
	v_min_u32_e32 v178, 32, v178
	s_delay_alu instid0(VALU_DEP_1) | instskip(SKIP_1) | instid1(VALU_DEP_2)
	v_subrev_nc_u32_e32 v180, 29, v178
	v_sub_nc_u32_e32 v178, 30, v178
	v_lshlrev_b32_e32 v180, v180, v164
	s_delay_alu instid0(VALU_DEP_2) | instskip(SKIP_1) | instid1(VALU_DEP_3)
	v_cndmask_b32_e32 v178, v181, v178, vcc_lo
	v_lshlrev_b32_e32 v164, 24, v164
	v_and_b32_e32 v180, 3, v180
	s_delay_alu instid0(VALU_DEP_3) | instskip(NEXT) | instid1(VALU_DEP_3)
	v_lshl_add_u32 v178, v178, 23, 0x37800000
	v_and_b32_e32 v164, 0x80000000, v164
	s_delay_alu instid0(VALU_DEP_3) | instskip(NEXT) | instid1(VALU_DEP_1)
	v_cndmask_b32_e32 v167, v167, v180, vcc_lo
	v_lshlrev_b32_e32 v167, 21, v167
	s_delay_alu instid0(VALU_DEP_1)
	v_or3_b32 v167, v164, v178, v167
.LBB6_5287:                             ;   in Loop: Header=BB6_4995 Depth=2
	s_or_b32 exec_lo, exec_lo, s23
	s_waitcnt vmcnt(13) lgkmcnt(13)
	v_and_b32_e32 v178, 0xff, v163
	s_mov_b32 s7, 0
	s_mov_b32 s24, exec_lo
                                        ; implicit-def: $sgpr23
	s_delay_alu instid0(VALU_DEP_1)
	v_cmpx_lt_i16_e64 0x7f, v178
	s_xor_b32 s24, exec_lo, s24
	s_cbranch_execnz .LBB6_5653
; %bb.5288:                             ;   in Loop: Header=BB6_4995 Depth=2
	s_or_saveexec_b32 s24, s24
	v_mov_b32_e32 v164, s23
	s_xor_b32 exec_lo, exec_lo, s24
	s_cbranch_execnz .LBB6_5656
.LBB6_5289:                             ;   in Loop: Header=BB6_4995 Depth=2
	s_or_b32 exec_lo, exec_lo, s24
	s_and_saveexec_b32 s23, s7
	s_cbranch_execz .LBB6_5291
.LBB6_5290:                             ;   in Loop: Header=BB6_4995 Depth=2
	v_and_b32_e32 v164, 3, v163
	v_lshrrev_b16 v181, 2, v163
	s_delay_alu instid0(VALU_DEP_2) | instskip(NEXT) | instid1(VALU_DEP_1)
	v_clz_i32_u32_e32 v178, v164
	v_min_u32_e32 v178, 32, v178
	s_delay_alu instid0(VALU_DEP_1) | instskip(SKIP_1) | instid1(VALU_DEP_2)
	v_subrev_nc_u32_e32 v180, 29, v178
	v_sub_nc_u32_e32 v178, 30, v178
	v_lshlrev_b32_e32 v180, v180, v163
	s_delay_alu instid0(VALU_DEP_1) | instskip(SKIP_1) | instid1(VALU_DEP_1)
	v_and_b32_e32 v180, 3, v180
	v_and_b32_e32 v181, 31, v181
	v_cmp_eq_u32_e32 vcc_lo, 0, v181
	s_delay_alu instid0(VALU_DEP_3) | instskip(SKIP_1) | instid1(VALU_DEP_2)
	v_dual_cndmask_b32 v164, v164, v180 :: v_dual_lshlrev_b32 v163, 24, v163
	v_cndmask_b32_e32 v178, v181, v178, vcc_lo
	v_lshlrev_b32_e32 v164, 21, v164
	s_delay_alu instid0(VALU_DEP_3) | instskip(NEXT) | instid1(VALU_DEP_3)
	v_and_b32_e32 v163, 0x80000000, v163
	v_lshl_add_u32 v178, v178, 23, 0x37800000
	s_delay_alu instid0(VALU_DEP_1)
	v_or3_b32 v164, v163, v178, v164
.LBB6_5291:                             ;   in Loop: Header=BB6_4995 Depth=2
	s_or_b32 exec_lo, exec_lo, s23
	s_delay_alu instid0(VALU_DEP_1) | instskip(NEXT) | instid1(VALU_DEP_1)
	v_mul_f32_e32 v164, v167, v164
	v_and_b32_e32 v163, 0x7f800000, v164
	s_delay_alu instid0(VALU_DEP_1)
	v_cmp_ne_u32_e32 vcc_lo, 0x7f800000, v163
	v_mov_b32_e32 v163, 0x80
	s_and_saveexec_b32 s23, vcc_lo
	s_cbranch_execz .LBB6_5299
; %bb.5292:                             ;   in Loop: Header=BB6_4995 Depth=2
	v_mov_b32_e32 v163, 0
	s_mov_b32 s24, exec_lo
	v_cmpx_ne_u32_e32 0, v164
	s_cbranch_execz .LBB6_5298
; %bb.5293:                             ;   in Loop: Header=BB6_4995 Depth=2
	v_bfe_u32 v163, v164, 23, 8
	s_delay_alu instid0(VALU_DEP_1) | instskip(SKIP_1) | instid1(VALU_DEP_2)
	v_sub_nc_u32_e32 v178, 0x70, v163
	v_cmp_gt_u32_e32 vcc_lo, 0x71, v163
	v_dual_cndmask_b32 v178, 0, v178 :: v_dual_and_b32 v167, 0x7fffff, v164
	s_delay_alu instid0(VALU_DEP_1) | instskip(SKIP_2) | instid1(VALU_DEP_4)
	v_or_b32_e32 v180, 0x800000, v167
	v_cmp_eq_u32_e32 vcc_lo, 0, v163
	v_add_nc_u32_e32 v163, 0xffffff91, v163
	v_cndmask_b32_e64 v178, v178, 0x6f, vcc_lo
	s_delay_alu instid0(VALU_DEP_4) | instskip(NEXT) | instid1(VALU_DEP_3)
	v_cndmask_b32_e32 v167, v180, v167, vcc_lo
	v_cndmask_b32_e64 v163, v163, 0xffffff92, vcc_lo
	s_delay_alu instid0(VALU_DEP_3) | instskip(NEXT) | instid1(VALU_DEP_3)
	v_lshl_add_u32 v180, 0x200000, v178, -1
	v_lshrrev_b32_e32 v181, v178, v167
	v_lshlrev_b32_e64 v183, v178, 0x100000
	s_delay_alu instid0(VALU_DEP_4) | instskip(NEXT) | instid1(VALU_DEP_4)
	v_add_nc_u32_e32 v178, v178, v163
	v_and_b32_e32 v167, v180, v167
	s_delay_alu instid0(VALU_DEP_4) | instskip(NEXT) | instid1(VALU_DEP_2)
	v_bfe_u32 v182, v181, 21, 1
	v_cmp_eq_u32_e64 s7, v167, v183
	s_delay_alu instid0(VALU_DEP_2) | instskip(NEXT) | instid1(VALU_DEP_1)
	v_add_nc_u32_e32 v180, -1, v182
	v_cndmask_b32_e64 v167, 0, v180, s7
	v_lshrrev_b32_e32 v180, 23, v181
	s_mov_b32 s7, exec_lo
	s_delay_alu instid0(VALU_DEP_2) | instskip(NEXT) | instid1(VALU_DEP_2)
	v_add_nc_u32_e32 v167, v167, v181
	v_xor_b32_e32 v180, 1, v180
	s_delay_alu instid0(VALU_DEP_2) | instskip(NEXT) | instid1(VALU_DEP_1)
	v_and_b32_e32 v163, 0x1fffff, v167
	v_add_nc_u32_e32 v167, v163, v181
                                        ; implicit-def: $vgpr163
	s_delay_alu instid0(VALU_DEP_3)
	v_cmpx_ne_u32_e64 v178, v180
	s_xor_b32 s7, exec_lo, s7
; %bb.5294:                             ;   in Loop: Header=BB6_4995 Depth=2
	s_delay_alu instid0(VALU_DEP_2) | instskip(SKIP_2) | instid1(VALU_DEP_2)
	v_cmp_lt_u32_e32 vcc_lo, 0xffffff, v167
	v_sub_nc_u32_e32 v163, v178, v180
	v_cndmask_b32_e64 v178, 0, 1, vcc_lo
	v_add_co_ci_u32_e32 v163, vcc_lo, 0, v163, vcc_lo
	s_delay_alu instid0(VALU_DEP_2)
	v_lshrrev_b32_e32 v167, v178, v167
; %bb.5295:                             ;   in Loop: Header=BB6_4995 Depth=2
	s_and_not1_saveexec_b32 s7, s7
; %bb.5296:                             ;   in Loop: Header=BB6_4995 Depth=2
	s_delay_alu instid0(VALU_DEP_1)
	v_bfe_u32 v163, v167, 23, 1
; %bb.5297:                             ;   in Loop: Header=BB6_4995 Depth=2
	s_or_b32 exec_lo, exec_lo, s7
	v_lshrrev_b32_e32 v167, 21, v167
	s_delay_alu instid0(VALU_DEP_2) | instskip(SKIP_2) | instid1(VALU_DEP_2)
	v_cmp_gt_i32_e32 vcc_lo, 32, v163
	v_lshrrev_b32_e32 v164, 24, v164
	v_min_i32_e32 v178, 31, v163
	v_dual_cndmask_b32 v167, 3, v167 :: v_dual_and_b32 v164, 0x80, v164
	s_delay_alu instid0(VALU_DEP_2) | instskip(NEXT) | instid1(VALU_DEP_2)
	v_lshlrev_b32_e32 v178, 2, v178
	v_or_b32_e32 v163, v163, v167
	s_delay_alu instid0(VALU_DEP_1) | instskip(SKIP_1) | instid1(VALU_DEP_1)
	v_cmp_ne_u32_e32 vcc_lo, 0, v163
	v_and_b32_e32 v180, 3, v167
	v_or3_b32 v164, v178, v164, v180
	s_delay_alu instid0(VALU_DEP_1)
	v_cndmask_b32_e32 v163, 0, v164, vcc_lo
.LBB6_5298:                             ;   in Loop: Header=BB6_4995 Depth=2
	s_or_b32 exec_lo, exec_lo, s24
.LBB6_5299:                             ;   in Loop: Header=BB6_4995 Depth=2
	s_delay_alu instid0(SALU_CYCLE_1) | instskip(SKIP_3) | instid1(VALU_DEP_1)
	s_or_b32 exec_lo, exec_lo, s23
	v_and_b32_e32 v167, 0xff, v161
	s_mov_b32 s7, 0
	s_mov_b32 s24, exec_lo
                                        ; implicit-def: $sgpr23
	v_cmpx_lt_i16_e64 0x7f, v167
	s_xor_b32 s24, exec_lo, s24
	s_cbranch_execnz .LBB6_5657
; %bb.5300:                             ;   in Loop: Header=BB6_4995 Depth=2
	s_or_saveexec_b32 s24, s24
	v_mov_b32_e32 v164, s23
	s_xor_b32 exec_lo, exec_lo, s24
	s_cbranch_execnz .LBB6_5660
.LBB6_5301:                             ;   in Loop: Header=BB6_4995 Depth=2
	s_or_b32 exec_lo, exec_lo, s24
	s_and_saveexec_b32 s23, s7
	s_cbranch_execz .LBB6_5303
.LBB6_5302:                             ;   in Loop: Header=BB6_4995 Depth=2
	v_lshrrev_b16 v180, 2, v161
	s_delay_alu instid0(VALU_DEP_1) | instskip(NEXT) | instid1(VALU_DEP_1)
	v_and_b32_e32 v180, 31, v180
	v_cmp_eq_u32_e32 vcc_lo, 0, v180
	v_and_b32_e32 v164, 3, v161
	s_delay_alu instid0(VALU_DEP_1) | instskip(NEXT) | instid1(VALU_DEP_1)
	v_clz_i32_u32_e32 v167, v164
	v_min_u32_e32 v167, 32, v167
	s_delay_alu instid0(VALU_DEP_1) | instskip(SKIP_1) | instid1(VALU_DEP_1)
	v_subrev_nc_u32_e32 v178, 29, v167
	v_sub_nc_u32_e32 v167, 30, v167
	v_dual_cndmask_b32 v167, v180, v167 :: v_dual_lshlrev_b32 v178, v178, v161
	s_delay_alu instid0(VALU_DEP_1) | instskip(SKIP_1) | instid1(VALU_DEP_3)
	v_and_b32_e32 v178, 3, v178
	v_lshlrev_b32_e32 v161, 24, v161
	v_lshl_add_u32 v167, v167, 23, 0x37800000
	s_delay_alu instid0(VALU_DEP_2) | instskip(NEXT) | instid1(VALU_DEP_1)
	v_dual_cndmask_b32 v164, v164, v178 :: v_dual_and_b32 v161, 0x80000000, v161
	v_lshlrev_b32_e32 v164, 21, v164
	s_delay_alu instid0(VALU_DEP_1)
	v_or3_b32 v164, v161, v167, v164
.LBB6_5303:                             ;   in Loop: Header=BB6_4995 Depth=2
	s_or_b32 exec_lo, exec_lo, s23
	s_waitcnt vmcnt(12) lgkmcnt(12)
	v_and_b32_e32 v167, 0xff, v160
	s_mov_b32 s7, 0
	s_mov_b32 s24, exec_lo
                                        ; implicit-def: $sgpr23
	s_delay_alu instid0(VALU_DEP_1)
	v_cmpx_lt_i16_e64 0x7f, v167
	s_xor_b32 s24, exec_lo, s24
	s_cbranch_execnz .LBB6_5661
; %bb.5304:                             ;   in Loop: Header=BB6_4995 Depth=2
	s_or_saveexec_b32 s24, s24
	v_mov_b32_e32 v161, s23
	s_xor_b32 exec_lo, exec_lo, s24
	s_cbranch_execnz .LBB6_5664
.LBB6_5305:                             ;   in Loop: Header=BB6_4995 Depth=2
	s_or_b32 exec_lo, exec_lo, s24
	s_and_saveexec_b32 s23, s7
	s_cbranch_execz .LBB6_5307
.LBB6_5306:                             ;   in Loop: Header=BB6_4995 Depth=2
	v_and_b32_e32 v161, 3, v160
	v_lshrrev_b16 v180, 2, v160
	s_delay_alu instid0(VALU_DEP_2) | instskip(NEXT) | instid1(VALU_DEP_2)
	v_clz_i32_u32_e32 v167, v161
	v_and_b32_e32 v180, 31, v180
	s_delay_alu instid0(VALU_DEP_2) | instskip(NEXT) | instid1(VALU_DEP_2)
	v_min_u32_e32 v167, 32, v167
	v_cmp_eq_u32_e32 vcc_lo, 0, v180
	s_delay_alu instid0(VALU_DEP_2) | instskip(SKIP_1) | instid1(VALU_DEP_1)
	v_subrev_nc_u32_e32 v178, 29, v167
	v_sub_nc_u32_e32 v167, 30, v167
	v_dual_cndmask_b32 v167, v180, v167 :: v_dual_lshlrev_b32 v178, v178, v160
	v_lshlrev_b32_e32 v160, 24, v160
	s_delay_alu instid0(VALU_DEP_2) | instskip(NEXT) | instid1(VALU_DEP_3)
	v_and_b32_e32 v178, 3, v178
	v_lshl_add_u32 v167, v167, 23, 0x37800000
	s_delay_alu instid0(VALU_DEP_2) | instskip(NEXT) | instid1(VALU_DEP_1)
	v_dual_cndmask_b32 v161, v161, v178 :: v_dual_and_b32 v160, 0x80000000, v160
	v_lshlrev_b32_e32 v161, 21, v161
	s_delay_alu instid0(VALU_DEP_1)
	v_or3_b32 v161, v160, v167, v161
.LBB6_5307:                             ;   in Loop: Header=BB6_4995 Depth=2
	s_or_b32 exec_lo, exec_lo, s23
	s_delay_alu instid0(VALU_DEP_1) | instskip(NEXT) | instid1(VALU_DEP_1)
	v_mul_f32_e32 v161, v164, v161
	v_and_b32_e32 v160, 0x7f800000, v161
	s_delay_alu instid0(VALU_DEP_1)
	v_cmp_ne_u32_e32 vcc_lo, 0x7f800000, v160
	v_mov_b32_e32 v160, 0x80
	s_and_saveexec_b32 s23, vcc_lo
	s_cbranch_execz .LBB6_5315
; %bb.5308:                             ;   in Loop: Header=BB6_4995 Depth=2
	v_mov_b32_e32 v160, 0
	s_mov_b32 s24, exec_lo
	v_cmpx_ne_u32_e32 0, v161
	s_cbranch_execz .LBB6_5314
; %bb.5309:                             ;   in Loop: Header=BB6_4995 Depth=2
	v_bfe_u32 v160, v161, 23, 8
	s_delay_alu instid0(VALU_DEP_1) | instskip(SKIP_1) | instid1(VALU_DEP_2)
	v_sub_nc_u32_e32 v167, 0x70, v160
	v_cmp_gt_u32_e32 vcc_lo, 0x71, v160
	v_dual_cndmask_b32 v167, 0, v167 :: v_dual_and_b32 v164, 0x7fffff, v161
	s_delay_alu instid0(VALU_DEP_1) | instskip(SKIP_2) | instid1(VALU_DEP_4)
	v_or_b32_e32 v178, 0x800000, v164
	v_cmp_eq_u32_e32 vcc_lo, 0, v160
	v_add_nc_u32_e32 v160, 0xffffff91, v160
	v_cndmask_b32_e64 v167, v167, 0x6f, vcc_lo
	s_delay_alu instid0(VALU_DEP_4) | instskip(NEXT) | instid1(VALU_DEP_3)
	v_cndmask_b32_e32 v164, v178, v164, vcc_lo
	v_cndmask_b32_e64 v160, v160, 0xffffff92, vcc_lo
	s_delay_alu instid0(VALU_DEP_3) | instskip(NEXT) | instid1(VALU_DEP_3)
	v_lshl_add_u32 v178, 0x200000, v167, -1
	v_lshrrev_b32_e32 v180, v167, v164
	v_lshlrev_b32_e64 v182, v167, 0x100000
	s_delay_alu instid0(VALU_DEP_4) | instskip(NEXT) | instid1(VALU_DEP_4)
	v_add_nc_u32_e32 v167, v167, v160
	v_and_b32_e32 v164, v178, v164
	s_delay_alu instid0(VALU_DEP_4) | instskip(NEXT) | instid1(VALU_DEP_2)
	v_bfe_u32 v181, v180, 21, 1
	v_cmp_eq_u32_e64 s7, v164, v182
	s_delay_alu instid0(VALU_DEP_2) | instskip(NEXT) | instid1(VALU_DEP_1)
	v_add_nc_u32_e32 v178, -1, v181
	v_cndmask_b32_e64 v164, 0, v178, s7
	v_lshrrev_b32_e32 v178, 23, v180
	s_mov_b32 s7, exec_lo
	s_delay_alu instid0(VALU_DEP_2) | instskip(NEXT) | instid1(VALU_DEP_2)
	v_add_nc_u32_e32 v164, v164, v180
	v_xor_b32_e32 v178, 1, v178
	s_delay_alu instid0(VALU_DEP_2) | instskip(NEXT) | instid1(VALU_DEP_1)
	v_and_b32_e32 v160, 0x1fffff, v164
	v_add_nc_u32_e32 v164, v160, v180
                                        ; implicit-def: $vgpr160
	s_delay_alu instid0(VALU_DEP_3)
	v_cmpx_ne_u32_e64 v167, v178
	s_xor_b32 s7, exec_lo, s7
; %bb.5310:                             ;   in Loop: Header=BB6_4995 Depth=2
	s_delay_alu instid0(VALU_DEP_2) | instskip(SKIP_2) | instid1(VALU_DEP_2)
	v_cmp_lt_u32_e32 vcc_lo, 0xffffff, v164
	v_sub_nc_u32_e32 v160, v167, v178
	v_cndmask_b32_e64 v167, 0, 1, vcc_lo
	v_add_co_ci_u32_e32 v160, vcc_lo, 0, v160, vcc_lo
	s_delay_alu instid0(VALU_DEP_2)
	v_lshrrev_b32_e32 v164, v167, v164
; %bb.5311:                             ;   in Loop: Header=BB6_4995 Depth=2
	s_and_not1_saveexec_b32 s7, s7
; %bb.5312:                             ;   in Loop: Header=BB6_4995 Depth=2
	s_delay_alu instid0(VALU_DEP_1)
	v_bfe_u32 v160, v164, 23, 1
; %bb.5313:                             ;   in Loop: Header=BB6_4995 Depth=2
	s_or_b32 exec_lo, exec_lo, s7
	v_lshrrev_b32_e32 v164, 21, v164
	s_delay_alu instid0(VALU_DEP_2) | instskip(SKIP_2) | instid1(VALU_DEP_2)
	v_cmp_gt_i32_e32 vcc_lo, 32, v160
	v_lshrrev_b32_e32 v161, 24, v161
	v_min_i32_e32 v167, 31, v160
	v_dual_cndmask_b32 v164, 3, v164 :: v_dual_and_b32 v161, 0x80, v161
	s_delay_alu instid0(VALU_DEP_1) | instskip(SKIP_1) | instid1(VALU_DEP_2)
	v_or_b32_e32 v160, v160, v164
	v_and_b32_e32 v178, 3, v164
	v_cmp_ne_u32_e32 vcc_lo, 0, v160
	v_lshlrev_b32_e32 v167, 2, v167
	s_delay_alu instid0(VALU_DEP_1) | instskip(NEXT) | instid1(VALU_DEP_1)
	v_or3_b32 v161, v167, v161, v178
	v_cndmask_b32_e32 v160, 0, v161, vcc_lo
.LBB6_5314:                             ;   in Loop: Header=BB6_4995 Depth=2
	s_or_b32 exec_lo, exec_lo, s24
.LBB6_5315:                             ;   in Loop: Header=BB6_4995 Depth=2
	s_delay_alu instid0(SALU_CYCLE_1) | instskip(SKIP_3) | instid1(VALU_DEP_1)
	s_or_b32 exec_lo, exec_lo, s23
	v_and_b32_e32 v164, 0xff, v150
	s_mov_b32 s7, 0
	s_mov_b32 s24, exec_lo
                                        ; implicit-def: $sgpr23
	v_cmpx_lt_i16_e64 0x7f, v164
	s_xor_b32 s24, exec_lo, s24
	s_cbranch_execnz .LBB6_5665
; %bb.5316:                             ;   in Loop: Header=BB6_4995 Depth=2
	s_or_saveexec_b32 s24, s24
	v_mov_b32_e32 v161, s23
	s_xor_b32 exec_lo, exec_lo, s24
	s_cbranch_execnz .LBB6_5668
.LBB6_5317:                             ;   in Loop: Header=BB6_4995 Depth=2
	s_or_b32 exec_lo, exec_lo, s24
	s_and_saveexec_b32 s23, s7
	s_cbranch_execz .LBB6_5319
.LBB6_5318:                             ;   in Loop: Header=BB6_4995 Depth=2
	v_lshrrev_b16 v178, 2, v150
	s_delay_alu instid0(VALU_DEP_1) | instskip(NEXT) | instid1(VALU_DEP_1)
	v_and_b32_e32 v178, 31, v178
	v_cmp_eq_u32_e32 vcc_lo, 0, v178
	v_and_b32_e32 v161, 3, v150
	s_delay_alu instid0(VALU_DEP_1) | instskip(NEXT) | instid1(VALU_DEP_1)
	v_clz_i32_u32_e32 v164, v161
	v_min_u32_e32 v164, 32, v164
	s_delay_alu instid0(VALU_DEP_1) | instskip(SKIP_1) | instid1(VALU_DEP_1)
	v_subrev_nc_u32_e32 v167, 29, v164
	v_sub_nc_u32_e32 v164, 30, v164
	v_dual_cndmask_b32 v164, v178, v164 :: v_dual_lshlrev_b32 v167, v167, v150
	v_lshlrev_b32_e32 v150, 24, v150
	s_delay_alu instid0(VALU_DEP_2) | instskip(NEXT) | instid1(VALU_DEP_3)
	v_and_b32_e32 v167, 3, v167
	v_lshl_add_u32 v164, v164, 23, 0x37800000
	s_delay_alu instid0(VALU_DEP_2) | instskip(NEXT) | instid1(VALU_DEP_1)
	v_dual_cndmask_b32 v161, v161, v167 :: v_dual_and_b32 v150, 0x80000000, v150
	v_lshlrev_b32_e32 v161, 21, v161
	s_delay_alu instid0(VALU_DEP_1)
	v_or3_b32 v161, v150, v164, v161
.LBB6_5319:                             ;   in Loop: Header=BB6_4995 Depth=2
	s_or_b32 exec_lo, exec_lo, s23
	s_waitcnt vmcnt(11) lgkmcnt(11)
	v_and_b32_e32 v164, 0xff, v149
	s_mov_b32 s7, 0
	s_mov_b32 s24, exec_lo
                                        ; implicit-def: $sgpr23
	s_delay_alu instid0(VALU_DEP_1)
	v_cmpx_lt_i16_e64 0x7f, v164
	s_xor_b32 s24, exec_lo, s24
	s_cbranch_execnz .LBB6_5669
; %bb.5320:                             ;   in Loop: Header=BB6_4995 Depth=2
	s_or_saveexec_b32 s24, s24
	v_mov_b32_e32 v150, s23
	s_xor_b32 exec_lo, exec_lo, s24
	s_cbranch_execnz .LBB6_5672
.LBB6_5321:                             ;   in Loop: Header=BB6_4995 Depth=2
	s_or_b32 exec_lo, exec_lo, s24
	s_and_saveexec_b32 s23, s7
	s_cbranch_execz .LBB6_5323
.LBB6_5322:                             ;   in Loop: Header=BB6_4995 Depth=2
	v_and_b32_e32 v150, 3, v149
	v_lshrrev_b16 v178, 2, v149
	s_delay_alu instid0(VALU_DEP_2) | instskip(NEXT) | instid1(VALU_DEP_2)
	v_clz_i32_u32_e32 v164, v150
	v_and_b32_e32 v178, 31, v178
	s_delay_alu instid0(VALU_DEP_2) | instskip(NEXT) | instid1(VALU_DEP_2)
	v_min_u32_e32 v164, 32, v164
	v_cmp_eq_u32_e32 vcc_lo, 0, v178
	s_delay_alu instid0(VALU_DEP_2) | instskip(SKIP_1) | instid1(VALU_DEP_1)
	v_subrev_nc_u32_e32 v167, 29, v164
	v_sub_nc_u32_e32 v164, 30, v164
	v_dual_cndmask_b32 v164, v178, v164 :: v_dual_lshlrev_b32 v167, v167, v149
	s_delay_alu instid0(VALU_DEP_1) | instskip(SKIP_1) | instid1(VALU_DEP_3)
	v_and_b32_e32 v167, 3, v167
	v_lshlrev_b32_e32 v149, 24, v149
	v_lshl_add_u32 v164, v164, 23, 0x37800000
	s_delay_alu instid0(VALU_DEP_2) | instskip(NEXT) | instid1(VALU_DEP_1)
	v_dual_cndmask_b32 v150, v150, v167 :: v_dual_and_b32 v149, 0x80000000, v149
	v_lshlrev_b32_e32 v150, 21, v150
	s_delay_alu instid0(VALU_DEP_1)
	v_or3_b32 v150, v149, v164, v150
.LBB6_5323:                             ;   in Loop: Header=BB6_4995 Depth=2
	s_or_b32 exec_lo, exec_lo, s23
	s_delay_alu instid0(VALU_DEP_1) | instskip(NEXT) | instid1(VALU_DEP_1)
	v_mul_f32_e32 v150, v161, v150
	v_and_b32_e32 v149, 0x7f800000, v150
	s_delay_alu instid0(VALU_DEP_1)
	v_cmp_ne_u32_e32 vcc_lo, 0x7f800000, v149
	v_mov_b32_e32 v149, 0x80
	s_and_saveexec_b32 s23, vcc_lo
	s_cbranch_execz .LBB6_5331
; %bb.5324:                             ;   in Loop: Header=BB6_4995 Depth=2
	v_mov_b32_e32 v149, 0
	s_mov_b32 s24, exec_lo
	v_cmpx_ne_u32_e32 0, v150
	s_cbranch_execz .LBB6_5330
; %bb.5325:                             ;   in Loop: Header=BB6_4995 Depth=2
	v_bfe_u32 v149, v150, 23, 8
	s_delay_alu instid0(VALU_DEP_1) | instskip(SKIP_1) | instid1(VALU_DEP_2)
	v_sub_nc_u32_e32 v164, 0x70, v149
	v_cmp_gt_u32_e32 vcc_lo, 0x71, v149
	v_dual_cndmask_b32 v164, 0, v164 :: v_dual_and_b32 v161, 0x7fffff, v150
	s_delay_alu instid0(VALU_DEP_1) | instskip(SKIP_2) | instid1(VALU_DEP_4)
	v_or_b32_e32 v167, 0x800000, v161
	v_cmp_eq_u32_e32 vcc_lo, 0, v149
	v_add_nc_u32_e32 v149, 0xffffff91, v149
	v_cndmask_b32_e64 v164, v164, 0x6f, vcc_lo
	s_delay_alu instid0(VALU_DEP_4) | instskip(NEXT) | instid1(VALU_DEP_3)
	v_cndmask_b32_e32 v161, v167, v161, vcc_lo
	v_cndmask_b32_e64 v149, v149, 0xffffff92, vcc_lo
	s_delay_alu instid0(VALU_DEP_3) | instskip(NEXT) | instid1(VALU_DEP_3)
	v_lshl_add_u32 v167, 0x200000, v164, -1
	v_lshrrev_b32_e32 v178, v164, v161
	v_lshlrev_b32_e64 v181, v164, 0x100000
	s_delay_alu instid0(VALU_DEP_4) | instskip(NEXT) | instid1(VALU_DEP_4)
	v_add_nc_u32_e32 v164, v164, v149
	v_and_b32_e32 v161, v167, v161
	s_delay_alu instid0(VALU_DEP_4) | instskip(NEXT) | instid1(VALU_DEP_2)
	v_bfe_u32 v180, v178, 21, 1
	v_cmp_eq_u32_e64 s7, v161, v181
	s_delay_alu instid0(VALU_DEP_2) | instskip(NEXT) | instid1(VALU_DEP_1)
	v_add_nc_u32_e32 v167, -1, v180
	v_cndmask_b32_e64 v161, 0, v167, s7
	v_lshrrev_b32_e32 v167, 23, v178
	s_mov_b32 s7, exec_lo
	s_delay_alu instid0(VALU_DEP_2) | instskip(NEXT) | instid1(VALU_DEP_2)
	v_add_nc_u32_e32 v161, v161, v178
	v_xor_b32_e32 v167, 1, v167
	s_delay_alu instid0(VALU_DEP_2) | instskip(NEXT) | instid1(VALU_DEP_1)
	v_and_b32_e32 v149, 0x1fffff, v161
	v_add_nc_u32_e32 v161, v149, v178
                                        ; implicit-def: $vgpr149
	s_delay_alu instid0(VALU_DEP_3)
	v_cmpx_ne_u32_e64 v164, v167
	s_xor_b32 s7, exec_lo, s7
; %bb.5326:                             ;   in Loop: Header=BB6_4995 Depth=2
	s_delay_alu instid0(VALU_DEP_2) | instskip(SKIP_2) | instid1(VALU_DEP_2)
	v_cmp_lt_u32_e32 vcc_lo, 0xffffff, v161
	v_sub_nc_u32_e32 v149, v164, v167
	v_cndmask_b32_e64 v164, 0, 1, vcc_lo
	v_add_co_ci_u32_e32 v149, vcc_lo, 0, v149, vcc_lo
	s_delay_alu instid0(VALU_DEP_2)
	v_lshrrev_b32_e32 v161, v164, v161
; %bb.5327:                             ;   in Loop: Header=BB6_4995 Depth=2
	s_and_not1_saveexec_b32 s7, s7
; %bb.5328:                             ;   in Loop: Header=BB6_4995 Depth=2
	s_delay_alu instid0(VALU_DEP_1)
	v_bfe_u32 v149, v161, 23, 1
; %bb.5329:                             ;   in Loop: Header=BB6_4995 Depth=2
	s_or_b32 exec_lo, exec_lo, s7
	v_lshrrev_b32_e32 v161, 21, v161
	s_delay_alu instid0(VALU_DEP_2) | instskip(SKIP_2) | instid1(VALU_DEP_2)
	v_cmp_gt_i32_e32 vcc_lo, 32, v149
	v_lshrrev_b32_e32 v150, 24, v150
	v_min_i32_e32 v164, 31, v149
	v_dual_cndmask_b32 v161, 3, v161 :: v_dual_and_b32 v150, 0x80, v150
	s_delay_alu instid0(VALU_DEP_1) | instskip(SKIP_1) | instid1(VALU_DEP_2)
	v_or_b32_e32 v149, v149, v161
	v_and_b32_e32 v167, 3, v161
	v_cmp_ne_u32_e32 vcc_lo, 0, v149
	v_lshlrev_b32_e32 v164, 2, v164
	s_delay_alu instid0(VALU_DEP_1) | instskip(NEXT) | instid1(VALU_DEP_1)
	v_or3_b32 v150, v164, v150, v167
	v_cndmask_b32_e32 v149, 0, v150, vcc_lo
.LBB6_5330:                             ;   in Loop: Header=BB6_4995 Depth=2
	s_or_b32 exec_lo, exec_lo, s24
.LBB6_5331:                             ;   in Loop: Header=BB6_4995 Depth=2
	s_delay_alu instid0(SALU_CYCLE_1) | instskip(SKIP_3) | instid1(VALU_DEP_1)
	s_or_b32 exec_lo, exec_lo, s23
	v_and_b32_e32 v161, 0xff, v147
	s_mov_b32 s7, 0
	s_mov_b32 s24, exec_lo
                                        ; implicit-def: $sgpr23
	v_cmpx_lt_i16_e64 0x7f, v161
	s_xor_b32 s24, exec_lo, s24
	s_cbranch_execnz .LBB6_5673
; %bb.5332:                             ;   in Loop: Header=BB6_4995 Depth=2
	s_or_saveexec_b32 s24, s24
	v_mov_b32_e32 v150, s23
	s_xor_b32 exec_lo, exec_lo, s24
	s_cbranch_execnz .LBB6_5676
.LBB6_5333:                             ;   in Loop: Header=BB6_4995 Depth=2
	s_or_b32 exec_lo, exec_lo, s24
	s_and_saveexec_b32 s23, s7
	s_cbranch_execz .LBB6_5335
.LBB6_5334:                             ;   in Loop: Header=BB6_4995 Depth=2
	v_lshrrev_b16 v167, 2, v147
	s_delay_alu instid0(VALU_DEP_1) | instskip(NEXT) | instid1(VALU_DEP_1)
	v_and_b32_e32 v167, 31, v167
	v_cmp_eq_u32_e32 vcc_lo, 0, v167
	v_and_b32_e32 v150, 3, v147
	s_delay_alu instid0(VALU_DEP_1) | instskip(NEXT) | instid1(VALU_DEP_1)
	v_clz_i32_u32_e32 v161, v150
	v_min_u32_e32 v161, 32, v161
	s_delay_alu instid0(VALU_DEP_1) | instskip(SKIP_1) | instid1(VALU_DEP_1)
	v_subrev_nc_u32_e32 v164, 29, v161
	v_sub_nc_u32_e32 v161, 30, v161
	v_dual_cndmask_b32 v161, v167, v161 :: v_dual_lshlrev_b32 v164, v164, v147
	v_lshlrev_b32_e32 v147, 24, v147
	s_delay_alu instid0(VALU_DEP_2) | instskip(NEXT) | instid1(VALU_DEP_3)
	v_and_b32_e32 v164, 3, v164
	v_lshl_add_u32 v161, v161, 23, 0x37800000
	s_delay_alu instid0(VALU_DEP_2) | instskip(NEXT) | instid1(VALU_DEP_1)
	v_dual_cndmask_b32 v150, v150, v164 :: v_dual_and_b32 v147, 0x80000000, v147
	v_lshlrev_b32_e32 v150, 21, v150
	s_delay_alu instid0(VALU_DEP_1)
	v_or3_b32 v150, v147, v161, v150
.LBB6_5335:                             ;   in Loop: Header=BB6_4995 Depth=2
	s_or_b32 exec_lo, exec_lo, s23
	s_waitcnt vmcnt(10) lgkmcnt(10)
	v_and_b32_e32 v161, 0xff, v146
	s_mov_b32 s7, 0
	s_mov_b32 s24, exec_lo
                                        ; implicit-def: $sgpr23
	s_delay_alu instid0(VALU_DEP_1)
	v_cmpx_lt_i16_e64 0x7f, v161
	s_xor_b32 s24, exec_lo, s24
	s_cbranch_execnz .LBB6_5677
; %bb.5336:                             ;   in Loop: Header=BB6_4995 Depth=2
	s_or_saveexec_b32 s24, s24
	v_mov_b32_e32 v147, s23
	s_xor_b32 exec_lo, exec_lo, s24
	s_cbranch_execnz .LBB6_5680
.LBB6_5337:                             ;   in Loop: Header=BB6_4995 Depth=2
	s_or_b32 exec_lo, exec_lo, s24
	s_and_saveexec_b32 s23, s7
	s_cbranch_execz .LBB6_5339
.LBB6_5338:                             ;   in Loop: Header=BB6_4995 Depth=2
	v_and_b32_e32 v147, 3, v146
	v_lshrrev_b16 v167, 2, v146
	s_delay_alu instid0(VALU_DEP_2) | instskip(NEXT) | instid1(VALU_DEP_2)
	v_clz_i32_u32_e32 v161, v147
	v_and_b32_e32 v167, 31, v167
	s_delay_alu instid0(VALU_DEP_2) | instskip(NEXT) | instid1(VALU_DEP_2)
	v_min_u32_e32 v161, 32, v161
	v_cmp_eq_u32_e32 vcc_lo, 0, v167
	s_delay_alu instid0(VALU_DEP_2) | instskip(SKIP_1) | instid1(VALU_DEP_1)
	v_subrev_nc_u32_e32 v164, 29, v161
	v_sub_nc_u32_e32 v161, 30, v161
	v_dual_cndmask_b32 v161, v167, v161 :: v_dual_lshlrev_b32 v164, v164, v146
	s_delay_alu instid0(VALU_DEP_1) | instskip(SKIP_1) | instid1(VALU_DEP_3)
	v_and_b32_e32 v164, 3, v164
	v_lshlrev_b32_e32 v146, 24, v146
	v_lshl_add_u32 v161, v161, 23, 0x37800000
	s_delay_alu instid0(VALU_DEP_2) | instskip(NEXT) | instid1(VALU_DEP_1)
	v_dual_cndmask_b32 v147, v147, v164 :: v_dual_and_b32 v146, 0x80000000, v146
	v_lshlrev_b32_e32 v147, 21, v147
	s_delay_alu instid0(VALU_DEP_1)
	v_or3_b32 v147, v146, v161, v147
.LBB6_5339:                             ;   in Loop: Header=BB6_4995 Depth=2
	s_or_b32 exec_lo, exec_lo, s23
	s_delay_alu instid0(VALU_DEP_1) | instskip(NEXT) | instid1(VALU_DEP_1)
	v_mul_f32_e32 v147, v150, v147
	v_and_b32_e32 v146, 0x7f800000, v147
	s_delay_alu instid0(VALU_DEP_1)
	v_cmp_ne_u32_e32 vcc_lo, 0x7f800000, v146
	v_mov_b32_e32 v146, 0x80
	s_and_saveexec_b32 s23, vcc_lo
	s_cbranch_execz .LBB6_5347
; %bb.5340:                             ;   in Loop: Header=BB6_4995 Depth=2
	v_mov_b32_e32 v146, 0
	s_mov_b32 s24, exec_lo
	v_cmpx_ne_u32_e32 0, v147
	s_cbranch_execz .LBB6_5346
; %bb.5341:                             ;   in Loop: Header=BB6_4995 Depth=2
	v_bfe_u32 v146, v147, 23, 8
	s_delay_alu instid0(VALU_DEP_1) | instskip(SKIP_1) | instid1(VALU_DEP_2)
	v_sub_nc_u32_e32 v161, 0x70, v146
	v_cmp_gt_u32_e32 vcc_lo, 0x71, v146
	v_dual_cndmask_b32 v161, 0, v161 :: v_dual_and_b32 v150, 0x7fffff, v147
	s_delay_alu instid0(VALU_DEP_1) | instskip(SKIP_2) | instid1(VALU_DEP_4)
	v_or_b32_e32 v164, 0x800000, v150
	v_cmp_eq_u32_e32 vcc_lo, 0, v146
	v_add_nc_u32_e32 v146, 0xffffff91, v146
	v_cndmask_b32_e64 v161, v161, 0x6f, vcc_lo
	s_delay_alu instid0(VALU_DEP_4) | instskip(NEXT) | instid1(VALU_DEP_3)
	v_cndmask_b32_e32 v150, v164, v150, vcc_lo
	v_cndmask_b32_e64 v146, v146, 0xffffff92, vcc_lo
	s_delay_alu instid0(VALU_DEP_3) | instskip(NEXT) | instid1(VALU_DEP_3)
	v_lshl_add_u32 v164, 0x200000, v161, -1
	v_lshrrev_b32_e32 v167, v161, v150
	v_lshlrev_b32_e64 v180, v161, 0x100000
	s_delay_alu instid0(VALU_DEP_4) | instskip(NEXT) | instid1(VALU_DEP_4)
	v_add_nc_u32_e32 v161, v161, v146
	v_and_b32_e32 v150, v164, v150
	s_delay_alu instid0(VALU_DEP_4) | instskip(NEXT) | instid1(VALU_DEP_2)
	v_bfe_u32 v178, v167, 21, 1
	v_cmp_eq_u32_e64 s7, v150, v180
	s_delay_alu instid0(VALU_DEP_2) | instskip(NEXT) | instid1(VALU_DEP_1)
	v_add_nc_u32_e32 v164, -1, v178
	v_cndmask_b32_e64 v150, 0, v164, s7
	v_lshrrev_b32_e32 v164, 23, v167
	s_mov_b32 s7, exec_lo
	s_delay_alu instid0(VALU_DEP_2) | instskip(NEXT) | instid1(VALU_DEP_2)
	v_add_nc_u32_e32 v150, v150, v167
	v_xor_b32_e32 v164, 1, v164
	s_delay_alu instid0(VALU_DEP_2) | instskip(NEXT) | instid1(VALU_DEP_1)
	v_and_b32_e32 v146, 0x1fffff, v150
	v_add_nc_u32_e32 v150, v146, v167
                                        ; implicit-def: $vgpr146
	s_delay_alu instid0(VALU_DEP_3)
	v_cmpx_ne_u32_e64 v161, v164
	s_xor_b32 s7, exec_lo, s7
; %bb.5342:                             ;   in Loop: Header=BB6_4995 Depth=2
	s_delay_alu instid0(VALU_DEP_2) | instskip(SKIP_2) | instid1(VALU_DEP_2)
	v_cmp_lt_u32_e32 vcc_lo, 0xffffff, v150
	v_sub_nc_u32_e32 v146, v161, v164
	v_cndmask_b32_e64 v161, 0, 1, vcc_lo
	v_add_co_ci_u32_e32 v146, vcc_lo, 0, v146, vcc_lo
	s_delay_alu instid0(VALU_DEP_2)
	v_lshrrev_b32_e32 v150, v161, v150
; %bb.5343:                             ;   in Loop: Header=BB6_4995 Depth=2
	s_and_not1_saveexec_b32 s7, s7
; %bb.5344:                             ;   in Loop: Header=BB6_4995 Depth=2
	s_delay_alu instid0(VALU_DEP_1)
	v_bfe_u32 v146, v150, 23, 1
; %bb.5345:                             ;   in Loop: Header=BB6_4995 Depth=2
	s_or_b32 exec_lo, exec_lo, s7
	v_lshrrev_b32_e32 v150, 21, v150
	s_delay_alu instid0(VALU_DEP_2) | instskip(SKIP_2) | instid1(VALU_DEP_2)
	v_cmp_gt_i32_e32 vcc_lo, 32, v146
	v_lshrrev_b32_e32 v147, 24, v147
	v_min_i32_e32 v161, 31, v146
	v_dual_cndmask_b32 v150, 3, v150 :: v_dual_and_b32 v147, 0x80, v147
	s_delay_alu instid0(VALU_DEP_1) | instskip(SKIP_1) | instid1(VALU_DEP_2)
	v_or_b32_e32 v146, v146, v150
	v_and_b32_e32 v164, 3, v150
	v_cmp_ne_u32_e32 vcc_lo, 0, v146
	v_lshlrev_b32_e32 v161, 2, v161
	s_delay_alu instid0(VALU_DEP_1) | instskip(NEXT) | instid1(VALU_DEP_1)
	v_or3_b32 v147, v161, v147, v164
	v_cndmask_b32_e32 v146, 0, v147, vcc_lo
.LBB6_5346:                             ;   in Loop: Header=BB6_4995 Depth=2
	s_or_b32 exec_lo, exec_lo, s24
.LBB6_5347:                             ;   in Loop: Header=BB6_4995 Depth=2
	s_delay_alu instid0(SALU_CYCLE_1) | instskip(SKIP_3) | instid1(VALU_DEP_1)
	s_or_b32 exec_lo, exec_lo, s23
	v_and_b32_e32 v150, 0xff, v144
	s_mov_b32 s7, 0
	s_mov_b32 s24, exec_lo
                                        ; implicit-def: $sgpr23
	v_cmpx_lt_i16_e64 0x7f, v150
	s_xor_b32 s24, exec_lo, s24
	s_cbranch_execnz .LBB6_5681
; %bb.5348:                             ;   in Loop: Header=BB6_4995 Depth=2
	s_or_saveexec_b32 s24, s24
	v_mov_b32_e32 v147, s23
	s_xor_b32 exec_lo, exec_lo, s24
	s_cbranch_execnz .LBB6_5684
.LBB6_5349:                             ;   in Loop: Header=BB6_4995 Depth=2
	s_or_b32 exec_lo, exec_lo, s24
	s_and_saveexec_b32 s23, s7
	s_cbranch_execz .LBB6_5351
.LBB6_5350:                             ;   in Loop: Header=BB6_4995 Depth=2
	v_lshrrev_b16 v164, 2, v144
	s_delay_alu instid0(VALU_DEP_1) | instskip(NEXT) | instid1(VALU_DEP_1)
	v_and_b32_e32 v164, 31, v164
	v_cmp_eq_u32_e32 vcc_lo, 0, v164
	v_and_b32_e32 v147, 3, v144
	s_delay_alu instid0(VALU_DEP_1) | instskip(NEXT) | instid1(VALU_DEP_1)
	v_clz_i32_u32_e32 v150, v147
	v_min_u32_e32 v150, 32, v150
	s_delay_alu instid0(VALU_DEP_1) | instskip(SKIP_1) | instid1(VALU_DEP_1)
	v_subrev_nc_u32_e32 v161, 29, v150
	v_sub_nc_u32_e32 v150, 30, v150
	v_dual_cndmask_b32 v150, v164, v150 :: v_dual_lshlrev_b32 v161, v161, v144
	v_lshlrev_b32_e32 v144, 24, v144
	s_delay_alu instid0(VALU_DEP_2) | instskip(NEXT) | instid1(VALU_DEP_3)
	v_and_b32_e32 v161, 3, v161
	v_lshl_add_u32 v150, v150, 23, 0x37800000
	s_delay_alu instid0(VALU_DEP_2) | instskip(NEXT) | instid1(VALU_DEP_1)
	v_dual_cndmask_b32 v147, v147, v161 :: v_dual_and_b32 v144, 0x80000000, v144
	v_lshlrev_b32_e32 v147, 21, v147
	s_delay_alu instid0(VALU_DEP_1)
	v_or3_b32 v147, v144, v150, v147
.LBB6_5351:                             ;   in Loop: Header=BB6_4995 Depth=2
	s_or_b32 exec_lo, exec_lo, s23
	s_waitcnt vmcnt(9) lgkmcnt(9)
	v_and_b32_e32 v150, 0xff, v135
	s_mov_b32 s7, 0
	s_mov_b32 s24, exec_lo
                                        ; implicit-def: $sgpr23
	s_delay_alu instid0(VALU_DEP_1)
	v_cmpx_lt_i16_e64 0x7f, v150
	s_xor_b32 s24, exec_lo, s24
	s_cbranch_execnz .LBB6_5685
; %bb.5352:                             ;   in Loop: Header=BB6_4995 Depth=2
	s_or_saveexec_b32 s24, s24
	v_mov_b32_e32 v144, s23
	s_xor_b32 exec_lo, exec_lo, s24
	s_cbranch_execnz .LBB6_5688
.LBB6_5353:                             ;   in Loop: Header=BB6_4995 Depth=2
	s_or_b32 exec_lo, exec_lo, s24
	s_and_saveexec_b32 s23, s7
	s_cbranch_execz .LBB6_5355
.LBB6_5354:                             ;   in Loop: Header=BB6_4995 Depth=2
	v_and_b32_e32 v144, 3, v135
	v_lshrrev_b16 v164, 2, v135
	s_delay_alu instid0(VALU_DEP_2) | instskip(NEXT) | instid1(VALU_DEP_2)
	v_clz_i32_u32_e32 v150, v144
	v_and_b32_e32 v164, 31, v164
	s_delay_alu instid0(VALU_DEP_2) | instskip(NEXT) | instid1(VALU_DEP_2)
	v_min_u32_e32 v150, 32, v150
	v_cmp_eq_u32_e32 vcc_lo, 0, v164
	s_delay_alu instid0(VALU_DEP_2) | instskip(SKIP_1) | instid1(VALU_DEP_1)
	v_subrev_nc_u32_e32 v161, 29, v150
	v_sub_nc_u32_e32 v150, 30, v150
	v_dual_cndmask_b32 v150, v164, v150 :: v_dual_lshlrev_b32 v161, v161, v135
	s_delay_alu instid0(VALU_DEP_1) | instskip(SKIP_1) | instid1(VALU_DEP_3)
	v_and_b32_e32 v161, 3, v161
	v_lshlrev_b32_e32 v135, 24, v135
	v_lshl_add_u32 v150, v150, 23, 0x37800000
	s_delay_alu instid0(VALU_DEP_2) | instskip(NEXT) | instid1(VALU_DEP_1)
	v_dual_cndmask_b32 v144, v144, v161 :: v_dual_and_b32 v135, 0x80000000, v135
	v_lshlrev_b32_e32 v144, 21, v144
	s_delay_alu instid0(VALU_DEP_1)
	v_or3_b32 v144, v135, v150, v144
.LBB6_5355:                             ;   in Loop: Header=BB6_4995 Depth=2
	s_or_b32 exec_lo, exec_lo, s23
	s_delay_alu instid0(VALU_DEP_1) | instskip(NEXT) | instid1(VALU_DEP_1)
	v_mul_f32_e32 v144, v147, v144
	v_and_b32_e32 v135, 0x7f800000, v144
	s_delay_alu instid0(VALU_DEP_1)
	v_cmp_ne_u32_e32 vcc_lo, 0x7f800000, v135
	v_mov_b32_e32 v135, 0x80
	s_and_saveexec_b32 s23, vcc_lo
	s_cbranch_execz .LBB6_5363
; %bb.5356:                             ;   in Loop: Header=BB6_4995 Depth=2
	v_mov_b32_e32 v135, 0
	s_mov_b32 s24, exec_lo
	v_cmpx_ne_u32_e32 0, v144
	s_cbranch_execz .LBB6_5362
; %bb.5357:                             ;   in Loop: Header=BB6_4995 Depth=2
	v_bfe_u32 v135, v144, 23, 8
	s_delay_alu instid0(VALU_DEP_1) | instskip(SKIP_1) | instid1(VALU_DEP_2)
	v_sub_nc_u32_e32 v150, 0x70, v135
	v_cmp_gt_u32_e32 vcc_lo, 0x71, v135
	v_dual_cndmask_b32 v150, 0, v150 :: v_dual_and_b32 v147, 0x7fffff, v144
	s_delay_alu instid0(VALU_DEP_1) | instskip(SKIP_2) | instid1(VALU_DEP_4)
	v_or_b32_e32 v161, 0x800000, v147
	v_cmp_eq_u32_e32 vcc_lo, 0, v135
	v_add_nc_u32_e32 v135, 0xffffff91, v135
	v_cndmask_b32_e64 v150, v150, 0x6f, vcc_lo
	s_delay_alu instid0(VALU_DEP_4) | instskip(NEXT) | instid1(VALU_DEP_3)
	v_cndmask_b32_e32 v147, v161, v147, vcc_lo
	v_cndmask_b32_e64 v135, v135, 0xffffff92, vcc_lo
	s_delay_alu instid0(VALU_DEP_3) | instskip(NEXT) | instid1(VALU_DEP_3)
	v_lshl_add_u32 v161, 0x200000, v150, -1
	v_lshrrev_b32_e32 v164, v150, v147
	v_lshlrev_b32_e64 v178, v150, 0x100000
	s_delay_alu instid0(VALU_DEP_4) | instskip(NEXT) | instid1(VALU_DEP_4)
	v_add_nc_u32_e32 v150, v150, v135
	v_and_b32_e32 v147, v161, v147
	s_delay_alu instid0(VALU_DEP_4) | instskip(NEXT) | instid1(VALU_DEP_2)
	v_bfe_u32 v167, v164, 21, 1
	v_cmp_eq_u32_e64 s7, v147, v178
	s_delay_alu instid0(VALU_DEP_2) | instskip(NEXT) | instid1(VALU_DEP_1)
	v_add_nc_u32_e32 v161, -1, v167
	v_cndmask_b32_e64 v147, 0, v161, s7
	v_lshrrev_b32_e32 v161, 23, v164
	s_mov_b32 s7, exec_lo
	s_delay_alu instid0(VALU_DEP_2) | instskip(NEXT) | instid1(VALU_DEP_2)
	v_add_nc_u32_e32 v147, v147, v164
	v_xor_b32_e32 v161, 1, v161
	s_delay_alu instid0(VALU_DEP_2) | instskip(NEXT) | instid1(VALU_DEP_1)
	v_and_b32_e32 v135, 0x1fffff, v147
	v_add_nc_u32_e32 v147, v135, v164
                                        ; implicit-def: $vgpr135
	s_delay_alu instid0(VALU_DEP_3)
	v_cmpx_ne_u32_e64 v150, v161
	s_xor_b32 s7, exec_lo, s7
; %bb.5358:                             ;   in Loop: Header=BB6_4995 Depth=2
	s_delay_alu instid0(VALU_DEP_2) | instskip(SKIP_2) | instid1(VALU_DEP_2)
	v_cmp_lt_u32_e32 vcc_lo, 0xffffff, v147
	v_sub_nc_u32_e32 v135, v150, v161
	v_cndmask_b32_e64 v150, 0, 1, vcc_lo
	v_add_co_ci_u32_e32 v135, vcc_lo, 0, v135, vcc_lo
	s_delay_alu instid0(VALU_DEP_2)
	v_lshrrev_b32_e32 v147, v150, v147
; %bb.5359:                             ;   in Loop: Header=BB6_4995 Depth=2
	s_and_not1_saveexec_b32 s7, s7
; %bb.5360:                             ;   in Loop: Header=BB6_4995 Depth=2
	s_delay_alu instid0(VALU_DEP_1)
	v_bfe_u32 v135, v147, 23, 1
; %bb.5361:                             ;   in Loop: Header=BB6_4995 Depth=2
	s_or_b32 exec_lo, exec_lo, s7
	v_lshrrev_b32_e32 v147, 21, v147
	s_delay_alu instid0(VALU_DEP_2) | instskip(SKIP_2) | instid1(VALU_DEP_2)
	v_cmp_gt_i32_e32 vcc_lo, 32, v135
	v_lshrrev_b32_e32 v144, 24, v144
	v_min_i32_e32 v150, 31, v135
	v_dual_cndmask_b32 v147, 3, v147 :: v_dual_and_b32 v144, 0x80, v144
	s_delay_alu instid0(VALU_DEP_1) | instskip(SKIP_1) | instid1(VALU_DEP_2)
	v_or_b32_e32 v135, v135, v147
	v_and_b32_e32 v161, 3, v147
	v_cmp_ne_u32_e32 vcc_lo, 0, v135
	v_lshlrev_b32_e32 v150, 2, v150
	s_delay_alu instid0(VALU_DEP_1) | instskip(NEXT) | instid1(VALU_DEP_1)
	v_or3_b32 v144, v150, v144, v161
	v_cndmask_b32_e32 v135, 0, v144, vcc_lo
.LBB6_5362:                             ;   in Loop: Header=BB6_4995 Depth=2
	s_or_b32 exec_lo, exec_lo, s24
.LBB6_5363:                             ;   in Loop: Header=BB6_4995 Depth=2
	s_delay_alu instid0(SALU_CYCLE_1) | instskip(SKIP_3) | instid1(VALU_DEP_1)
	s_or_b32 exec_lo, exec_lo, s23
	v_and_b32_e32 v147, 0xff, v98
	s_mov_b32 s7, 0
	s_mov_b32 s24, exec_lo
                                        ; implicit-def: $sgpr23
	v_cmpx_lt_i16_e64 0x7f, v147
	s_xor_b32 s24, exec_lo, s24
	s_cbranch_execnz .LBB6_5689
; %bb.5364:                             ;   in Loop: Header=BB6_4995 Depth=2
	s_or_saveexec_b32 s24, s24
	v_mov_b32_e32 v144, s23
	s_xor_b32 exec_lo, exec_lo, s24
	s_cbranch_execnz .LBB6_5692
.LBB6_5365:                             ;   in Loop: Header=BB6_4995 Depth=2
	s_or_b32 exec_lo, exec_lo, s24
	s_and_saveexec_b32 s23, s7
	s_cbranch_execz .LBB6_5367
.LBB6_5366:                             ;   in Loop: Header=BB6_4995 Depth=2
	v_lshrrev_b16 v161, 2, v98
	s_delay_alu instid0(VALU_DEP_1) | instskip(NEXT) | instid1(VALU_DEP_1)
	v_and_b32_e32 v161, 31, v161
	v_cmp_eq_u32_e32 vcc_lo, 0, v161
	v_and_b32_e32 v144, 3, v98
	s_delay_alu instid0(VALU_DEP_1) | instskip(NEXT) | instid1(VALU_DEP_1)
	v_clz_i32_u32_e32 v147, v144
	v_min_u32_e32 v147, 32, v147
	s_delay_alu instid0(VALU_DEP_1) | instskip(SKIP_1) | instid1(VALU_DEP_1)
	v_subrev_nc_u32_e32 v150, 29, v147
	v_sub_nc_u32_e32 v147, 30, v147
	v_dual_cndmask_b32 v147, v161, v147 :: v_dual_lshlrev_b32 v150, v150, v98
	v_lshlrev_b32_e32 v98, 24, v98
	s_delay_alu instid0(VALU_DEP_2) | instskip(NEXT) | instid1(VALU_DEP_3)
	v_and_b32_e32 v150, 3, v150
	v_lshl_add_u32 v147, v147, 23, 0x37800000
	s_delay_alu instid0(VALU_DEP_3) | instskip(NEXT) | instid1(VALU_DEP_3)
	v_and_b32_e32 v98, 0x80000000, v98
	v_cndmask_b32_e32 v144, v144, v150, vcc_lo
	s_delay_alu instid0(VALU_DEP_1) | instskip(NEXT) | instid1(VALU_DEP_1)
	v_lshlrev_b32_e32 v144, 21, v144
	v_or3_b32 v144, v98, v147, v144
.LBB6_5367:                             ;   in Loop: Header=BB6_4995 Depth=2
	s_or_b32 exec_lo, exec_lo, s23
	s_waitcnt vmcnt(8) lgkmcnt(8)
	v_and_b32_e32 v147, 0xff, v97
	s_mov_b32 s7, 0
	s_mov_b32 s24, exec_lo
                                        ; implicit-def: $sgpr23
	s_delay_alu instid0(VALU_DEP_1)
	v_cmpx_lt_i16_e64 0x7f, v147
	s_xor_b32 s24, exec_lo, s24
	s_cbranch_execnz .LBB6_5693
; %bb.5368:                             ;   in Loop: Header=BB6_4995 Depth=2
	s_or_saveexec_b32 s24, s24
	v_mov_b32_e32 v98, s23
	s_xor_b32 exec_lo, exec_lo, s24
	s_cbranch_execnz .LBB6_5696
.LBB6_5369:                             ;   in Loop: Header=BB6_4995 Depth=2
	s_or_b32 exec_lo, exec_lo, s24
	s_and_saveexec_b32 s23, s7
	s_cbranch_execz .LBB6_5371
.LBB6_5370:                             ;   in Loop: Header=BB6_4995 Depth=2
	v_lshrrev_b16 v161, 2, v97
	s_delay_alu instid0(VALU_DEP_1) | instskip(NEXT) | instid1(VALU_DEP_1)
	v_and_b32_e32 v161, 31, v161
	v_cmp_eq_u32_e32 vcc_lo, 0, v161
	v_and_b32_e32 v98, 3, v97
	s_delay_alu instid0(VALU_DEP_1) | instskip(NEXT) | instid1(VALU_DEP_1)
	v_clz_i32_u32_e32 v147, v98
	v_min_u32_e32 v147, 32, v147
	s_delay_alu instid0(VALU_DEP_1) | instskip(SKIP_1) | instid1(VALU_DEP_1)
	v_subrev_nc_u32_e32 v150, 29, v147
	v_sub_nc_u32_e32 v147, 30, v147
	v_dual_cndmask_b32 v147, v161, v147 :: v_dual_lshlrev_b32 v150, v150, v97
	v_lshlrev_b32_e32 v97, 24, v97
	s_delay_alu instid0(VALU_DEP_2) | instskip(NEXT) | instid1(VALU_DEP_3)
	v_and_b32_e32 v150, 3, v150
	v_lshl_add_u32 v147, v147, 23, 0x37800000
	s_delay_alu instid0(VALU_DEP_2) | instskip(NEXT) | instid1(VALU_DEP_1)
	v_dual_cndmask_b32 v98, v98, v150 :: v_dual_and_b32 v97, 0x80000000, v97
	v_lshlrev_b32_e32 v98, 21, v98
	s_delay_alu instid0(VALU_DEP_1)
	v_or3_b32 v98, v97, v147, v98
.LBB6_5371:                             ;   in Loop: Header=BB6_4995 Depth=2
	s_or_b32 exec_lo, exec_lo, s23
	s_delay_alu instid0(VALU_DEP_1) | instskip(NEXT) | instid1(VALU_DEP_1)
	v_mul_f32_e32 v98, v144, v98
	v_and_b32_e32 v97, 0x7f800000, v98
	s_delay_alu instid0(VALU_DEP_1)
	v_cmp_ne_u32_e32 vcc_lo, 0x7f800000, v97
	v_mov_b32_e32 v97, 0x80
	s_and_saveexec_b32 s23, vcc_lo
	s_cbranch_execz .LBB6_5379
; %bb.5372:                             ;   in Loop: Header=BB6_4995 Depth=2
	v_mov_b32_e32 v97, 0
	s_mov_b32 s24, exec_lo
	v_cmpx_ne_u32_e32 0, v98
	s_cbranch_execz .LBB6_5378
; %bb.5373:                             ;   in Loop: Header=BB6_4995 Depth=2
	v_bfe_u32 v97, v98, 23, 8
	s_delay_alu instid0(VALU_DEP_1) | instskip(SKIP_1) | instid1(VALU_DEP_2)
	v_sub_nc_u32_e32 v147, 0x70, v97
	v_cmp_gt_u32_e32 vcc_lo, 0x71, v97
	v_dual_cndmask_b32 v147, 0, v147 :: v_dual_and_b32 v144, 0x7fffff, v98
	s_delay_alu instid0(VALU_DEP_1) | instskip(SKIP_2) | instid1(VALU_DEP_4)
	v_or_b32_e32 v150, 0x800000, v144
	v_cmp_eq_u32_e32 vcc_lo, 0, v97
	v_add_nc_u32_e32 v97, 0xffffff91, v97
	v_cndmask_b32_e64 v147, v147, 0x6f, vcc_lo
	s_delay_alu instid0(VALU_DEP_4) | instskip(NEXT) | instid1(VALU_DEP_3)
	v_cndmask_b32_e32 v144, v150, v144, vcc_lo
	v_cndmask_b32_e64 v97, v97, 0xffffff92, vcc_lo
	s_delay_alu instid0(VALU_DEP_3) | instskip(NEXT) | instid1(VALU_DEP_3)
	v_lshl_add_u32 v150, 0x200000, v147, -1
	v_lshrrev_b32_e32 v161, v147, v144
	v_lshlrev_b32_e64 v167, v147, 0x100000
	s_delay_alu instid0(VALU_DEP_4) | instskip(NEXT) | instid1(VALU_DEP_4)
	v_add_nc_u32_e32 v147, v147, v97
	v_and_b32_e32 v144, v150, v144
	s_delay_alu instid0(VALU_DEP_4) | instskip(NEXT) | instid1(VALU_DEP_2)
	v_bfe_u32 v164, v161, 21, 1
	v_cmp_eq_u32_e64 s7, v144, v167
	s_delay_alu instid0(VALU_DEP_2) | instskip(NEXT) | instid1(VALU_DEP_1)
	v_add_nc_u32_e32 v150, -1, v164
	v_cndmask_b32_e64 v144, 0, v150, s7
	v_lshrrev_b32_e32 v150, 23, v161
	s_mov_b32 s7, exec_lo
	s_delay_alu instid0(VALU_DEP_2) | instskip(NEXT) | instid1(VALU_DEP_2)
	v_add_nc_u32_e32 v144, v144, v161
	v_xor_b32_e32 v150, 1, v150
	s_delay_alu instid0(VALU_DEP_2) | instskip(NEXT) | instid1(VALU_DEP_1)
	v_and_b32_e32 v97, 0x1fffff, v144
	v_add_nc_u32_e32 v144, v97, v161
                                        ; implicit-def: $vgpr97
	s_delay_alu instid0(VALU_DEP_3)
	v_cmpx_ne_u32_e64 v147, v150
	s_xor_b32 s7, exec_lo, s7
; %bb.5374:                             ;   in Loop: Header=BB6_4995 Depth=2
	s_delay_alu instid0(VALU_DEP_2) | instskip(SKIP_2) | instid1(VALU_DEP_2)
	v_cmp_lt_u32_e32 vcc_lo, 0xffffff, v144
	v_sub_nc_u32_e32 v97, v147, v150
	v_cndmask_b32_e64 v147, 0, 1, vcc_lo
	v_add_co_ci_u32_e32 v97, vcc_lo, 0, v97, vcc_lo
	s_delay_alu instid0(VALU_DEP_2)
	v_lshrrev_b32_e32 v144, v147, v144
; %bb.5375:                             ;   in Loop: Header=BB6_4995 Depth=2
	s_and_not1_saveexec_b32 s7, s7
; %bb.5376:                             ;   in Loop: Header=BB6_4995 Depth=2
	s_delay_alu instid0(VALU_DEP_1)
	v_bfe_u32 v97, v144, 23, 1
; %bb.5377:                             ;   in Loop: Header=BB6_4995 Depth=2
	s_or_b32 exec_lo, exec_lo, s7
	v_lshrrev_b32_e32 v144, 21, v144
	s_delay_alu instid0(VALU_DEP_2) | instskip(SKIP_2) | instid1(VALU_DEP_2)
	v_cmp_gt_i32_e32 vcc_lo, 32, v97
	v_min_i32_e32 v147, 31, v97
	v_lshrrev_b32_e32 v98, 24, v98
	v_dual_cndmask_b32 v144, 3, v144 :: v_dual_lshlrev_b32 v147, 2, v147
	s_delay_alu instid0(VALU_DEP_2) | instskip(NEXT) | instid1(VALU_DEP_2)
	v_and_b32_e32 v98, 0x80, v98
	v_or_b32_e32 v97, v97, v144
	s_delay_alu instid0(VALU_DEP_1) | instskip(SKIP_1) | instid1(VALU_DEP_1)
	v_cmp_ne_u32_e32 vcc_lo, 0, v97
	v_and_b32_e32 v150, 3, v144
	v_or3_b32 v98, v147, v98, v150
	s_delay_alu instid0(VALU_DEP_1)
	v_cndmask_b32_e32 v97, 0, v98, vcc_lo
.LBB6_5378:                             ;   in Loop: Header=BB6_4995 Depth=2
	s_or_b32 exec_lo, exec_lo, s24
.LBB6_5379:                             ;   in Loop: Header=BB6_4995 Depth=2
	s_delay_alu instid0(SALU_CYCLE_1) | instskip(SKIP_3) | instid1(VALU_DEP_1)
	s_or_b32 exec_lo, exec_lo, s23
	v_and_b32_e32 v144, 0xff, v86
	s_mov_b32 s7, 0
	s_mov_b32 s24, exec_lo
                                        ; implicit-def: $sgpr23
	v_cmpx_lt_i16_e64 0x7f, v144
	s_xor_b32 s24, exec_lo, s24
	s_cbranch_execnz .LBB6_5697
; %bb.5380:                             ;   in Loop: Header=BB6_4995 Depth=2
	s_or_saveexec_b32 s24, s24
	v_mov_b32_e32 v98, s23
	s_xor_b32 exec_lo, exec_lo, s24
	s_cbranch_execnz .LBB6_5700
.LBB6_5381:                             ;   in Loop: Header=BB6_4995 Depth=2
	s_or_b32 exec_lo, exec_lo, s24
	s_and_saveexec_b32 s23, s7
	s_cbranch_execz .LBB6_5383
.LBB6_5382:                             ;   in Loop: Header=BB6_4995 Depth=2
	v_and_b32_e32 v98, 3, v86
	v_lshrrev_b16 v150, 2, v86
	s_delay_alu instid0(VALU_DEP_2) | instskip(NEXT) | instid1(VALU_DEP_2)
	v_clz_i32_u32_e32 v144, v98
	v_and_b32_e32 v150, 31, v150
	s_delay_alu instid0(VALU_DEP_2) | instskip(NEXT) | instid1(VALU_DEP_2)
	v_min_u32_e32 v144, 32, v144
	v_cmp_eq_u32_e32 vcc_lo, 0, v150
	s_delay_alu instid0(VALU_DEP_2) | instskip(SKIP_1) | instid1(VALU_DEP_1)
	v_subrev_nc_u32_e32 v147, 29, v144
	v_sub_nc_u32_e32 v144, 30, v144
	v_dual_cndmask_b32 v144, v150, v144 :: v_dual_lshlrev_b32 v147, v147, v86
	v_lshlrev_b32_e32 v86, 24, v86
	s_delay_alu instid0(VALU_DEP_2) | instskip(NEXT) | instid1(VALU_DEP_3)
	v_and_b32_e32 v147, 3, v147
	v_lshl_add_u32 v144, v144, 23, 0x37800000
	s_delay_alu instid0(VALU_DEP_3) | instskip(NEXT) | instid1(VALU_DEP_3)
	v_and_b32_e32 v86, 0x80000000, v86
	v_cndmask_b32_e32 v98, v98, v147, vcc_lo
	s_delay_alu instid0(VALU_DEP_1) | instskip(NEXT) | instid1(VALU_DEP_1)
	v_lshlrev_b32_e32 v98, 21, v98
	v_or3_b32 v98, v86, v144, v98
.LBB6_5383:                             ;   in Loop: Header=BB6_4995 Depth=2
	s_or_b32 exec_lo, exec_lo, s23
	s_waitcnt vmcnt(7) lgkmcnt(7)
	v_and_b32_e32 v144, 0xff, v85
	s_mov_b32 s7, 0
	s_mov_b32 s24, exec_lo
                                        ; implicit-def: $sgpr23
	s_delay_alu instid0(VALU_DEP_1)
	v_cmpx_lt_i16_e64 0x7f, v144
	s_xor_b32 s24, exec_lo, s24
	s_cbranch_execnz .LBB6_5701
; %bb.5384:                             ;   in Loop: Header=BB6_4995 Depth=2
	s_or_saveexec_b32 s24, s24
	v_mov_b32_e32 v86, s23
	s_xor_b32 exec_lo, exec_lo, s24
	s_cbranch_execnz .LBB6_5704
.LBB6_5385:                             ;   in Loop: Header=BB6_4995 Depth=2
	s_or_b32 exec_lo, exec_lo, s24
	s_and_saveexec_b32 s23, s7
	s_cbranch_execz .LBB6_5387
.LBB6_5386:                             ;   in Loop: Header=BB6_4995 Depth=2
	v_and_b32_e32 v86, 3, v85
	v_lshrrev_b16 v150, 2, v85
	s_delay_alu instid0(VALU_DEP_2) | instskip(NEXT) | instid1(VALU_DEP_2)
	v_clz_i32_u32_e32 v144, v86
	v_and_b32_e32 v150, 31, v150
	s_delay_alu instid0(VALU_DEP_2) | instskip(NEXT) | instid1(VALU_DEP_2)
	v_min_u32_e32 v144, 32, v144
	v_cmp_eq_u32_e32 vcc_lo, 0, v150
	s_delay_alu instid0(VALU_DEP_2) | instskip(SKIP_1) | instid1(VALU_DEP_1)
	v_subrev_nc_u32_e32 v147, 29, v144
	v_sub_nc_u32_e32 v144, 30, v144
	v_dual_cndmask_b32 v144, v150, v144 :: v_dual_lshlrev_b32 v147, v147, v85
	s_delay_alu instid0(VALU_DEP_1) | instskip(SKIP_1) | instid1(VALU_DEP_3)
	v_and_b32_e32 v147, 3, v147
	v_lshlrev_b32_e32 v85, 24, v85
	v_lshl_add_u32 v144, v144, 23, 0x37800000
	s_delay_alu instid0(VALU_DEP_2) | instskip(NEXT) | instid1(VALU_DEP_1)
	v_dual_cndmask_b32 v86, v86, v147 :: v_dual_and_b32 v85, 0x80000000, v85
	v_lshlrev_b32_e32 v86, 21, v86
	s_delay_alu instid0(VALU_DEP_1)
	v_or3_b32 v86, v85, v144, v86
.LBB6_5387:                             ;   in Loop: Header=BB6_4995 Depth=2
	s_or_b32 exec_lo, exec_lo, s23
	s_delay_alu instid0(VALU_DEP_1) | instskip(NEXT) | instid1(VALU_DEP_1)
	v_mul_f32_e32 v86, v98, v86
	v_and_b32_e32 v85, 0x7f800000, v86
	s_delay_alu instid0(VALU_DEP_1)
	v_cmp_ne_u32_e32 vcc_lo, 0x7f800000, v85
	v_mov_b32_e32 v85, 0x80
	s_and_saveexec_b32 s23, vcc_lo
	s_cbranch_execz .LBB6_5395
; %bb.5388:                             ;   in Loop: Header=BB6_4995 Depth=2
	v_mov_b32_e32 v85, 0
	s_mov_b32 s24, exec_lo
	v_cmpx_ne_u32_e32 0, v86
	s_cbranch_execz .LBB6_5394
; %bb.5389:                             ;   in Loop: Header=BB6_4995 Depth=2
	v_bfe_u32 v85, v86, 23, 8
	v_and_b32_e32 v98, 0x7fffff, v86
	s_delay_alu instid0(VALU_DEP_2) | instskip(SKIP_1) | instid1(VALU_DEP_3)
	v_sub_nc_u32_e32 v144, 0x70, v85
	v_cmp_gt_u32_e32 vcc_lo, 0x71, v85
	v_or_b32_e32 v147, 0x800000, v98
	s_delay_alu instid0(VALU_DEP_3) | instskip(SKIP_2) | instid1(VALU_DEP_3)
	v_cndmask_b32_e32 v144, 0, v144, vcc_lo
	v_cmp_eq_u32_e32 vcc_lo, 0, v85
	v_add_nc_u32_e32 v85, 0xffffff91, v85
	v_cndmask_b32_e64 v144, v144, 0x6f, vcc_lo
	v_cndmask_b32_e32 v98, v147, v98, vcc_lo
	s_delay_alu instid0(VALU_DEP_3) | instskip(NEXT) | instid1(VALU_DEP_3)
	v_cndmask_b32_e64 v85, v85, 0xffffff92, vcc_lo
	v_lshl_add_u32 v147, 0x200000, v144, -1
	s_delay_alu instid0(VALU_DEP_3) | instskip(SKIP_1) | instid1(VALU_DEP_4)
	v_lshrrev_b32_e32 v150, v144, v98
	v_lshlrev_b32_e64 v164, v144, 0x100000
	v_add_nc_u32_e32 v144, v144, v85
	s_delay_alu instid0(VALU_DEP_4) | instskip(NEXT) | instid1(VALU_DEP_4)
	v_and_b32_e32 v98, v147, v98
	v_bfe_u32 v161, v150, 21, 1
	s_delay_alu instid0(VALU_DEP_2) | instskip(NEXT) | instid1(VALU_DEP_2)
	v_cmp_eq_u32_e64 s7, v98, v164
	v_add_nc_u32_e32 v147, -1, v161
	s_delay_alu instid0(VALU_DEP_1) | instskip(SKIP_2) | instid1(VALU_DEP_2)
	v_cndmask_b32_e64 v98, 0, v147, s7
	v_lshrrev_b32_e32 v147, 23, v150
	s_mov_b32 s7, exec_lo
	v_add_nc_u32_e32 v98, v98, v150
	s_delay_alu instid0(VALU_DEP_2) | instskip(NEXT) | instid1(VALU_DEP_2)
	v_xor_b32_e32 v147, 1, v147
	v_and_b32_e32 v85, 0x1fffff, v98
	s_delay_alu instid0(VALU_DEP_1) | instskip(NEXT) | instid1(VALU_DEP_3)
	v_add_nc_u32_e32 v98, v85, v150
                                        ; implicit-def: $vgpr85
	v_cmpx_ne_u32_e64 v144, v147
	s_xor_b32 s7, exec_lo, s7
; %bb.5390:                             ;   in Loop: Header=BB6_4995 Depth=2
	s_delay_alu instid0(VALU_DEP_2) | instskip(SKIP_2) | instid1(VALU_DEP_2)
	v_cmp_lt_u32_e32 vcc_lo, 0xffffff, v98
	v_sub_nc_u32_e32 v85, v144, v147
	v_cndmask_b32_e64 v144, 0, 1, vcc_lo
	v_add_co_ci_u32_e32 v85, vcc_lo, 0, v85, vcc_lo
	s_delay_alu instid0(VALU_DEP_2)
	v_lshrrev_b32_e32 v98, v144, v98
; %bb.5391:                             ;   in Loop: Header=BB6_4995 Depth=2
	s_and_not1_saveexec_b32 s7, s7
; %bb.5392:                             ;   in Loop: Header=BB6_4995 Depth=2
	s_delay_alu instid0(VALU_DEP_1)
	v_bfe_u32 v85, v98, 23, 1
; %bb.5393:                             ;   in Loop: Header=BB6_4995 Depth=2
	s_or_b32 exec_lo, exec_lo, s7
	v_lshrrev_b32_e32 v98, 21, v98
	s_delay_alu instid0(VALU_DEP_2) | instskip(SKIP_2) | instid1(VALU_DEP_4)
	v_cmp_gt_i32_e32 vcc_lo, 32, v85
	v_lshrrev_b32_e32 v86, 24, v86
	v_min_i32_e32 v144, 31, v85
	v_cndmask_b32_e32 v98, 3, v98, vcc_lo
	s_delay_alu instid0(VALU_DEP_3) | instskip(NEXT) | instid1(VALU_DEP_2)
	v_and_b32_e32 v86, 0x80, v86
	v_or_b32_e32 v85, v85, v98
	v_and_b32_e32 v147, 3, v98
	s_delay_alu instid0(VALU_DEP_2) | instskip(SKIP_1) | instid1(VALU_DEP_1)
	v_cmp_ne_u32_e32 vcc_lo, 0, v85
	v_lshlrev_b32_e32 v144, 2, v144
	v_or3_b32 v86, v144, v86, v147
	s_delay_alu instid0(VALU_DEP_1)
	v_cndmask_b32_e32 v85, 0, v86, vcc_lo
.LBB6_5394:                             ;   in Loop: Header=BB6_4995 Depth=2
	s_or_b32 exec_lo, exec_lo, s24
.LBB6_5395:                             ;   in Loop: Header=BB6_4995 Depth=2
	s_delay_alu instid0(SALU_CYCLE_1) | instskip(SKIP_3) | instid1(VALU_DEP_1)
	s_or_b32 exec_lo, exec_lo, s23
	v_and_b32_e32 v98, 0xff, v50
	s_mov_b32 s7, 0
	s_mov_b32 s24, exec_lo
                                        ; implicit-def: $sgpr23
	v_cmpx_lt_i16_e32 0x7f, v98
	s_xor_b32 s24, exec_lo, s24
	s_cbranch_execnz .LBB6_5705
; %bb.5396:                             ;   in Loop: Header=BB6_4995 Depth=2
	s_or_saveexec_b32 s24, s24
	v_mov_b32_e32 v86, s23
	s_xor_b32 exec_lo, exec_lo, s24
	s_cbranch_execnz .LBB6_5708
.LBB6_5397:                             ;   in Loop: Header=BB6_4995 Depth=2
	s_or_b32 exec_lo, exec_lo, s24
	s_and_saveexec_b32 s23, s7
	s_cbranch_execz .LBB6_5399
.LBB6_5398:                             ;   in Loop: Header=BB6_4995 Depth=2
	v_and_b32_e32 v86, 3, v50
	v_lshrrev_b16 v147, 2, v50
	s_delay_alu instid0(VALU_DEP_2) | instskip(NEXT) | instid1(VALU_DEP_1)
	v_clz_i32_u32_e32 v98, v86
	v_min_u32_e32 v98, 32, v98
	s_delay_alu instid0(VALU_DEP_1) | instskip(SKIP_1) | instid1(VALU_DEP_2)
	v_subrev_nc_u32_e32 v144, 29, v98
	v_sub_nc_u32_e32 v98, 30, v98
	v_lshlrev_b32_e32 v144, v144, v50
	v_lshlrev_b32_e32 v50, 24, v50
	s_delay_alu instid0(VALU_DEP_2) | instskip(SKIP_1) | instid1(VALU_DEP_3)
	v_and_b32_e32 v144, 3, v144
	v_and_b32_e32 v147, 31, v147
	;; [unrolled: 1-line block ×3, first 2 shown]
	s_delay_alu instid0(VALU_DEP_2) | instskip(NEXT) | instid1(VALU_DEP_4)
	v_cmp_eq_u32_e32 vcc_lo, 0, v147
	v_cndmask_b32_e32 v86, v86, v144, vcc_lo
	v_cndmask_b32_e32 v98, v147, v98, vcc_lo
	s_delay_alu instid0(VALU_DEP_2) | instskip(NEXT) | instid1(VALU_DEP_2)
	v_lshlrev_b32_e32 v86, 21, v86
	v_lshl_add_u32 v98, v98, 23, 0x37800000
	s_delay_alu instid0(VALU_DEP_1)
	v_or3_b32 v86, v50, v98, v86
.LBB6_5399:                             ;   in Loop: Header=BB6_4995 Depth=2
	s_or_b32 exec_lo, exec_lo, s23
	s_waitcnt vmcnt(6) lgkmcnt(6)
	v_and_b32_e32 v98, 0xff, v49
	s_mov_b32 s7, 0
	s_mov_b32 s24, exec_lo
                                        ; implicit-def: $sgpr23
	s_delay_alu instid0(VALU_DEP_1)
	v_cmpx_lt_i16_e32 0x7f, v98
	s_xor_b32 s24, exec_lo, s24
	s_cbranch_execnz .LBB6_5709
; %bb.5400:                             ;   in Loop: Header=BB6_4995 Depth=2
	s_or_saveexec_b32 s24, s24
	v_mov_b32_e32 v50, s23
	s_xor_b32 exec_lo, exec_lo, s24
	s_cbranch_execnz .LBB6_5712
.LBB6_5401:                             ;   in Loop: Header=BB6_4995 Depth=2
	s_or_b32 exec_lo, exec_lo, s24
	s_and_saveexec_b32 s23, s7
	s_cbranch_execz .LBB6_5403
.LBB6_5402:                             ;   in Loop: Header=BB6_4995 Depth=2
	v_and_b32_e32 v50, 3, v49
	v_lshrrev_b16 v147, 2, v49
	s_delay_alu instid0(VALU_DEP_2) | instskip(NEXT) | instid1(VALU_DEP_1)
	v_clz_i32_u32_e32 v98, v50
	v_min_u32_e32 v98, 32, v98
	s_delay_alu instid0(VALU_DEP_1) | instskip(SKIP_1) | instid1(VALU_DEP_2)
	v_subrev_nc_u32_e32 v144, 29, v98
	v_sub_nc_u32_e32 v98, 30, v98
	v_lshlrev_b32_e32 v144, v144, v49
	s_delay_alu instid0(VALU_DEP_1) | instskip(SKIP_1) | instid1(VALU_DEP_1)
	v_and_b32_e32 v144, 3, v144
	v_and_b32_e32 v147, 31, v147
	v_cmp_eq_u32_e32 vcc_lo, 0, v147
	s_delay_alu instid0(VALU_DEP_3) | instskip(SKIP_1) | instid1(VALU_DEP_2)
	v_dual_cndmask_b32 v50, v50, v144 :: v_dual_lshlrev_b32 v49, 24, v49
	v_cndmask_b32_e32 v98, v147, v98, vcc_lo
	v_lshlrev_b32_e32 v50, 21, v50
	s_delay_alu instid0(VALU_DEP_3) | instskip(NEXT) | instid1(VALU_DEP_3)
	v_and_b32_e32 v49, 0x80000000, v49
	v_lshl_add_u32 v98, v98, 23, 0x37800000
	s_delay_alu instid0(VALU_DEP_1)
	v_or3_b32 v50, v49, v98, v50
.LBB6_5403:                             ;   in Loop: Header=BB6_4995 Depth=2
	s_or_b32 exec_lo, exec_lo, s23
	s_delay_alu instid0(VALU_DEP_1) | instskip(NEXT) | instid1(VALU_DEP_1)
	v_mul_f32_e32 v50, v86, v50
	v_and_b32_e32 v49, 0x7f800000, v50
	s_delay_alu instid0(VALU_DEP_1)
	v_cmp_ne_u32_e32 vcc_lo, 0x7f800000, v49
	v_mov_b32_e32 v49, 0x80
	s_and_saveexec_b32 s23, vcc_lo
	s_cbranch_execz .LBB6_5411
; %bb.5404:                             ;   in Loop: Header=BB6_4995 Depth=2
	v_mov_b32_e32 v49, 0
	s_mov_b32 s24, exec_lo
	v_cmpx_ne_u32_e32 0, v50
	s_cbranch_execz .LBB6_5410
; %bb.5405:                             ;   in Loop: Header=BB6_4995 Depth=2
	v_bfe_u32 v49, v50, 23, 8
	v_and_b32_e32 v86, 0x7fffff, v50
	s_delay_alu instid0(VALU_DEP_2) | instskip(SKIP_1) | instid1(VALU_DEP_3)
	v_sub_nc_u32_e32 v98, 0x70, v49
	v_cmp_gt_u32_e32 vcc_lo, 0x71, v49
	v_or_b32_e32 v144, 0x800000, v86
	s_delay_alu instid0(VALU_DEP_3) | instskip(SKIP_2) | instid1(VALU_DEP_3)
	v_cndmask_b32_e32 v98, 0, v98, vcc_lo
	v_cmp_eq_u32_e32 vcc_lo, 0, v49
	v_add_nc_u32_e32 v49, 0xffffff91, v49
	v_cndmask_b32_e64 v98, v98, 0x6f, vcc_lo
	v_cndmask_b32_e32 v86, v144, v86, vcc_lo
	s_delay_alu instid0(VALU_DEP_3) | instskip(NEXT) | instid1(VALU_DEP_3)
	v_cndmask_b32_e64 v49, v49, 0xffffff92, vcc_lo
	v_lshl_add_u32 v144, 0x200000, v98, -1
	s_delay_alu instid0(VALU_DEP_3) | instskip(SKIP_1) | instid1(VALU_DEP_4)
	v_lshrrev_b32_e32 v147, v98, v86
	v_lshlrev_b32_e64 v161, v98, 0x100000
	v_add_nc_u32_e32 v98, v98, v49
	s_delay_alu instid0(VALU_DEP_4) | instskip(NEXT) | instid1(VALU_DEP_4)
	v_and_b32_e32 v86, v144, v86
	v_bfe_u32 v150, v147, 21, 1
	s_delay_alu instid0(VALU_DEP_2) | instskip(NEXT) | instid1(VALU_DEP_2)
	v_cmp_eq_u32_e64 s7, v86, v161
	v_add_nc_u32_e32 v144, -1, v150
	s_delay_alu instid0(VALU_DEP_1) | instskip(SKIP_2) | instid1(VALU_DEP_2)
	v_cndmask_b32_e64 v86, 0, v144, s7
	v_lshrrev_b32_e32 v144, 23, v147
	s_mov_b32 s7, exec_lo
	v_add_nc_u32_e32 v86, v86, v147
	s_delay_alu instid0(VALU_DEP_2) | instskip(NEXT) | instid1(VALU_DEP_2)
	v_xor_b32_e32 v144, 1, v144
	v_and_b32_e32 v49, 0x1fffff, v86
	s_delay_alu instid0(VALU_DEP_1) | instskip(NEXT) | instid1(VALU_DEP_3)
	v_add_nc_u32_e32 v86, v49, v147
                                        ; implicit-def: $vgpr49
	v_cmpx_ne_u32_e64 v98, v144
	s_xor_b32 s7, exec_lo, s7
; %bb.5406:                             ;   in Loop: Header=BB6_4995 Depth=2
	s_delay_alu instid0(VALU_DEP_2) | instskip(SKIP_2) | instid1(VALU_DEP_2)
	v_cmp_lt_u32_e32 vcc_lo, 0xffffff, v86
	v_sub_nc_u32_e32 v49, v98, v144
	v_cndmask_b32_e64 v98, 0, 1, vcc_lo
	v_add_co_ci_u32_e32 v49, vcc_lo, 0, v49, vcc_lo
	s_delay_alu instid0(VALU_DEP_2)
	v_lshrrev_b32_e32 v86, v98, v86
; %bb.5407:                             ;   in Loop: Header=BB6_4995 Depth=2
	s_and_not1_saveexec_b32 s7, s7
; %bb.5408:                             ;   in Loop: Header=BB6_4995 Depth=2
	s_delay_alu instid0(VALU_DEP_1)
	v_bfe_u32 v49, v86, 23, 1
; %bb.5409:                             ;   in Loop: Header=BB6_4995 Depth=2
	s_or_b32 exec_lo, exec_lo, s7
	v_lshrrev_b32_e32 v86, 21, v86
	s_delay_alu instid0(VALU_DEP_2) | instskip(SKIP_2) | instid1(VALU_DEP_4)
	v_cmp_gt_i32_e32 vcc_lo, 32, v49
	v_lshrrev_b32_e32 v50, 24, v50
	v_min_i32_e32 v98, 31, v49
	v_cndmask_b32_e32 v86, 3, v86, vcc_lo
	s_delay_alu instid0(VALU_DEP_3) | instskip(NEXT) | instid1(VALU_DEP_3)
	v_and_b32_e32 v50, 0x80, v50
	v_lshlrev_b32_e32 v98, 2, v98
	s_delay_alu instid0(VALU_DEP_3) | instskip(SKIP_1) | instid1(VALU_DEP_2)
	v_and_b32_e32 v144, 3, v86
	v_or_b32_e32 v49, v49, v86
	v_or3_b32 v50, v98, v50, v144
	s_delay_alu instid0(VALU_DEP_2) | instskip(NEXT) | instid1(VALU_DEP_2)
	v_cmp_ne_u32_e32 vcc_lo, 0, v49
	v_cndmask_b32_e32 v49, 0, v50, vcc_lo
.LBB6_5410:                             ;   in Loop: Header=BB6_4995 Depth=2
	s_or_b32 exec_lo, exec_lo, s24
.LBB6_5411:                             ;   in Loop: Header=BB6_4995 Depth=2
	s_delay_alu instid0(SALU_CYCLE_1) | instskip(SKIP_3) | instid1(VALU_DEP_1)
	s_or_b32 exec_lo, exec_lo, s23
	v_and_b32_e32 v86, 0xff, v39
	s_mov_b32 s7, 0
	s_mov_b32 s24, exec_lo
                                        ; implicit-def: $sgpr23
	v_cmpx_lt_i16_e32 0x7f, v86
	s_xor_b32 s24, exec_lo, s24
	s_cbranch_execnz .LBB6_5713
; %bb.5412:                             ;   in Loop: Header=BB6_4995 Depth=2
	s_or_saveexec_b32 s24, s24
	v_mov_b32_e32 v50, s23
	s_xor_b32 exec_lo, exec_lo, s24
	s_cbranch_execnz .LBB6_5716
.LBB6_5413:                             ;   in Loop: Header=BB6_4995 Depth=2
	s_or_b32 exec_lo, exec_lo, s24
	s_and_saveexec_b32 s23, s7
	s_cbranch_execz .LBB6_5415
.LBB6_5414:                             ;   in Loop: Header=BB6_4995 Depth=2
	v_and_b32_e32 v50, 3, v39
	v_lshrrev_b16 v144, 2, v39
	s_delay_alu instid0(VALU_DEP_2) | instskip(NEXT) | instid1(VALU_DEP_2)
	v_clz_i32_u32_e32 v86, v50
	v_and_b32_e32 v144, 31, v144
	s_delay_alu instid0(VALU_DEP_2) | instskip(NEXT) | instid1(VALU_DEP_2)
	v_min_u32_e32 v86, 32, v86
	v_cmp_eq_u32_e32 vcc_lo, 0, v144
	s_delay_alu instid0(VALU_DEP_2) | instskip(SKIP_1) | instid1(VALU_DEP_2)
	v_subrev_nc_u32_e32 v98, 29, v86
	v_sub_nc_u32_e32 v86, 30, v86
	v_lshlrev_b32_e32 v98, v98, v39
	s_delay_alu instid0(VALU_DEP_2) | instskip(NEXT) | instid1(VALU_DEP_2)
	v_dual_cndmask_b32 v86, v144, v86 :: v_dual_lshlrev_b32 v39, 24, v39
	v_and_b32_e32 v98, 3, v98
	s_delay_alu instid0(VALU_DEP_2) | instskip(NEXT) | instid1(VALU_DEP_3)
	v_and_b32_e32 v39, 0x80000000, v39
	v_lshl_add_u32 v86, v86, 23, 0x37800000
	s_delay_alu instid0(VALU_DEP_3) | instskip(NEXT) | instid1(VALU_DEP_1)
	v_cndmask_b32_e32 v50, v50, v98, vcc_lo
	v_lshlrev_b32_e32 v50, 21, v50
	s_delay_alu instid0(VALU_DEP_1)
	v_or3_b32 v50, v39, v86, v50
.LBB6_5415:                             ;   in Loop: Header=BB6_4995 Depth=2
	s_or_b32 exec_lo, exec_lo, s23
	s_waitcnt vmcnt(5) lgkmcnt(5)
	v_and_b32_e32 v86, 0xff, v38
	s_mov_b32 s7, 0
	s_mov_b32 s24, exec_lo
                                        ; implicit-def: $sgpr23
	s_delay_alu instid0(VALU_DEP_1)
	v_cmpx_lt_i16_e32 0x7f, v86
	s_xor_b32 s24, exec_lo, s24
	s_cbranch_execnz .LBB6_5717
; %bb.5416:                             ;   in Loop: Header=BB6_4995 Depth=2
	s_or_saveexec_b32 s24, s24
	v_mov_b32_e32 v39, s23
	s_xor_b32 exec_lo, exec_lo, s24
	s_cbranch_execnz .LBB6_5720
.LBB6_5417:                             ;   in Loop: Header=BB6_4995 Depth=2
	s_or_b32 exec_lo, exec_lo, s24
	s_and_saveexec_b32 s23, s7
	s_cbranch_execz .LBB6_5419
.LBB6_5418:                             ;   in Loop: Header=BB6_4995 Depth=2
	v_and_b32_e32 v39, 3, v38
	v_lshrrev_b16 v144, 2, v38
	s_delay_alu instid0(VALU_DEP_2) | instskip(NEXT) | instid1(VALU_DEP_1)
	v_clz_i32_u32_e32 v86, v39
	v_min_u32_e32 v86, 32, v86
	s_delay_alu instid0(VALU_DEP_1) | instskip(SKIP_1) | instid1(VALU_DEP_2)
	v_subrev_nc_u32_e32 v98, 29, v86
	v_sub_nc_u32_e32 v86, 30, v86
	v_lshlrev_b32_e32 v98, v98, v38
	v_lshlrev_b32_e32 v38, 24, v38
	s_delay_alu instid0(VALU_DEP_2) | instskip(SKIP_1) | instid1(VALU_DEP_3)
	v_and_b32_e32 v98, 3, v98
	v_and_b32_e32 v144, 31, v144
	;; [unrolled: 1-line block ×3, first 2 shown]
	s_delay_alu instid0(VALU_DEP_2) | instskip(NEXT) | instid1(VALU_DEP_4)
	v_cmp_eq_u32_e32 vcc_lo, 0, v144
	v_cndmask_b32_e32 v39, v39, v98, vcc_lo
	s_delay_alu instid0(VALU_DEP_1) | instskip(NEXT) | instid1(VALU_DEP_1)
	v_dual_cndmask_b32 v86, v144, v86 :: v_dual_lshlrev_b32 v39, 21, v39
	v_lshl_add_u32 v86, v86, 23, 0x37800000
	s_delay_alu instid0(VALU_DEP_1)
	v_or3_b32 v39, v38, v86, v39
.LBB6_5419:                             ;   in Loop: Header=BB6_4995 Depth=2
	s_or_b32 exec_lo, exec_lo, s23
	s_delay_alu instid0(VALU_DEP_1) | instskip(NEXT) | instid1(VALU_DEP_1)
	v_mul_f32_e32 v39, v50, v39
	v_and_b32_e32 v38, 0x7f800000, v39
	s_delay_alu instid0(VALU_DEP_1)
	v_cmp_ne_u32_e32 vcc_lo, 0x7f800000, v38
	v_mov_b32_e32 v38, 0x80
	s_and_saveexec_b32 s23, vcc_lo
	s_cbranch_execz .LBB6_5427
; %bb.5420:                             ;   in Loop: Header=BB6_4995 Depth=2
	v_mov_b32_e32 v38, 0
	s_mov_b32 s24, exec_lo
	v_cmpx_ne_u32_e32 0, v39
	s_cbranch_execz .LBB6_5426
; %bb.5421:                             ;   in Loop: Header=BB6_4995 Depth=2
	v_bfe_u32 v38, v39, 23, 8
	v_and_b32_e32 v50, 0x7fffff, v39
	s_delay_alu instid0(VALU_DEP_2) | instskip(SKIP_1) | instid1(VALU_DEP_3)
	v_sub_nc_u32_e32 v86, 0x70, v38
	v_cmp_gt_u32_e32 vcc_lo, 0x71, v38
	v_or_b32_e32 v98, 0x800000, v50
	s_delay_alu instid0(VALU_DEP_3) | instskip(SKIP_2) | instid1(VALU_DEP_3)
	v_cndmask_b32_e32 v86, 0, v86, vcc_lo
	v_cmp_eq_u32_e32 vcc_lo, 0, v38
	v_add_nc_u32_e32 v38, 0xffffff91, v38
	v_cndmask_b32_e64 v86, v86, 0x6f, vcc_lo
	v_cndmask_b32_e32 v50, v98, v50, vcc_lo
	s_delay_alu instid0(VALU_DEP_3) | instskip(NEXT) | instid1(VALU_DEP_3)
	v_cndmask_b32_e64 v38, v38, 0xffffff92, vcc_lo
	v_lshl_add_u32 v98, 0x200000, v86, -1
	s_delay_alu instid0(VALU_DEP_3) | instskip(SKIP_1) | instid1(VALU_DEP_4)
	v_lshrrev_b32_e32 v144, v86, v50
	v_lshlrev_b32_e64 v150, v86, 0x100000
	v_add_nc_u32_e32 v86, v86, v38
	s_delay_alu instid0(VALU_DEP_4) | instskip(NEXT) | instid1(VALU_DEP_4)
	v_and_b32_e32 v50, v98, v50
	v_bfe_u32 v147, v144, 21, 1
	s_delay_alu instid0(VALU_DEP_2) | instskip(NEXT) | instid1(VALU_DEP_2)
	v_cmp_eq_u32_e64 s7, v50, v150
	v_add_nc_u32_e32 v98, -1, v147
	s_delay_alu instid0(VALU_DEP_1) | instskip(SKIP_2) | instid1(VALU_DEP_2)
	v_cndmask_b32_e64 v50, 0, v98, s7
	v_lshrrev_b32_e32 v98, 23, v144
	s_mov_b32 s7, exec_lo
	v_add_nc_u32_e32 v50, v50, v144
	s_delay_alu instid0(VALU_DEP_2) | instskip(NEXT) | instid1(VALU_DEP_2)
	v_xor_b32_e32 v98, 1, v98
	v_and_b32_e32 v38, 0x1fffff, v50
	s_delay_alu instid0(VALU_DEP_1) | instskip(NEXT) | instid1(VALU_DEP_3)
	v_add_nc_u32_e32 v50, v38, v144
                                        ; implicit-def: $vgpr38
	v_cmpx_ne_u32_e64 v86, v98
	s_xor_b32 s7, exec_lo, s7
; %bb.5422:                             ;   in Loop: Header=BB6_4995 Depth=2
	s_delay_alu instid0(VALU_DEP_2) | instskip(SKIP_2) | instid1(VALU_DEP_2)
	v_cmp_lt_u32_e32 vcc_lo, 0xffffff, v50
	v_sub_nc_u32_e32 v38, v86, v98
	v_cndmask_b32_e64 v86, 0, 1, vcc_lo
	v_add_co_ci_u32_e32 v38, vcc_lo, 0, v38, vcc_lo
	s_delay_alu instid0(VALU_DEP_2)
	v_lshrrev_b32_e32 v50, v86, v50
; %bb.5423:                             ;   in Loop: Header=BB6_4995 Depth=2
	s_and_not1_saveexec_b32 s7, s7
; %bb.5424:                             ;   in Loop: Header=BB6_4995 Depth=2
	s_delay_alu instid0(VALU_DEP_1)
	v_bfe_u32 v38, v50, 23, 1
; %bb.5425:                             ;   in Loop: Header=BB6_4995 Depth=2
	s_or_b32 exec_lo, exec_lo, s7
	v_lshrrev_b32_e32 v50, 21, v50
	s_delay_alu instid0(VALU_DEP_2) | instskip(SKIP_2) | instid1(VALU_DEP_2)
	v_cmp_gt_i32_e32 vcc_lo, 32, v38
	v_lshrrev_b32_e32 v39, 24, v39
	v_min_i32_e32 v86, 31, v38
	v_dual_cndmask_b32 v50, 3, v50 :: v_dual_and_b32 v39, 0x80, v39
	s_delay_alu instid0(VALU_DEP_2) | instskip(NEXT) | instid1(VALU_DEP_2)
	v_lshlrev_b32_e32 v86, 2, v86
	v_and_b32_e32 v98, 3, v50
	v_or_b32_e32 v38, v38, v50
	s_delay_alu instid0(VALU_DEP_2) | instskip(NEXT) | instid1(VALU_DEP_2)
	v_or3_b32 v39, v86, v39, v98
	v_cmp_ne_u32_e32 vcc_lo, 0, v38
	s_delay_alu instid0(VALU_DEP_2)
	v_cndmask_b32_e32 v38, 0, v39, vcc_lo
.LBB6_5426:                             ;   in Loop: Header=BB6_4995 Depth=2
	s_or_b32 exec_lo, exec_lo, s24
.LBB6_5427:                             ;   in Loop: Header=BB6_4995 Depth=2
	s_delay_alu instid0(SALU_CYCLE_1) | instskip(SKIP_3) | instid1(VALU_DEP_1)
	s_or_b32 exec_lo, exec_lo, s23
	v_and_b32_e32 v50, 0xff, v36
	s_mov_b32 s7, 0
	s_mov_b32 s24, exec_lo
                                        ; implicit-def: $sgpr23
	v_cmpx_lt_i16_e32 0x7f, v50
	s_xor_b32 s24, exec_lo, s24
	s_cbranch_execnz .LBB6_5721
; %bb.5428:                             ;   in Loop: Header=BB6_4995 Depth=2
	s_or_saveexec_b32 s24, s24
	v_mov_b32_e32 v39, s23
	s_xor_b32 exec_lo, exec_lo, s24
	s_cbranch_execnz .LBB6_5724
.LBB6_5429:                             ;   in Loop: Header=BB6_4995 Depth=2
	s_or_b32 exec_lo, exec_lo, s24
	s_and_saveexec_b32 s23, s7
	s_cbranch_execz .LBB6_5431
.LBB6_5430:                             ;   in Loop: Header=BB6_4995 Depth=2
	v_lshrrev_b16 v98, 2, v36
	s_delay_alu instid0(VALU_DEP_1) | instskip(NEXT) | instid1(VALU_DEP_1)
	v_and_b32_e32 v98, 31, v98
	v_cmp_eq_u32_e32 vcc_lo, 0, v98
	v_and_b32_e32 v39, 3, v36
	s_delay_alu instid0(VALU_DEP_1) | instskip(NEXT) | instid1(VALU_DEP_1)
	v_clz_i32_u32_e32 v50, v39
	v_min_u32_e32 v50, 32, v50
	s_delay_alu instid0(VALU_DEP_1) | instskip(SKIP_1) | instid1(VALU_DEP_2)
	v_subrev_nc_u32_e32 v86, 29, v50
	v_sub_nc_u32_e32 v50, 30, v50
	v_lshlrev_b32_e32 v86, v86, v36
	s_delay_alu instid0(VALU_DEP_2) | instskip(NEXT) | instid1(VALU_DEP_2)
	v_cndmask_b32_e32 v50, v98, v50, vcc_lo
	v_and_b32_e32 v86, 3, v86
	v_lshlrev_b32_e32 v36, 24, v36
	s_delay_alu instid0(VALU_DEP_3) | instskip(NEXT) | instid1(VALU_DEP_2)
	v_lshl_add_u32 v50, v50, 23, 0x37800000
	v_dual_cndmask_b32 v39, v39, v86 :: v_dual_and_b32 v36, 0x80000000, v36
	s_delay_alu instid0(VALU_DEP_1) | instskip(NEXT) | instid1(VALU_DEP_1)
	v_lshlrev_b32_e32 v39, 21, v39
	v_or3_b32 v39, v36, v50, v39
.LBB6_5431:                             ;   in Loop: Header=BB6_4995 Depth=2
	s_or_b32 exec_lo, exec_lo, s23
	s_waitcnt vmcnt(4) lgkmcnt(4)
	v_and_b32_e32 v50, 0xff, v35
	s_mov_b32 s7, 0
	s_mov_b32 s24, exec_lo
                                        ; implicit-def: $sgpr23
	s_delay_alu instid0(VALU_DEP_1)
	v_cmpx_lt_i16_e32 0x7f, v50
	s_xor_b32 s24, exec_lo, s24
	s_cbranch_execnz .LBB6_5725
; %bb.5432:                             ;   in Loop: Header=BB6_4995 Depth=2
	s_or_saveexec_b32 s24, s24
	v_mov_b32_e32 v36, s23
	s_xor_b32 exec_lo, exec_lo, s24
	s_cbranch_execnz .LBB6_5728
.LBB6_5433:                             ;   in Loop: Header=BB6_4995 Depth=2
	s_or_b32 exec_lo, exec_lo, s24
	s_and_saveexec_b32 s23, s7
	s_cbranch_execz .LBB6_5435
.LBB6_5434:                             ;   in Loop: Header=BB6_4995 Depth=2
	v_and_b32_e32 v36, 3, v35
	v_lshrrev_b16 v98, 2, v35
	s_delay_alu instid0(VALU_DEP_2) | instskip(NEXT) | instid1(VALU_DEP_2)
	v_clz_i32_u32_e32 v50, v36
	v_and_b32_e32 v98, 31, v98
	s_delay_alu instid0(VALU_DEP_2) | instskip(NEXT) | instid1(VALU_DEP_2)
	v_min_u32_e32 v50, 32, v50
	v_cmp_eq_u32_e32 vcc_lo, 0, v98
	s_delay_alu instid0(VALU_DEP_2) | instskip(SKIP_1) | instid1(VALU_DEP_2)
	v_subrev_nc_u32_e32 v86, 29, v50
	v_sub_nc_u32_e32 v50, 30, v50
	v_lshlrev_b32_e32 v86, v86, v35
	s_delay_alu instid0(VALU_DEP_2) | instskip(NEXT) | instid1(VALU_DEP_2)
	v_dual_cndmask_b32 v50, v98, v50 :: v_dual_lshlrev_b32 v35, 24, v35
	v_and_b32_e32 v86, 3, v86
	s_delay_alu instid0(VALU_DEP_2) | instskip(NEXT) | instid1(VALU_DEP_3)
	v_and_b32_e32 v35, 0x80000000, v35
	v_lshl_add_u32 v50, v50, 23, 0x37800000
	s_delay_alu instid0(VALU_DEP_3) | instskip(NEXT) | instid1(VALU_DEP_1)
	v_cndmask_b32_e32 v36, v36, v86, vcc_lo
	v_lshlrev_b32_e32 v36, 21, v36
	s_delay_alu instid0(VALU_DEP_1)
	v_or3_b32 v36, v35, v50, v36
.LBB6_5435:                             ;   in Loop: Header=BB6_4995 Depth=2
	s_or_b32 exec_lo, exec_lo, s23
	s_delay_alu instid0(VALU_DEP_1) | instskip(NEXT) | instid1(VALU_DEP_1)
	v_mul_f32_e32 v36, v39, v36
	v_and_b32_e32 v35, 0x7f800000, v36
	s_delay_alu instid0(VALU_DEP_1)
	v_cmp_ne_u32_e32 vcc_lo, 0x7f800000, v35
	v_mov_b32_e32 v35, 0x80
	s_and_saveexec_b32 s23, vcc_lo
	s_cbranch_execz .LBB6_5443
; %bb.5436:                             ;   in Loop: Header=BB6_4995 Depth=2
	v_mov_b32_e32 v35, 0
	s_mov_b32 s24, exec_lo
	v_cmpx_ne_u32_e32 0, v36
	s_cbranch_execz .LBB6_5442
; %bb.5437:                             ;   in Loop: Header=BB6_4995 Depth=2
	v_bfe_u32 v35, v36, 23, 8
	s_delay_alu instid0(VALU_DEP_1) | instskip(SKIP_1) | instid1(VALU_DEP_2)
	v_sub_nc_u32_e32 v50, 0x70, v35
	v_cmp_gt_u32_e32 vcc_lo, 0x71, v35
	v_dual_cndmask_b32 v50, 0, v50 :: v_dual_and_b32 v39, 0x7fffff, v36
	s_delay_alu instid0(VALU_DEP_1) | instskip(SKIP_2) | instid1(VALU_DEP_4)
	v_or_b32_e32 v86, 0x800000, v39
	v_cmp_eq_u32_e32 vcc_lo, 0, v35
	v_add_nc_u32_e32 v35, 0xffffff91, v35
	v_cndmask_b32_e64 v50, v50, 0x6f, vcc_lo
	s_delay_alu instid0(VALU_DEP_4) | instskip(NEXT) | instid1(VALU_DEP_3)
	v_cndmask_b32_e32 v39, v86, v39, vcc_lo
	v_cndmask_b32_e64 v35, v35, 0xffffff92, vcc_lo
	s_delay_alu instid0(VALU_DEP_3) | instskip(NEXT) | instid1(VALU_DEP_3)
	v_lshl_add_u32 v86, 0x200000, v50, -1
	v_lshrrev_b32_e32 v98, v50, v39
	v_lshlrev_b32_e64 v147, v50, 0x100000
	s_delay_alu instid0(VALU_DEP_4) | instskip(NEXT) | instid1(VALU_DEP_4)
	v_add_nc_u32_e32 v50, v50, v35
	v_and_b32_e32 v39, v86, v39
	s_delay_alu instid0(VALU_DEP_4) | instskip(NEXT) | instid1(VALU_DEP_2)
	v_bfe_u32 v144, v98, 21, 1
	v_cmp_eq_u32_e64 s7, v39, v147
	s_delay_alu instid0(VALU_DEP_2) | instskip(NEXT) | instid1(VALU_DEP_1)
	v_add_nc_u32_e32 v86, -1, v144
	v_cndmask_b32_e64 v39, 0, v86, s7
	v_lshrrev_b32_e32 v86, 23, v98
	s_mov_b32 s7, exec_lo
	s_delay_alu instid0(VALU_DEP_2) | instskip(NEXT) | instid1(VALU_DEP_2)
	v_add_nc_u32_e32 v39, v39, v98
	v_xor_b32_e32 v86, 1, v86
	s_delay_alu instid0(VALU_DEP_2) | instskip(NEXT) | instid1(VALU_DEP_1)
	v_and_b32_e32 v35, 0x1fffff, v39
	v_add_nc_u32_e32 v39, v35, v98
                                        ; implicit-def: $vgpr35
	s_delay_alu instid0(VALU_DEP_3)
	v_cmpx_ne_u32_e64 v50, v86
	s_xor_b32 s7, exec_lo, s7
; %bb.5438:                             ;   in Loop: Header=BB6_4995 Depth=2
	s_delay_alu instid0(VALU_DEP_2) | instskip(SKIP_2) | instid1(VALU_DEP_2)
	v_cmp_lt_u32_e32 vcc_lo, 0xffffff, v39
	v_sub_nc_u32_e32 v35, v50, v86
	v_cndmask_b32_e64 v50, 0, 1, vcc_lo
	v_add_co_ci_u32_e32 v35, vcc_lo, 0, v35, vcc_lo
	s_delay_alu instid0(VALU_DEP_2)
	v_lshrrev_b32_e32 v39, v50, v39
; %bb.5439:                             ;   in Loop: Header=BB6_4995 Depth=2
	s_and_not1_saveexec_b32 s7, s7
; %bb.5440:                             ;   in Loop: Header=BB6_4995 Depth=2
	s_delay_alu instid0(VALU_DEP_1)
	v_bfe_u32 v35, v39, 23, 1
; %bb.5441:                             ;   in Loop: Header=BB6_4995 Depth=2
	s_or_b32 exec_lo, exec_lo, s7
	v_lshrrev_b32_e32 v39, 21, v39
	s_delay_alu instid0(VALU_DEP_2) | instskip(SKIP_2) | instid1(VALU_DEP_2)
	v_cmp_gt_i32_e32 vcc_lo, 32, v35
	v_lshrrev_b32_e32 v36, 24, v36
	v_min_i32_e32 v50, 31, v35
	v_dual_cndmask_b32 v39, 3, v39 :: v_dual_and_b32 v36, 0x80, v36
	s_delay_alu instid0(VALU_DEP_2) | instskip(NEXT) | instid1(VALU_DEP_2)
	v_lshlrev_b32_e32 v50, 2, v50
	v_or_b32_e32 v35, v35, v39
	s_delay_alu instid0(VALU_DEP_1) | instskip(SKIP_1) | instid1(VALU_DEP_1)
	v_cmp_ne_u32_e32 vcc_lo, 0, v35
	v_and_b32_e32 v86, 3, v39
	v_or3_b32 v36, v50, v36, v86
	s_delay_alu instid0(VALU_DEP_1)
	v_cndmask_b32_e32 v35, 0, v36, vcc_lo
.LBB6_5442:                             ;   in Loop: Header=BB6_4995 Depth=2
	s_or_b32 exec_lo, exec_lo, s24
.LBB6_5443:                             ;   in Loop: Header=BB6_4995 Depth=2
	s_delay_alu instid0(SALU_CYCLE_1) | instskip(SKIP_3) | instid1(VALU_DEP_1)
	s_or_b32 exec_lo, exec_lo, s23
	v_and_b32_e32 v39, 0xff, v33
	s_mov_b32 s7, 0
	s_mov_b32 s24, exec_lo
                                        ; implicit-def: $sgpr23
	v_cmpx_lt_i16_e32 0x7f, v39
	s_xor_b32 s24, exec_lo, s24
	s_cbranch_execnz .LBB6_5729
; %bb.5444:                             ;   in Loop: Header=BB6_4995 Depth=2
	s_or_saveexec_b32 s24, s24
	v_mov_b32_e32 v36, s23
	s_xor_b32 exec_lo, exec_lo, s24
	s_cbranch_execnz .LBB6_5732
.LBB6_5445:                             ;   in Loop: Header=BB6_4995 Depth=2
	s_or_b32 exec_lo, exec_lo, s24
	s_and_saveexec_b32 s23, s7
	s_cbranch_execz .LBB6_5447
.LBB6_5446:                             ;   in Loop: Header=BB6_4995 Depth=2
	v_lshrrev_b16 v86, 2, v33
	s_delay_alu instid0(VALU_DEP_1) | instskip(NEXT) | instid1(VALU_DEP_1)
	v_and_b32_e32 v86, 31, v86
	v_cmp_eq_u32_e32 vcc_lo, 0, v86
	v_and_b32_e32 v36, 3, v33
	s_delay_alu instid0(VALU_DEP_1) | instskip(NEXT) | instid1(VALU_DEP_1)
	v_clz_i32_u32_e32 v39, v36
	v_min_u32_e32 v39, 32, v39
	s_delay_alu instid0(VALU_DEP_1) | instskip(SKIP_1) | instid1(VALU_DEP_2)
	v_subrev_nc_u32_e32 v50, 29, v39
	v_sub_nc_u32_e32 v39, 30, v39
	v_lshlrev_b32_e32 v50, v50, v33
	s_delay_alu instid0(VALU_DEP_1) | instskip(SKIP_1) | instid1(VALU_DEP_2)
	v_dual_cndmask_b32 v39, v86, v39 :: v_dual_and_b32 v50, 3, v50
	v_lshlrev_b32_e32 v33, 24, v33
	v_lshl_add_u32 v39, v39, 23, 0x37800000
	s_delay_alu instid0(VALU_DEP_2) | instskip(NEXT) | instid1(VALU_DEP_1)
	v_dual_cndmask_b32 v36, v36, v50 :: v_dual_and_b32 v33, 0x80000000, v33
	v_lshlrev_b32_e32 v36, 21, v36
	s_delay_alu instid0(VALU_DEP_1)
	v_or3_b32 v36, v33, v39, v36
.LBB6_5447:                             ;   in Loop: Header=BB6_4995 Depth=2
	s_or_b32 exec_lo, exec_lo, s23
	s_waitcnt vmcnt(3) lgkmcnt(3)
	v_and_b32_e32 v39, 0xff, v32
	s_mov_b32 s7, 0
	s_mov_b32 s24, exec_lo
                                        ; implicit-def: $sgpr23
	s_delay_alu instid0(VALU_DEP_1)
	v_cmpx_lt_i16_e32 0x7f, v39
	s_xor_b32 s24, exec_lo, s24
	s_cbranch_execnz .LBB6_5733
; %bb.5448:                             ;   in Loop: Header=BB6_4995 Depth=2
	s_or_saveexec_b32 s24, s24
	v_mov_b32_e32 v33, s23
	s_xor_b32 exec_lo, exec_lo, s24
	s_cbranch_execnz .LBB6_5736
.LBB6_5449:                             ;   in Loop: Header=BB6_4995 Depth=2
	s_or_b32 exec_lo, exec_lo, s24
	s_and_saveexec_b32 s23, s7
	s_cbranch_execz .LBB6_5451
.LBB6_5450:                             ;   in Loop: Header=BB6_4995 Depth=2
	v_and_b32_e32 v33, 3, v32
	v_lshrrev_b16 v86, 2, v32
	s_delay_alu instid0(VALU_DEP_2) | instskip(NEXT) | instid1(VALU_DEP_2)
	v_clz_i32_u32_e32 v39, v33
	v_and_b32_e32 v86, 31, v86
	s_delay_alu instid0(VALU_DEP_2) | instskip(NEXT) | instid1(VALU_DEP_2)
	v_min_u32_e32 v39, 32, v39
	v_cmp_eq_u32_e32 vcc_lo, 0, v86
	s_delay_alu instid0(VALU_DEP_2) | instskip(SKIP_1) | instid1(VALU_DEP_2)
	v_subrev_nc_u32_e32 v50, 29, v39
	v_sub_nc_u32_e32 v39, 30, v39
	v_lshlrev_b32_e32 v50, v50, v32
	s_delay_alu instid0(VALU_DEP_1) | instskip(SKIP_1) | instid1(VALU_DEP_2)
	v_dual_cndmask_b32 v39, v86, v39 :: v_dual_and_b32 v50, 3, v50
	v_lshlrev_b32_e32 v32, 24, v32
	v_lshl_add_u32 v39, v39, 23, 0x37800000
	s_delay_alu instid0(VALU_DEP_2) | instskip(NEXT) | instid1(VALU_DEP_1)
	v_dual_cndmask_b32 v33, v33, v50 :: v_dual_and_b32 v32, 0x80000000, v32
	v_lshlrev_b32_e32 v33, 21, v33
	s_delay_alu instid0(VALU_DEP_1)
	v_or3_b32 v33, v32, v39, v33
.LBB6_5451:                             ;   in Loop: Header=BB6_4995 Depth=2
	s_or_b32 exec_lo, exec_lo, s23
	s_delay_alu instid0(VALU_DEP_1) | instskip(NEXT) | instid1(VALU_DEP_1)
	v_mul_f32_e32 v33, v36, v33
	v_and_b32_e32 v32, 0x7f800000, v33
	s_delay_alu instid0(VALU_DEP_1)
	v_cmp_ne_u32_e32 vcc_lo, 0x7f800000, v32
	v_mov_b32_e32 v32, 0x80
	s_and_saveexec_b32 s23, vcc_lo
	s_cbranch_execz .LBB6_5459
; %bb.5452:                             ;   in Loop: Header=BB6_4995 Depth=2
	v_mov_b32_e32 v32, 0
	s_mov_b32 s24, exec_lo
	v_cmpx_ne_u32_e32 0, v33
	s_cbranch_execz .LBB6_5458
; %bb.5453:                             ;   in Loop: Header=BB6_4995 Depth=2
	v_bfe_u32 v32, v33, 23, 8
	s_delay_alu instid0(VALU_DEP_1) | instskip(SKIP_1) | instid1(VALU_DEP_2)
	v_sub_nc_u32_e32 v39, 0x70, v32
	v_cmp_gt_u32_e32 vcc_lo, 0x71, v32
	v_dual_cndmask_b32 v39, 0, v39 :: v_dual_and_b32 v36, 0x7fffff, v33
	s_delay_alu instid0(VALU_DEP_1) | instskip(SKIP_2) | instid1(VALU_DEP_4)
	v_or_b32_e32 v50, 0x800000, v36
	v_cmp_eq_u32_e32 vcc_lo, 0, v32
	v_add_nc_u32_e32 v32, 0xffffff91, v32
	v_cndmask_b32_e64 v39, v39, 0x6f, vcc_lo
	s_delay_alu instid0(VALU_DEP_4) | instskip(NEXT) | instid1(VALU_DEP_3)
	v_cndmask_b32_e32 v36, v50, v36, vcc_lo
	v_cndmask_b32_e64 v32, v32, 0xffffff92, vcc_lo
	s_delay_alu instid0(VALU_DEP_3) | instskip(NEXT) | instid1(VALU_DEP_3)
	v_lshl_add_u32 v50, 0x200000, v39, -1
	v_lshrrev_b32_e32 v86, v39, v36
	v_lshlrev_b32_e64 v144, v39, 0x100000
	s_delay_alu instid0(VALU_DEP_4) | instskip(NEXT) | instid1(VALU_DEP_4)
	v_add_nc_u32_e32 v39, v39, v32
	v_and_b32_e32 v36, v50, v36
	s_delay_alu instid0(VALU_DEP_4) | instskip(NEXT) | instid1(VALU_DEP_2)
	v_bfe_u32 v98, v86, 21, 1
	v_cmp_eq_u32_e64 s7, v36, v144
	s_delay_alu instid0(VALU_DEP_2) | instskip(NEXT) | instid1(VALU_DEP_1)
	v_add_nc_u32_e32 v50, -1, v98
	v_cndmask_b32_e64 v36, 0, v50, s7
	v_lshrrev_b32_e32 v50, 23, v86
	s_mov_b32 s7, exec_lo
	s_delay_alu instid0(VALU_DEP_2) | instskip(NEXT) | instid1(VALU_DEP_2)
	v_add_nc_u32_e32 v36, v36, v86
	v_xor_b32_e32 v50, 1, v50
	s_delay_alu instid0(VALU_DEP_2) | instskip(NEXT) | instid1(VALU_DEP_1)
	v_and_b32_e32 v32, 0x1fffff, v36
	v_add_nc_u32_e32 v36, v32, v86
                                        ; implicit-def: $vgpr32
	s_delay_alu instid0(VALU_DEP_3)
	v_cmpx_ne_u32_e64 v39, v50
	s_xor_b32 s7, exec_lo, s7
; %bb.5454:                             ;   in Loop: Header=BB6_4995 Depth=2
	s_delay_alu instid0(VALU_DEP_2) | instskip(SKIP_2) | instid1(VALU_DEP_2)
	v_cmp_lt_u32_e32 vcc_lo, 0xffffff, v36
	v_sub_nc_u32_e32 v32, v39, v50
	v_cndmask_b32_e64 v39, 0, 1, vcc_lo
	v_add_co_ci_u32_e32 v32, vcc_lo, 0, v32, vcc_lo
	s_delay_alu instid0(VALU_DEP_2)
	v_lshrrev_b32_e32 v36, v39, v36
; %bb.5455:                             ;   in Loop: Header=BB6_4995 Depth=2
	s_and_not1_saveexec_b32 s7, s7
; %bb.5456:                             ;   in Loop: Header=BB6_4995 Depth=2
	s_delay_alu instid0(VALU_DEP_1)
	v_bfe_u32 v32, v36, 23, 1
; %bb.5457:                             ;   in Loop: Header=BB6_4995 Depth=2
	s_or_b32 exec_lo, exec_lo, s7
	v_lshrrev_b32_e32 v36, 21, v36
	s_delay_alu instid0(VALU_DEP_2) | instskip(SKIP_2) | instid1(VALU_DEP_2)
	v_cmp_gt_i32_e32 vcc_lo, 32, v32
	v_lshrrev_b32_e32 v33, 24, v33
	v_min_i32_e32 v39, 31, v32
	v_dual_cndmask_b32 v36, 3, v36 :: v_dual_and_b32 v33, 0x80, v33
	s_delay_alu instid0(VALU_DEP_1) | instskip(SKIP_1) | instid1(VALU_DEP_2)
	v_or_b32_e32 v32, v32, v36
	v_and_b32_e32 v50, 3, v36
	v_cmp_ne_u32_e32 vcc_lo, 0, v32
	v_lshlrev_b32_e32 v39, 2, v39
	s_delay_alu instid0(VALU_DEP_1) | instskip(NEXT) | instid1(VALU_DEP_1)
	v_or3_b32 v33, v39, v33, v50
	v_cndmask_b32_e32 v32, 0, v33, vcc_lo
.LBB6_5458:                             ;   in Loop: Header=BB6_4995 Depth=2
	s_or_b32 exec_lo, exec_lo, s24
.LBB6_5459:                             ;   in Loop: Header=BB6_4995 Depth=2
	s_delay_alu instid0(SALU_CYCLE_1) | instskip(SKIP_3) | instid1(VALU_DEP_1)
	s_or_b32 exec_lo, exec_lo, s23
	v_and_b32_e32 v36, 0xff, v28
	s_mov_b32 s7, 0
	s_mov_b32 s24, exec_lo
                                        ; implicit-def: $sgpr23
	v_cmpx_lt_i16_e32 0x7f, v36
	s_xor_b32 s24, exec_lo, s24
	s_cbranch_execnz .LBB6_5737
; %bb.5460:                             ;   in Loop: Header=BB6_4995 Depth=2
	s_or_saveexec_b32 s24, s24
	v_mov_b32_e32 v33, s23
	s_xor_b32 exec_lo, exec_lo, s24
	s_cbranch_execnz .LBB6_5740
.LBB6_5461:                             ;   in Loop: Header=BB6_4995 Depth=2
	s_or_b32 exec_lo, exec_lo, s24
	s_and_saveexec_b32 s23, s7
	s_cbranch_execz .LBB6_5463
.LBB6_5462:                             ;   in Loop: Header=BB6_4995 Depth=2
	v_and_b32_e32 v33, 3, v28
	v_lshrrev_b16 v50, 2, v28
	s_delay_alu instid0(VALU_DEP_2) | instskip(NEXT) | instid1(VALU_DEP_1)
	v_clz_i32_u32_e32 v36, v33
	v_min_u32_e32 v36, 32, v36
	s_delay_alu instid0(VALU_DEP_1) | instskip(SKIP_1) | instid1(VALU_DEP_2)
	v_subrev_nc_u32_e32 v39, 29, v36
	v_sub_nc_u32_e32 v36, 30, v36
	v_lshlrev_b32_e32 v39, v39, v28
	v_lshlrev_b32_e32 v28, 24, v28
	s_delay_alu instid0(VALU_DEP_2) | instskip(SKIP_1) | instid1(VALU_DEP_3)
	v_and_b32_e32 v39, 3, v39
	v_and_b32_e32 v50, 31, v50
	;; [unrolled: 1-line block ×3, first 2 shown]
	s_delay_alu instid0(VALU_DEP_2) | instskip(NEXT) | instid1(VALU_DEP_4)
	v_cmp_eq_u32_e32 vcc_lo, 0, v50
	v_dual_cndmask_b32 v33, v33, v39 :: v_dual_cndmask_b32 v36, v50, v36
	s_delay_alu instid0(VALU_DEP_1) | instskip(NEXT) | instid1(VALU_DEP_2)
	v_lshlrev_b32_e32 v33, 21, v33
	v_lshl_add_u32 v36, v36, 23, 0x37800000
	s_delay_alu instid0(VALU_DEP_1)
	v_or3_b32 v33, v28, v36, v33
.LBB6_5463:                             ;   in Loop: Header=BB6_4995 Depth=2
	s_or_b32 exec_lo, exec_lo, s23
	s_waitcnt vmcnt(2) lgkmcnt(2)
	v_and_b32_e32 v36, 0xff, v27
	s_mov_b32 s7, 0
	s_mov_b32 s24, exec_lo
                                        ; implicit-def: $sgpr23
	s_delay_alu instid0(VALU_DEP_1)
	v_cmpx_lt_i16_e32 0x7f, v36
	s_xor_b32 s24, exec_lo, s24
	s_cbranch_execnz .LBB6_5741
; %bb.5464:                             ;   in Loop: Header=BB6_4995 Depth=2
	s_or_saveexec_b32 s24, s24
	v_mov_b32_e32 v28, s23
	s_xor_b32 exec_lo, exec_lo, s24
	s_cbranch_execnz .LBB6_5744
.LBB6_5465:                             ;   in Loop: Header=BB6_4995 Depth=2
	s_or_b32 exec_lo, exec_lo, s24
	s_and_saveexec_b32 s23, s7
	s_cbranch_execz .LBB6_5467
.LBB6_5466:                             ;   in Loop: Header=BB6_4995 Depth=2
	v_and_b32_e32 v28, 3, v27
	v_lshrrev_b16 v50, 2, v27
	s_delay_alu instid0(VALU_DEP_2) | instskip(NEXT) | instid1(VALU_DEP_2)
	v_clz_i32_u32_e32 v36, v28
	v_and_b32_e32 v50, 31, v50
	s_delay_alu instid0(VALU_DEP_2) | instskip(NEXT) | instid1(VALU_DEP_2)
	v_min_u32_e32 v36, 32, v36
	v_cmp_eq_u32_e32 vcc_lo, 0, v50
	s_delay_alu instid0(VALU_DEP_2) | instskip(SKIP_1) | instid1(VALU_DEP_1)
	v_subrev_nc_u32_e32 v39, 29, v36
	v_sub_nc_u32_e32 v36, 30, v36
	v_dual_cndmask_b32 v36, v50, v36 :: v_dual_lshlrev_b32 v39, v39, v27
	v_lshlrev_b32_e32 v27, 24, v27
	s_delay_alu instid0(VALU_DEP_2) | instskip(NEXT) | instid1(VALU_DEP_3)
	v_and_b32_e32 v39, 3, v39
	v_lshl_add_u32 v36, v36, 23, 0x37800000
	s_delay_alu instid0(VALU_DEP_3) | instskip(NEXT) | instid1(VALU_DEP_3)
	v_and_b32_e32 v27, 0x80000000, v27
	v_cndmask_b32_e32 v28, v28, v39, vcc_lo
	s_delay_alu instid0(VALU_DEP_1) | instskip(NEXT) | instid1(VALU_DEP_1)
	v_lshlrev_b32_e32 v28, 21, v28
	v_or3_b32 v28, v27, v36, v28
.LBB6_5467:                             ;   in Loop: Header=BB6_4995 Depth=2
	s_or_b32 exec_lo, exec_lo, s23
	s_delay_alu instid0(VALU_DEP_1) | instskip(NEXT) | instid1(VALU_DEP_1)
	v_mul_f32_e32 v28, v33, v28
	v_and_b32_e32 v27, 0x7f800000, v28
	s_delay_alu instid0(VALU_DEP_1)
	v_cmp_ne_u32_e32 vcc_lo, 0x7f800000, v27
	v_mov_b32_e32 v27, 0x80
	s_and_saveexec_b32 s23, vcc_lo
	s_cbranch_execz .LBB6_5475
; %bb.5468:                             ;   in Loop: Header=BB6_4995 Depth=2
	v_mov_b32_e32 v27, 0
	s_mov_b32 s24, exec_lo
	v_cmpx_ne_u32_e32 0, v28
	s_cbranch_execz .LBB6_5474
; %bb.5469:                             ;   in Loop: Header=BB6_4995 Depth=2
	v_bfe_u32 v27, v28, 23, 8
	v_and_b32_e32 v33, 0x7fffff, v28
	s_delay_alu instid0(VALU_DEP_2) | instskip(SKIP_1) | instid1(VALU_DEP_3)
	v_sub_nc_u32_e32 v36, 0x70, v27
	v_cmp_gt_u32_e32 vcc_lo, 0x71, v27
	v_or_b32_e32 v39, 0x800000, v33
	s_delay_alu instid0(VALU_DEP_3) | instskip(SKIP_2) | instid1(VALU_DEP_4)
	v_cndmask_b32_e32 v36, 0, v36, vcc_lo
	v_cmp_eq_u32_e32 vcc_lo, 0, v27
	v_add_nc_u32_e32 v27, 0xffffff91, v27
	v_cndmask_b32_e32 v33, v39, v33, vcc_lo
	s_delay_alu instid0(VALU_DEP_4) | instskip(NEXT) | instid1(VALU_DEP_3)
	v_cndmask_b32_e64 v36, v36, 0x6f, vcc_lo
	v_cndmask_b32_e64 v27, v27, 0xffffff92, vcc_lo
	s_delay_alu instid0(VALU_DEP_2) | instskip(SKIP_2) | instid1(VALU_DEP_4)
	v_lshrrev_b32_e32 v50, v36, v33
	v_lshl_add_u32 v39, 0x200000, v36, -1
	v_lshlrev_b32_e64 v98, v36, 0x100000
	v_add_nc_u32_e32 v36, v36, v27
	s_delay_alu instid0(VALU_DEP_4) | instskip(NEXT) | instid1(VALU_DEP_4)
	v_bfe_u32 v86, v50, 21, 1
	v_and_b32_e32 v33, v39, v33
	s_delay_alu instid0(VALU_DEP_2) | instskip(NEXT) | instid1(VALU_DEP_2)
	v_add_nc_u32_e32 v39, -1, v86
	v_cmp_eq_u32_e64 s7, v33, v98
	s_delay_alu instid0(VALU_DEP_1) | instskip(SKIP_2) | instid1(VALU_DEP_2)
	v_cndmask_b32_e64 v33, 0, v39, s7
	v_lshrrev_b32_e32 v39, 23, v50
	s_mov_b32 s7, exec_lo
	v_add_nc_u32_e32 v33, v33, v50
	s_delay_alu instid0(VALU_DEP_2) | instskip(NEXT) | instid1(VALU_DEP_2)
	v_xor_b32_e32 v39, 1, v39
	v_and_b32_e32 v27, 0x1fffff, v33
	s_delay_alu instid0(VALU_DEP_1) | instskip(NEXT) | instid1(VALU_DEP_3)
	v_add_nc_u32_e32 v33, v27, v50
                                        ; implicit-def: $vgpr27
	v_cmpx_ne_u32_e64 v36, v39
	s_xor_b32 s7, exec_lo, s7
; %bb.5470:                             ;   in Loop: Header=BB6_4995 Depth=2
	s_delay_alu instid0(VALU_DEP_2) | instskip(SKIP_2) | instid1(VALU_DEP_2)
	v_cmp_lt_u32_e32 vcc_lo, 0xffffff, v33
	v_sub_nc_u32_e32 v27, v36, v39
	v_cndmask_b32_e64 v36, 0, 1, vcc_lo
	v_add_co_ci_u32_e32 v27, vcc_lo, 0, v27, vcc_lo
	s_delay_alu instid0(VALU_DEP_2)
	v_lshrrev_b32_e32 v33, v36, v33
; %bb.5471:                             ;   in Loop: Header=BB6_4995 Depth=2
	s_and_not1_saveexec_b32 s7, s7
; %bb.5472:                             ;   in Loop: Header=BB6_4995 Depth=2
	s_delay_alu instid0(VALU_DEP_1)
	v_bfe_u32 v27, v33, 23, 1
; %bb.5473:                             ;   in Loop: Header=BB6_4995 Depth=2
	s_or_b32 exec_lo, exec_lo, s7
	v_lshrrev_b32_e32 v33, 21, v33
	s_delay_alu instid0(VALU_DEP_2) | instskip(SKIP_2) | instid1(VALU_DEP_2)
	v_cmp_gt_i32_e32 vcc_lo, 32, v27
	v_lshrrev_b32_e32 v28, 24, v28
	v_min_i32_e32 v36, 31, v27
	v_dual_cndmask_b32 v33, 3, v33 :: v_dual_and_b32 v28, 0x80, v28
	s_delay_alu instid0(VALU_DEP_2) | instskip(NEXT) | instid1(VALU_DEP_2)
	v_lshlrev_b32_e32 v36, 2, v36
	v_and_b32_e32 v39, 3, v33
	v_or_b32_e32 v27, v27, v33
	s_delay_alu instid0(VALU_DEP_2) | instskip(NEXT) | instid1(VALU_DEP_2)
	v_or3_b32 v28, v36, v28, v39
	v_cmp_ne_u32_e32 vcc_lo, 0, v27
	s_delay_alu instid0(VALU_DEP_2)
	v_cndmask_b32_e32 v27, 0, v28, vcc_lo
.LBB6_5474:                             ;   in Loop: Header=BB6_4995 Depth=2
	s_or_b32 exec_lo, exec_lo, s24
.LBB6_5475:                             ;   in Loop: Header=BB6_4995 Depth=2
	s_delay_alu instid0(SALU_CYCLE_1) | instskip(SKIP_3) | instid1(VALU_DEP_1)
	s_or_b32 exec_lo, exec_lo, s23
	v_and_b32_e32 v33, 0xff, v25
	s_mov_b32 s7, 0
	s_mov_b32 s24, exec_lo
                                        ; implicit-def: $sgpr23
	v_cmpx_lt_i16_e32 0x7f, v33
	s_xor_b32 s24, exec_lo, s24
	s_cbranch_execnz .LBB6_5745
; %bb.5476:                             ;   in Loop: Header=BB6_4995 Depth=2
	s_or_saveexec_b32 s24, s24
	v_mov_b32_e32 v28, s23
	s_xor_b32 exec_lo, exec_lo, s24
	s_cbranch_execnz .LBB6_5748
.LBB6_5477:                             ;   in Loop: Header=BB6_4995 Depth=2
	s_or_b32 exec_lo, exec_lo, s24
	s_and_saveexec_b32 s23, s7
	s_cbranch_execz .LBB6_5479
.LBB6_5478:                             ;   in Loop: Header=BB6_4995 Depth=2
	v_and_b32_e32 v28, 3, v25
	v_lshrrev_b16 v39, 2, v25
	s_delay_alu instid0(VALU_DEP_2) | instskip(NEXT) | instid1(VALU_DEP_1)
	v_clz_i32_u32_e32 v33, v28
	v_min_u32_e32 v33, 32, v33
	s_delay_alu instid0(VALU_DEP_1) | instskip(SKIP_1) | instid1(VALU_DEP_2)
	v_subrev_nc_u32_e32 v36, 29, v33
	v_sub_nc_u32_e32 v33, 30, v33
	v_lshlrev_b32_e32 v36, v36, v25
	v_lshlrev_b32_e32 v25, 24, v25
	s_delay_alu instid0(VALU_DEP_2) | instskip(SKIP_1) | instid1(VALU_DEP_3)
	v_and_b32_e32 v36, 3, v36
	v_and_b32_e32 v39, 31, v39
	;; [unrolled: 1-line block ×3, first 2 shown]
	s_delay_alu instid0(VALU_DEP_2) | instskip(NEXT) | instid1(VALU_DEP_4)
	v_cmp_eq_u32_e32 vcc_lo, 0, v39
	v_dual_cndmask_b32 v28, v28, v36 :: v_dual_cndmask_b32 v33, v39, v33
	s_delay_alu instid0(VALU_DEP_1) | instskip(NEXT) | instid1(VALU_DEP_2)
	v_lshlrev_b32_e32 v28, 21, v28
	v_lshl_add_u32 v33, v33, 23, 0x37800000
	s_delay_alu instid0(VALU_DEP_1)
	v_or3_b32 v28, v25, v33, v28
.LBB6_5479:                             ;   in Loop: Header=BB6_4995 Depth=2
	s_or_b32 exec_lo, exec_lo, s23
	s_waitcnt vmcnt(1) lgkmcnt(1)
	v_and_b32_e32 v33, 0xff, v24
	s_mov_b32 s7, 0
	s_mov_b32 s24, exec_lo
                                        ; implicit-def: $sgpr23
	s_delay_alu instid0(VALU_DEP_1)
	v_cmpx_lt_i16_e32 0x7f, v33
	s_xor_b32 s24, exec_lo, s24
	s_cbranch_execnz .LBB6_5749
; %bb.5480:                             ;   in Loop: Header=BB6_4995 Depth=2
	s_or_saveexec_b32 s24, s24
	v_mov_b32_e32 v25, s23
	s_xor_b32 exec_lo, exec_lo, s24
	s_cbranch_execnz .LBB6_5752
.LBB6_5481:                             ;   in Loop: Header=BB6_4995 Depth=2
	s_or_b32 exec_lo, exec_lo, s24
	s_and_saveexec_b32 s23, s7
	s_cbranch_execz .LBB6_5483
.LBB6_5482:                             ;   in Loop: Header=BB6_4995 Depth=2
	v_and_b32_e32 v25, 3, v24
	v_lshrrev_b16 v39, 2, v24
	s_delay_alu instid0(VALU_DEP_2) | instskip(NEXT) | instid1(VALU_DEP_2)
	v_clz_i32_u32_e32 v33, v25
	v_and_b32_e32 v39, 31, v39
	s_delay_alu instid0(VALU_DEP_2) | instskip(NEXT) | instid1(VALU_DEP_2)
	v_min_u32_e32 v33, 32, v33
	v_cmp_eq_u32_e32 vcc_lo, 0, v39
	s_delay_alu instid0(VALU_DEP_2) | instskip(SKIP_1) | instid1(VALU_DEP_1)
	v_subrev_nc_u32_e32 v36, 29, v33
	v_sub_nc_u32_e32 v33, 30, v33
	v_dual_cndmask_b32 v33, v39, v33 :: v_dual_lshlrev_b32 v36, v36, v24
	v_lshlrev_b32_e32 v24, 24, v24
	s_delay_alu instid0(VALU_DEP_2) | instskip(NEXT) | instid1(VALU_DEP_3)
	v_and_b32_e32 v36, 3, v36
	v_lshl_add_u32 v33, v33, 23, 0x37800000
	s_delay_alu instid0(VALU_DEP_3) | instskip(NEXT) | instid1(VALU_DEP_3)
	v_and_b32_e32 v24, 0x80000000, v24
	v_cndmask_b32_e32 v25, v25, v36, vcc_lo
	s_delay_alu instid0(VALU_DEP_1) | instskip(NEXT) | instid1(VALU_DEP_1)
	v_lshlrev_b32_e32 v25, 21, v25
	v_or3_b32 v25, v24, v33, v25
.LBB6_5483:                             ;   in Loop: Header=BB6_4995 Depth=2
	s_or_b32 exec_lo, exec_lo, s23
	s_delay_alu instid0(VALU_DEP_1) | instskip(NEXT) | instid1(VALU_DEP_1)
	v_mul_f32_e32 v25, v28, v25
	v_and_b32_e32 v24, 0x7f800000, v25
	s_delay_alu instid0(VALU_DEP_1)
	v_cmp_ne_u32_e32 vcc_lo, 0x7f800000, v24
	v_mov_b32_e32 v24, 0x80
	s_and_saveexec_b32 s23, vcc_lo
	s_cbranch_execz .LBB6_5491
; %bb.5484:                             ;   in Loop: Header=BB6_4995 Depth=2
	v_mov_b32_e32 v24, 0
	s_mov_b32 s24, exec_lo
	v_cmpx_ne_u32_e32 0, v25
	s_cbranch_execz .LBB6_5490
; %bb.5485:                             ;   in Loop: Header=BB6_4995 Depth=2
	v_bfe_u32 v24, v25, 23, 8
	v_and_b32_e32 v28, 0x7fffff, v25
	s_delay_alu instid0(VALU_DEP_2) | instskip(SKIP_1) | instid1(VALU_DEP_3)
	v_sub_nc_u32_e32 v33, 0x70, v24
	v_cmp_gt_u32_e32 vcc_lo, 0x71, v24
	v_or_b32_e32 v36, 0x800000, v28
	s_delay_alu instid0(VALU_DEP_3) | instskip(SKIP_2) | instid1(VALU_DEP_4)
	v_cndmask_b32_e32 v33, 0, v33, vcc_lo
	v_cmp_eq_u32_e32 vcc_lo, 0, v24
	v_add_nc_u32_e32 v24, 0xffffff91, v24
	v_cndmask_b32_e32 v28, v36, v28, vcc_lo
	s_delay_alu instid0(VALU_DEP_4) | instskip(NEXT) | instid1(VALU_DEP_3)
	v_cndmask_b32_e64 v33, v33, 0x6f, vcc_lo
	v_cndmask_b32_e64 v24, v24, 0xffffff92, vcc_lo
	s_delay_alu instid0(VALU_DEP_2) | instskip(SKIP_2) | instid1(VALU_DEP_4)
	v_lshrrev_b32_e32 v39, v33, v28
	v_lshl_add_u32 v36, 0x200000, v33, -1
	v_lshlrev_b32_e64 v86, v33, 0x100000
	v_add_nc_u32_e32 v33, v33, v24
	s_delay_alu instid0(VALU_DEP_4) | instskip(NEXT) | instid1(VALU_DEP_4)
	v_bfe_u32 v50, v39, 21, 1
	v_and_b32_e32 v28, v36, v28
	s_delay_alu instid0(VALU_DEP_2) | instskip(NEXT) | instid1(VALU_DEP_2)
	v_add_nc_u32_e32 v36, -1, v50
	v_cmp_eq_u32_e64 s7, v28, v86
	s_delay_alu instid0(VALU_DEP_1) | instskip(SKIP_2) | instid1(VALU_DEP_2)
	v_cndmask_b32_e64 v28, 0, v36, s7
	v_lshrrev_b32_e32 v36, 23, v39
	s_mov_b32 s7, exec_lo
	v_add_nc_u32_e32 v28, v28, v39
	s_delay_alu instid0(VALU_DEP_2) | instskip(NEXT) | instid1(VALU_DEP_2)
	v_xor_b32_e32 v36, 1, v36
	v_and_b32_e32 v24, 0x1fffff, v28
	s_delay_alu instid0(VALU_DEP_1) | instskip(NEXT) | instid1(VALU_DEP_3)
	v_add_nc_u32_e32 v28, v24, v39
                                        ; implicit-def: $vgpr24
	v_cmpx_ne_u32_e64 v33, v36
	s_xor_b32 s7, exec_lo, s7
; %bb.5486:                             ;   in Loop: Header=BB6_4995 Depth=2
	s_delay_alu instid0(VALU_DEP_2) | instskip(SKIP_2) | instid1(VALU_DEP_2)
	v_cmp_lt_u32_e32 vcc_lo, 0xffffff, v28
	v_sub_nc_u32_e32 v24, v33, v36
	v_cndmask_b32_e64 v33, 0, 1, vcc_lo
	v_add_co_ci_u32_e32 v24, vcc_lo, 0, v24, vcc_lo
	s_delay_alu instid0(VALU_DEP_2)
	v_lshrrev_b32_e32 v28, v33, v28
; %bb.5487:                             ;   in Loop: Header=BB6_4995 Depth=2
	s_and_not1_saveexec_b32 s7, s7
; %bb.5488:                             ;   in Loop: Header=BB6_4995 Depth=2
	s_delay_alu instid0(VALU_DEP_1)
	v_bfe_u32 v24, v28, 23, 1
; %bb.5489:                             ;   in Loop: Header=BB6_4995 Depth=2
	s_or_b32 exec_lo, exec_lo, s7
	v_lshrrev_b32_e32 v28, 21, v28
	s_delay_alu instid0(VALU_DEP_2) | instskip(SKIP_2) | instid1(VALU_DEP_2)
	v_cmp_gt_i32_e32 vcc_lo, 32, v24
	v_lshrrev_b32_e32 v25, 24, v25
	v_min_i32_e32 v33, 31, v24
	v_dual_cndmask_b32 v28, 3, v28 :: v_dual_and_b32 v25, 0x80, v25
	s_delay_alu instid0(VALU_DEP_2) | instskip(NEXT) | instid1(VALU_DEP_2)
	v_lshlrev_b32_e32 v33, 2, v33
	v_and_b32_e32 v36, 3, v28
	v_or_b32_e32 v24, v24, v28
	s_delay_alu instid0(VALU_DEP_2) | instskip(NEXT) | instid1(VALU_DEP_2)
	v_or3_b32 v25, v33, v25, v36
	v_cmp_ne_u32_e32 vcc_lo, 0, v24
	s_delay_alu instid0(VALU_DEP_2)
	v_cndmask_b32_e32 v24, 0, v25, vcc_lo
.LBB6_5490:                             ;   in Loop: Header=BB6_4995 Depth=2
	s_or_b32 exec_lo, exec_lo, s24
.LBB6_5491:                             ;   in Loop: Header=BB6_4995 Depth=2
	s_delay_alu instid0(SALU_CYCLE_1) | instskip(SKIP_3) | instid1(VALU_DEP_1)
	s_or_b32 exec_lo, exec_lo, s23
	v_and_b32_e32 v28, 0xff, v22
	s_mov_b32 s7, 0
	s_mov_b32 s24, exec_lo
                                        ; implicit-def: $sgpr23
	v_cmpx_lt_i16_e32 0x7f, v28
	s_xor_b32 s24, exec_lo, s24
	s_cbranch_execnz .LBB6_5753
; %bb.5492:                             ;   in Loop: Header=BB6_4995 Depth=2
	s_or_saveexec_b32 s24, s24
	v_mov_b32_e32 v25, s23
	s_xor_b32 exec_lo, exec_lo, s24
	s_cbranch_execnz .LBB6_5756
.LBB6_5493:                             ;   in Loop: Header=BB6_4995 Depth=2
	s_or_b32 exec_lo, exec_lo, s24
	s_and_saveexec_b32 s23, s7
	s_cbranch_execz .LBB6_5495
.LBB6_5494:                             ;   in Loop: Header=BB6_4995 Depth=2
	v_lshrrev_b16 v36, 2, v22
	s_delay_alu instid0(VALU_DEP_1) | instskip(NEXT) | instid1(VALU_DEP_1)
	v_and_b32_e32 v36, 31, v36
	v_cmp_eq_u32_e32 vcc_lo, 0, v36
	v_and_b32_e32 v25, 3, v22
	s_delay_alu instid0(VALU_DEP_1) | instskip(NEXT) | instid1(VALU_DEP_1)
	v_clz_i32_u32_e32 v28, v25
	v_min_u32_e32 v28, 32, v28
	s_delay_alu instid0(VALU_DEP_1) | instskip(SKIP_1) | instid1(VALU_DEP_1)
	v_subrev_nc_u32_e32 v33, 29, v28
	v_sub_nc_u32_e32 v28, 30, v28
	v_dual_cndmask_b32 v28, v36, v28 :: v_dual_lshlrev_b32 v33, v33, v22
	v_lshlrev_b32_e32 v22, 24, v22
	s_delay_alu instid0(VALU_DEP_2) | instskip(NEXT) | instid1(VALU_DEP_3)
	v_and_b32_e32 v33, 3, v33
	v_lshl_add_u32 v28, v28, 23, 0x37800000
	s_delay_alu instid0(VALU_DEP_2) | instskip(NEXT) | instid1(VALU_DEP_1)
	v_dual_cndmask_b32 v25, v25, v33 :: v_dual_and_b32 v22, 0x80000000, v22
	v_lshlrev_b32_e32 v25, 21, v25
	s_delay_alu instid0(VALU_DEP_1)
	v_or3_b32 v25, v22, v28, v25
.LBB6_5495:                             ;   in Loop: Header=BB6_4995 Depth=2
	s_or_b32 exec_lo, exec_lo, s23
	s_waitcnt vmcnt(0) lgkmcnt(0)
	v_and_b32_e32 v28, 0xff, v21
	s_mov_b32 s7, 0
	s_mov_b32 s24, exec_lo
                                        ; implicit-def: $sgpr23
	s_delay_alu instid0(VALU_DEP_1)
	v_cmpx_lt_i16_e32 0x7f, v28
	s_xor_b32 s24, exec_lo, s24
	s_cbranch_execnz .LBB6_5757
; %bb.5496:                             ;   in Loop: Header=BB6_4995 Depth=2
	s_or_saveexec_b32 s24, s24
	v_mov_b32_e32 v22, s23
	s_xor_b32 exec_lo, exec_lo, s24
	s_cbranch_execnz .LBB6_5760
.LBB6_5497:                             ;   in Loop: Header=BB6_4995 Depth=2
	s_or_b32 exec_lo, exec_lo, s24
	s_and_saveexec_b32 s23, s7
	s_cbranch_execz .LBB6_5499
.LBB6_5498:                             ;   in Loop: Header=BB6_4995 Depth=2
	v_and_b32_e32 v22, 3, v21
	v_lshrrev_b16 v36, 2, v21
	s_delay_alu instid0(VALU_DEP_2) | instskip(NEXT) | instid1(VALU_DEP_2)
	v_clz_i32_u32_e32 v28, v22
	v_and_b32_e32 v36, 31, v36
	s_delay_alu instid0(VALU_DEP_2) | instskip(NEXT) | instid1(VALU_DEP_2)
	v_min_u32_e32 v28, 32, v28
	v_cmp_eq_u32_e32 vcc_lo, 0, v36
	s_delay_alu instid0(VALU_DEP_2) | instskip(SKIP_1) | instid1(VALU_DEP_1)
	v_subrev_nc_u32_e32 v33, 29, v28
	v_sub_nc_u32_e32 v28, 30, v28
	v_dual_cndmask_b32 v28, v36, v28 :: v_dual_lshlrev_b32 v33, v33, v21
	v_lshlrev_b32_e32 v21, 24, v21
	s_delay_alu instid0(VALU_DEP_2) | instskip(NEXT) | instid1(VALU_DEP_3)
	v_and_b32_e32 v33, 3, v33
	v_lshl_add_u32 v28, v28, 23, 0x37800000
	s_delay_alu instid0(VALU_DEP_3) | instskip(NEXT) | instid1(VALU_DEP_3)
	v_and_b32_e32 v21, 0x80000000, v21
	v_cndmask_b32_e32 v22, v22, v33, vcc_lo
	s_delay_alu instid0(VALU_DEP_1) | instskip(NEXT) | instid1(VALU_DEP_1)
	v_lshlrev_b32_e32 v22, 21, v22
	v_or3_b32 v22, v21, v28, v22
.LBB6_5499:                             ;   in Loop: Header=BB6_4995 Depth=2
	s_or_b32 exec_lo, exec_lo, s23
	s_delay_alu instid0(VALU_DEP_1) | instskip(NEXT) | instid1(VALU_DEP_1)
	v_mul_f32_e32 v22, v25, v22
	v_and_b32_e32 v21, 0x7f800000, v22
	s_delay_alu instid0(VALU_DEP_1)
	v_cmp_ne_u32_e32 vcc_lo, 0x7f800000, v21
	v_mov_b32_e32 v21, 0x80
	s_and_saveexec_b32 s23, vcc_lo
	s_cbranch_execz .LBB6_4994
; %bb.5500:                             ;   in Loop: Header=BB6_4995 Depth=2
	v_mov_b32_e32 v21, 0
	s_mov_b32 s24, exec_lo
	v_cmpx_ne_u32_e32 0, v22
	s_cbranch_execz .LBB6_4993
; %bb.5501:                             ;   in Loop: Header=BB6_4995 Depth=2
	v_bfe_u32 v21, v22, 23, 8
	s_delay_alu instid0(VALU_DEP_1) | instskip(SKIP_1) | instid1(VALU_DEP_2)
	v_sub_nc_u32_e32 v28, 0x70, v21
	v_cmp_gt_u32_e32 vcc_lo, 0x71, v21
	v_dual_cndmask_b32 v28, 0, v28 :: v_dual_and_b32 v25, 0x7fffff, v22
	s_delay_alu instid0(VALU_DEP_1) | instskip(SKIP_2) | instid1(VALU_DEP_4)
	v_or_b32_e32 v33, 0x800000, v25
	v_cmp_eq_u32_e32 vcc_lo, 0, v21
	v_add_nc_u32_e32 v21, 0xffffff91, v21
	v_cndmask_b32_e64 v28, v28, 0x6f, vcc_lo
	s_delay_alu instid0(VALU_DEP_4) | instskip(NEXT) | instid1(VALU_DEP_3)
	v_cndmask_b32_e32 v25, v33, v25, vcc_lo
	v_cndmask_b32_e64 v21, v21, 0xffffff92, vcc_lo
	s_delay_alu instid0(VALU_DEP_3) | instskip(NEXT) | instid1(VALU_DEP_3)
	v_lshl_add_u32 v33, 0x200000, v28, -1
	v_lshrrev_b32_e32 v36, v28, v25
	v_lshlrev_b32_e64 v50, v28, 0x100000
	s_delay_alu instid0(VALU_DEP_4) | instskip(NEXT) | instid1(VALU_DEP_4)
	v_add_nc_u32_e32 v28, v28, v21
	v_and_b32_e32 v25, v33, v25
	s_delay_alu instid0(VALU_DEP_4) | instskip(NEXT) | instid1(VALU_DEP_2)
	v_bfe_u32 v39, v36, 21, 1
	v_cmp_eq_u32_e64 s7, v25, v50
	s_delay_alu instid0(VALU_DEP_2) | instskip(NEXT) | instid1(VALU_DEP_1)
	v_add_nc_u32_e32 v33, -1, v39
	v_cndmask_b32_e64 v25, 0, v33, s7
	v_lshrrev_b32_e32 v33, 23, v36
	s_mov_b32 s7, exec_lo
	s_delay_alu instid0(VALU_DEP_2) | instskip(NEXT) | instid1(VALU_DEP_2)
	v_add_nc_u32_e32 v25, v25, v36
	v_xor_b32_e32 v33, 1, v33
	s_delay_alu instid0(VALU_DEP_2) | instskip(NEXT) | instid1(VALU_DEP_1)
	v_and_b32_e32 v21, 0x1fffff, v25
	v_add_nc_u32_e32 v25, v21, v36
                                        ; implicit-def: $vgpr21
	s_delay_alu instid0(VALU_DEP_3)
	v_cmpx_ne_u32_e64 v28, v33
	s_xor_b32 s7, exec_lo, s7
; %bb.5502:                             ;   in Loop: Header=BB6_4995 Depth=2
	s_delay_alu instid0(VALU_DEP_2) | instskip(SKIP_2) | instid1(VALU_DEP_2)
	v_cmp_lt_u32_e32 vcc_lo, 0xffffff, v25
	v_sub_nc_u32_e32 v21, v28, v33
	v_cndmask_b32_e64 v28, 0, 1, vcc_lo
	v_add_co_ci_u32_e32 v21, vcc_lo, 0, v21, vcc_lo
	s_delay_alu instid0(VALU_DEP_2)
	v_lshrrev_b32_e32 v25, v28, v25
; %bb.5503:                             ;   in Loop: Header=BB6_4995 Depth=2
	s_and_not1_saveexec_b32 s7, s7
	s_cbranch_execz .LBB6_4992
; %bb.5504:                             ;   in Loop: Header=BB6_4995 Depth=2
	s_delay_alu instid0(VALU_DEP_1)
	v_bfe_u32 v21, v25, 23, 1
	s_branch .LBB6_4992
.LBB6_5505:                             ;   in Loop: Header=BB6_4995 Depth=2
	s_mov_b32 s7, -1
	s_mov_b32 s25, exec_lo
                                        ; implicit-def: $sgpr23
	v_cmpx_eq_u16_e32 0x80, v59
; %bb.5506:                             ;   in Loop: Header=BB6_4995 Depth=2
	s_mov_b32 s23, 0x7f800001
	s_xor_b32 s7, exec_lo, -1
; %bb.5507:                             ;   in Loop: Header=BB6_4995 Depth=2
	s_or_b32 exec_lo, exec_lo, s25
	s_delay_alu instid0(SALU_CYCLE_1)
	s_and_b32 s7, s7, exec_lo
	s_or_saveexec_b32 s24, s24
	v_mov_b32_e32 v60, s23
	s_xor_b32 exec_lo, exec_lo, s24
	s_cbranch_execz .LBB6_4997
.LBB6_5508:                             ;   in Loop: Header=BB6_4995 Depth=2
	v_cmp_ne_u16_e32 vcc_lo, 0, v59
	v_mov_b32_e32 v60, 0
	s_and_not1_b32 s7, s7, exec_lo
	s_and_b32 s23, vcc_lo, exec_lo
	s_delay_alu instid0(SALU_CYCLE_1)
	s_or_b32 s7, s7, s23
	s_or_b32 exec_lo, exec_lo, s24
	s_and_saveexec_b32 s23, s7
	s_cbranch_execnz .LBB6_4998
	s_branch .LBB6_4999
.LBB6_5509:                             ;   in Loop: Header=BB6_4995 Depth=2
	s_mov_b32 s7, -1
	s_mov_b32 s25, exec_lo
                                        ; implicit-def: $sgpr23
	v_cmpx_eq_u16_e32 0x80, v61
; %bb.5510:                             ;   in Loop: Header=BB6_4995 Depth=2
	s_mov_b32 s23, 0x7f800001
	s_xor_b32 s7, exec_lo, -1
; %bb.5511:                             ;   in Loop: Header=BB6_4995 Depth=2
	s_or_b32 exec_lo, exec_lo, s25
	s_delay_alu instid0(SALU_CYCLE_1)
	s_and_b32 s7, s7, exec_lo
                                        ; implicit-def: $vgpr61
	s_or_saveexec_b32 s24, s24
	v_mov_b32_e32 v59, s23
	s_xor_b32 exec_lo, exec_lo, s24
	s_cbranch_execz .LBB6_5001
.LBB6_5512:                             ;   in Loop: Header=BB6_4995 Depth=2
	v_cmp_ne_u16_e32 vcc_lo, 0, v61
	v_mov_b32_e32 v59, 0
	s_and_not1_b32 s7, s7, exec_lo
	s_and_b32 s23, vcc_lo, exec_lo
	s_delay_alu instid0(SALU_CYCLE_1)
	s_or_b32 s7, s7, s23
	s_or_b32 exec_lo, exec_lo, s24
	s_and_saveexec_b32 s23, s7
	s_cbranch_execnz .LBB6_5002
	s_branch .LBB6_5003
.LBB6_5513:                             ;   in Loop: Header=BB6_4995 Depth=2
	s_mov_b32 s7, -1
	s_mov_b32 s25, exec_lo
                                        ; implicit-def: $sgpr23
	v_cmpx_eq_u16_e32 0x80, v60
; %bb.5514:                             ;   in Loop: Header=BB6_4995 Depth=2
	s_mov_b32 s23, 0x7f800001
	s_xor_b32 s7, exec_lo, -1
; %bb.5515:                             ;   in Loop: Header=BB6_4995 Depth=2
	s_or_b32 exec_lo, exec_lo, s25
	s_delay_alu instid0(SALU_CYCLE_1)
	s_and_b32 s7, s7, exec_lo
                                        ; implicit-def: $vgpr60
	s_or_saveexec_b32 s24, s24
	v_mov_b32_e32 v59, s23
	s_xor_b32 exec_lo, exec_lo, s24
	s_cbranch_execz .LBB6_5013
.LBB6_5516:                             ;   in Loop: Header=BB6_4995 Depth=2
	v_cmp_ne_u16_e32 vcc_lo, 0, v60
	v_mov_b32_e32 v59, 0
	s_and_not1_b32 s7, s7, exec_lo
	s_and_b32 s23, vcc_lo, exec_lo
	s_delay_alu instid0(SALU_CYCLE_1)
	s_or_b32 s7, s7, s23
	s_or_b32 exec_lo, exec_lo, s24
	s_and_saveexec_b32 s23, s7
	s_cbranch_execnz .LBB6_5014
	s_branch .LBB6_5015
.LBB6_5517:                             ;   in Loop: Header=BB6_4995 Depth=2
	s_mov_b32 s7, -1
	s_mov_b32 s25, exec_lo
                                        ; implicit-def: $sgpr23
	v_cmpx_eq_u16_e32 0x80, v60
; %bb.5518:                             ;   in Loop: Header=BB6_4995 Depth=2
	s_mov_b32 s23, 0x7f800001
	s_xor_b32 s7, exec_lo, -1
; %bb.5519:                             ;   in Loop: Header=BB6_4995 Depth=2
	s_or_b32 exec_lo, exec_lo, s25
	s_delay_alu instid0(SALU_CYCLE_1)
	s_and_b32 s7, s7, exec_lo
                                        ; implicit-def: $vgpr60
	s_or_saveexec_b32 s24, s24
	v_mov_b32_e32 v58, s23
	s_xor_b32 exec_lo, exec_lo, s24
	s_cbranch_execz .LBB6_5017
.LBB6_5520:                             ;   in Loop: Header=BB6_4995 Depth=2
	v_cmp_ne_u16_e32 vcc_lo, 0, v60
	v_mov_b32_e32 v58, 0
	s_and_not1_b32 s7, s7, exec_lo
	s_and_b32 s23, vcc_lo, exec_lo
	s_delay_alu instid0(SALU_CYCLE_1)
	s_or_b32 s7, s7, s23
	s_or_b32 exec_lo, exec_lo, s24
	s_and_saveexec_b32 s23, s7
	s_cbranch_execnz .LBB6_5018
	s_branch .LBB6_5019
.LBB6_5521:                             ;   in Loop: Header=BB6_4995 Depth=2
	s_mov_b32 s7, -1
	s_mov_b32 s25, exec_lo
                                        ; implicit-def: $sgpr23
	v_cmpx_eq_u16_e32 0x80, v59
; %bb.5522:                             ;   in Loop: Header=BB6_4995 Depth=2
	s_mov_b32 s23, 0x7f800001
	s_xor_b32 s7, exec_lo, -1
; %bb.5523:                             ;   in Loop: Header=BB6_4995 Depth=2
	s_or_b32 exec_lo, exec_lo, s25
	s_delay_alu instid0(SALU_CYCLE_1)
	s_and_b32 s7, s7, exec_lo
                                        ; implicit-def: $vgpr59
	s_or_saveexec_b32 s24, s24
	v_mov_b32_e32 v58, s23
	s_xor_b32 exec_lo, exec_lo, s24
	s_cbranch_execz .LBB6_5029
.LBB6_5524:                             ;   in Loop: Header=BB6_4995 Depth=2
	v_cmp_ne_u16_e32 vcc_lo, 0, v59
	v_mov_b32_e32 v58, 0
	s_and_not1_b32 s7, s7, exec_lo
	s_and_b32 s23, vcc_lo, exec_lo
	s_delay_alu instid0(SALU_CYCLE_1)
	s_or_b32 s7, s7, s23
	s_or_b32 exec_lo, exec_lo, s24
	s_and_saveexec_b32 s23, s7
	s_cbranch_execnz .LBB6_5030
	s_branch .LBB6_5031
.LBB6_5525:                             ;   in Loop: Header=BB6_4995 Depth=2
	s_mov_b32 s7, -1
	s_mov_b32 s25, exec_lo
                                        ; implicit-def: $sgpr23
	v_cmpx_eq_u16_e32 0x80, v59
; %bb.5526:                             ;   in Loop: Header=BB6_4995 Depth=2
	s_mov_b32 s23, 0x7f800001
	s_xor_b32 s7, exec_lo, -1
; %bb.5527:                             ;   in Loop: Header=BB6_4995 Depth=2
	s_or_b32 exec_lo, exec_lo, s25
	s_delay_alu instid0(SALU_CYCLE_1)
	s_and_b32 s7, s7, exec_lo
                                        ; implicit-def: $vgpr59
	s_or_saveexec_b32 s24, s24
	v_mov_b32_e32 v57, s23
	s_xor_b32 exec_lo, exec_lo, s24
	s_cbranch_execz .LBB6_5033
.LBB6_5528:                             ;   in Loop: Header=BB6_4995 Depth=2
	v_cmp_ne_u16_e32 vcc_lo, 0, v59
	v_mov_b32_e32 v57, 0
	s_and_not1_b32 s7, s7, exec_lo
	s_and_b32 s23, vcc_lo, exec_lo
	s_delay_alu instid0(SALU_CYCLE_1)
	s_or_b32 s7, s7, s23
	s_or_b32 exec_lo, exec_lo, s24
	s_and_saveexec_b32 s23, s7
	s_cbranch_execnz .LBB6_5034
	s_branch .LBB6_5035
.LBB6_5529:                             ;   in Loop: Header=BB6_4995 Depth=2
	s_mov_b32 s7, -1
	s_mov_b32 s25, exec_lo
                                        ; implicit-def: $sgpr23
	v_cmpx_eq_u16_e32 0x80, v58
; %bb.5530:                             ;   in Loop: Header=BB6_4995 Depth=2
	s_mov_b32 s23, 0x7f800001
	s_xor_b32 s7, exec_lo, -1
; %bb.5531:                             ;   in Loop: Header=BB6_4995 Depth=2
	s_or_b32 exec_lo, exec_lo, s25
	s_delay_alu instid0(SALU_CYCLE_1)
	s_and_b32 s7, s7, exec_lo
                                        ; implicit-def: $vgpr58
	s_or_saveexec_b32 s24, s24
	v_mov_b32_e32 v57, s23
	s_xor_b32 exec_lo, exec_lo, s24
	s_cbranch_execz .LBB6_5045
.LBB6_5532:                             ;   in Loop: Header=BB6_4995 Depth=2
	v_cmp_ne_u16_e32 vcc_lo, 0, v58
	v_mov_b32_e32 v57, 0
	s_and_not1_b32 s7, s7, exec_lo
	s_and_b32 s23, vcc_lo, exec_lo
	s_delay_alu instid0(SALU_CYCLE_1)
	s_or_b32 s7, s7, s23
	s_or_b32 exec_lo, exec_lo, s24
	s_and_saveexec_b32 s23, s7
	s_cbranch_execnz .LBB6_5046
	s_branch .LBB6_5047
.LBB6_5533:                             ;   in Loop: Header=BB6_4995 Depth=2
	s_mov_b32 s7, -1
	s_mov_b32 s25, exec_lo
                                        ; implicit-def: $sgpr23
	v_cmpx_eq_u16_e32 0x80, v58
; %bb.5534:                             ;   in Loop: Header=BB6_4995 Depth=2
	s_mov_b32 s23, 0x7f800001
	s_xor_b32 s7, exec_lo, -1
; %bb.5535:                             ;   in Loop: Header=BB6_4995 Depth=2
	s_or_b32 exec_lo, exec_lo, s25
	s_delay_alu instid0(SALU_CYCLE_1)
	s_and_b32 s7, s7, exec_lo
                                        ; implicit-def: $vgpr58
	s_or_saveexec_b32 s24, s24
	v_mov_b32_e32 v56, s23
	s_xor_b32 exec_lo, exec_lo, s24
	s_cbranch_execz .LBB6_5049
.LBB6_5536:                             ;   in Loop: Header=BB6_4995 Depth=2
	v_cmp_ne_u16_e32 vcc_lo, 0, v58
	v_mov_b32_e32 v56, 0
	s_and_not1_b32 s7, s7, exec_lo
	s_and_b32 s23, vcc_lo, exec_lo
	s_delay_alu instid0(SALU_CYCLE_1)
	s_or_b32 s7, s7, s23
	s_or_b32 exec_lo, exec_lo, s24
	s_and_saveexec_b32 s23, s7
	s_cbranch_execnz .LBB6_5050
	s_branch .LBB6_5051
.LBB6_5537:                             ;   in Loop: Header=BB6_4995 Depth=2
	s_mov_b32 s7, -1
	s_mov_b32 s25, exec_lo
                                        ; implicit-def: $sgpr23
	v_cmpx_eq_u16_e32 0x80, v57
; %bb.5538:                             ;   in Loop: Header=BB6_4995 Depth=2
	s_mov_b32 s23, 0x7f800001
	s_xor_b32 s7, exec_lo, -1
; %bb.5539:                             ;   in Loop: Header=BB6_4995 Depth=2
	s_or_b32 exec_lo, exec_lo, s25
	s_delay_alu instid0(SALU_CYCLE_1)
	s_and_b32 s7, s7, exec_lo
                                        ; implicit-def: $vgpr57
	s_or_saveexec_b32 s24, s24
	v_mov_b32_e32 v56, s23
	s_xor_b32 exec_lo, exec_lo, s24
	s_cbranch_execz .LBB6_5061
.LBB6_5540:                             ;   in Loop: Header=BB6_4995 Depth=2
	v_cmp_ne_u16_e32 vcc_lo, 0, v57
	v_mov_b32_e32 v56, 0
	s_and_not1_b32 s7, s7, exec_lo
	s_and_b32 s23, vcc_lo, exec_lo
	s_delay_alu instid0(SALU_CYCLE_1)
	s_or_b32 s7, s7, s23
	s_or_b32 exec_lo, exec_lo, s24
	s_and_saveexec_b32 s23, s7
	s_cbranch_execnz .LBB6_5062
	s_branch .LBB6_5063
.LBB6_5541:                             ;   in Loop: Header=BB6_4995 Depth=2
	s_mov_b32 s7, -1
	s_mov_b32 s25, exec_lo
                                        ; implicit-def: $sgpr23
	v_cmpx_eq_u16_e32 0x80, v57
; %bb.5542:                             ;   in Loop: Header=BB6_4995 Depth=2
	s_mov_b32 s23, 0x7f800001
	s_xor_b32 s7, exec_lo, -1
; %bb.5543:                             ;   in Loop: Header=BB6_4995 Depth=2
	s_or_b32 exec_lo, exec_lo, s25
	s_delay_alu instid0(SALU_CYCLE_1)
	s_and_b32 s7, s7, exec_lo
                                        ; implicit-def: $vgpr57
	s_or_saveexec_b32 s24, s24
	v_mov_b32_e32 v47, s23
	s_xor_b32 exec_lo, exec_lo, s24
	s_cbranch_execz .LBB6_5065
.LBB6_5544:                             ;   in Loop: Header=BB6_4995 Depth=2
	v_cmp_ne_u16_e32 vcc_lo, 0, v57
	v_mov_b32_e32 v47, 0
	s_and_not1_b32 s7, s7, exec_lo
	s_and_b32 s23, vcc_lo, exec_lo
	s_delay_alu instid0(SALU_CYCLE_1)
	s_or_b32 s7, s7, s23
	s_or_b32 exec_lo, exec_lo, s24
	s_and_saveexec_b32 s23, s7
	s_cbranch_execnz .LBB6_5066
	s_branch .LBB6_5067
.LBB6_5545:                             ;   in Loop: Header=BB6_4995 Depth=2
	s_mov_b32 s7, -1
	s_mov_b32 s25, exec_lo
                                        ; implicit-def: $sgpr23
	v_cmpx_eq_u16_e32 0x80, v56
; %bb.5546:                             ;   in Loop: Header=BB6_4995 Depth=2
	s_mov_b32 s23, 0x7f800001
	s_xor_b32 s7, exec_lo, -1
; %bb.5547:                             ;   in Loop: Header=BB6_4995 Depth=2
	s_or_b32 exec_lo, exec_lo, s25
	s_delay_alu instid0(SALU_CYCLE_1)
	s_and_b32 s7, s7, exec_lo
                                        ; implicit-def: $vgpr56
	s_or_saveexec_b32 s24, s24
	v_mov_b32_e32 v47, s23
	s_xor_b32 exec_lo, exec_lo, s24
	s_cbranch_execz .LBB6_5077
.LBB6_5548:                             ;   in Loop: Header=BB6_4995 Depth=2
	v_cmp_ne_u16_e32 vcc_lo, 0, v56
	v_mov_b32_e32 v47, 0
	s_and_not1_b32 s7, s7, exec_lo
	s_and_b32 s23, vcc_lo, exec_lo
	s_delay_alu instid0(SALU_CYCLE_1)
	s_or_b32 s7, s7, s23
	s_or_b32 exec_lo, exec_lo, s24
	s_and_saveexec_b32 s23, s7
	s_cbranch_execnz .LBB6_5078
	s_branch .LBB6_5079
.LBB6_5549:                             ;   in Loop: Header=BB6_4995 Depth=2
	s_mov_b32 s7, -1
	s_mov_b32 s25, exec_lo
                                        ; implicit-def: $sgpr23
	v_cmpx_eq_u16_e32 0x80, v56
; %bb.5550:                             ;   in Loop: Header=BB6_4995 Depth=2
	s_mov_b32 s23, 0x7f800001
	s_xor_b32 s7, exec_lo, -1
; %bb.5551:                             ;   in Loop: Header=BB6_4995 Depth=2
	s_or_b32 exec_lo, exec_lo, s25
	s_delay_alu instid0(SALU_CYCLE_1)
	s_and_b32 s7, s7, exec_lo
                                        ; implicit-def: $vgpr56
	s_or_saveexec_b32 s24, s24
	v_mov_b32_e32 v46, s23
	s_xor_b32 exec_lo, exec_lo, s24
	s_cbranch_execz .LBB6_5081
.LBB6_5552:                             ;   in Loop: Header=BB6_4995 Depth=2
	v_cmp_ne_u16_e32 vcc_lo, 0, v56
	v_mov_b32_e32 v46, 0
	s_and_not1_b32 s7, s7, exec_lo
	s_and_b32 s23, vcc_lo, exec_lo
	s_delay_alu instid0(SALU_CYCLE_1)
	s_or_b32 s7, s7, s23
	s_or_b32 exec_lo, exec_lo, s24
	s_and_saveexec_b32 s23, s7
	s_cbranch_execnz .LBB6_5082
	s_branch .LBB6_5083
.LBB6_5553:                             ;   in Loop: Header=BB6_4995 Depth=2
	s_mov_b32 s7, -1
	s_mov_b32 s25, exec_lo
                                        ; implicit-def: $sgpr23
	v_cmpx_eq_u16_e32 0x80, v47
; %bb.5554:                             ;   in Loop: Header=BB6_4995 Depth=2
	s_mov_b32 s23, 0x7f800001
	s_xor_b32 s7, exec_lo, -1
; %bb.5555:                             ;   in Loop: Header=BB6_4995 Depth=2
	s_or_b32 exec_lo, exec_lo, s25
	s_delay_alu instid0(SALU_CYCLE_1)
	s_and_b32 s7, s7, exec_lo
                                        ; implicit-def: $vgpr47
	s_or_saveexec_b32 s24, s24
	v_mov_b32_e32 v46, s23
	s_xor_b32 exec_lo, exec_lo, s24
	s_cbranch_execz .LBB6_5093
.LBB6_5556:                             ;   in Loop: Header=BB6_4995 Depth=2
	v_cmp_ne_u16_e32 vcc_lo, 0, v47
	v_mov_b32_e32 v46, 0
	s_and_not1_b32 s7, s7, exec_lo
	s_and_b32 s23, vcc_lo, exec_lo
	s_delay_alu instid0(SALU_CYCLE_1)
	s_or_b32 s7, s7, s23
	s_or_b32 exec_lo, exec_lo, s24
	s_and_saveexec_b32 s23, s7
	s_cbranch_execnz .LBB6_5094
	s_branch .LBB6_5095
.LBB6_5557:                             ;   in Loop: Header=BB6_4995 Depth=2
	s_mov_b32 s7, -1
	s_mov_b32 s25, exec_lo
                                        ; implicit-def: $sgpr23
	v_cmpx_eq_u16_e32 0x80, v47
; %bb.5558:                             ;   in Loop: Header=BB6_4995 Depth=2
	s_mov_b32 s23, 0x7f800001
	s_xor_b32 s7, exec_lo, -1
; %bb.5559:                             ;   in Loop: Header=BB6_4995 Depth=2
	s_or_b32 exec_lo, exec_lo, s25
	s_delay_alu instid0(SALU_CYCLE_1)
	s_and_b32 s7, s7, exec_lo
                                        ; implicit-def: $vgpr47
	s_or_saveexec_b32 s24, s24
	v_mov_b32_e32 v45, s23
	s_xor_b32 exec_lo, exec_lo, s24
	s_cbranch_execz .LBB6_5097
.LBB6_5560:                             ;   in Loop: Header=BB6_4995 Depth=2
	v_cmp_ne_u16_e32 vcc_lo, 0, v47
	v_mov_b32_e32 v45, 0
	s_and_not1_b32 s7, s7, exec_lo
	s_and_b32 s23, vcc_lo, exec_lo
	s_delay_alu instid0(SALU_CYCLE_1)
	s_or_b32 s7, s7, s23
	s_or_b32 exec_lo, exec_lo, s24
	s_and_saveexec_b32 s23, s7
	s_cbranch_execnz .LBB6_5098
	s_branch .LBB6_5099
.LBB6_5561:                             ;   in Loop: Header=BB6_4995 Depth=2
	s_mov_b32 s7, -1
	s_mov_b32 s25, exec_lo
                                        ; implicit-def: $sgpr23
	v_cmpx_eq_u16_e32 0x80, v46
; %bb.5562:                             ;   in Loop: Header=BB6_4995 Depth=2
	s_mov_b32 s23, 0x7f800001
	s_xor_b32 s7, exec_lo, -1
; %bb.5563:                             ;   in Loop: Header=BB6_4995 Depth=2
	s_or_b32 exec_lo, exec_lo, s25
	s_delay_alu instid0(SALU_CYCLE_1)
	s_and_b32 s7, s7, exec_lo
                                        ; implicit-def: $vgpr46
	s_or_saveexec_b32 s24, s24
	v_mov_b32_e32 v45, s23
	s_xor_b32 exec_lo, exec_lo, s24
	s_cbranch_execz .LBB6_5109
.LBB6_5564:                             ;   in Loop: Header=BB6_4995 Depth=2
	v_cmp_ne_u16_e32 vcc_lo, 0, v46
	v_mov_b32_e32 v45, 0
	s_and_not1_b32 s7, s7, exec_lo
	s_and_b32 s23, vcc_lo, exec_lo
	s_delay_alu instid0(SALU_CYCLE_1)
	s_or_b32 s7, s7, s23
	s_or_b32 exec_lo, exec_lo, s24
	s_and_saveexec_b32 s23, s7
	s_cbranch_execnz .LBB6_5110
	s_branch .LBB6_5111
.LBB6_5565:                             ;   in Loop: Header=BB6_4995 Depth=2
	s_mov_b32 s7, -1
	s_mov_b32 s25, exec_lo
                                        ; implicit-def: $sgpr23
	v_cmpx_eq_u16_e32 0x80, v46
; %bb.5566:                             ;   in Loop: Header=BB6_4995 Depth=2
	s_mov_b32 s23, 0x7f800001
	s_xor_b32 s7, exec_lo, -1
; %bb.5567:                             ;   in Loop: Header=BB6_4995 Depth=2
	s_or_b32 exec_lo, exec_lo, s25
	s_delay_alu instid0(SALU_CYCLE_1)
	s_and_b32 s7, s7, exec_lo
                                        ; implicit-def: $vgpr46
	s_or_saveexec_b32 s24, s24
	v_mov_b32_e32 v44, s23
	s_xor_b32 exec_lo, exec_lo, s24
	s_cbranch_execz .LBB6_5113
.LBB6_5568:                             ;   in Loop: Header=BB6_4995 Depth=2
	v_cmp_ne_u16_e32 vcc_lo, 0, v46
	v_mov_b32_e32 v44, 0
	s_and_not1_b32 s7, s7, exec_lo
	s_and_b32 s23, vcc_lo, exec_lo
	s_delay_alu instid0(SALU_CYCLE_1)
	s_or_b32 s7, s7, s23
	s_or_b32 exec_lo, exec_lo, s24
	s_and_saveexec_b32 s23, s7
	s_cbranch_execnz .LBB6_5114
	s_branch .LBB6_5115
.LBB6_5569:                             ;   in Loop: Header=BB6_4995 Depth=2
	s_mov_b32 s7, -1
	s_mov_b32 s25, exec_lo
                                        ; implicit-def: $sgpr23
	v_cmpx_eq_u16_e32 0x80, v45
; %bb.5570:                             ;   in Loop: Header=BB6_4995 Depth=2
	s_mov_b32 s23, 0x7f800001
	s_xor_b32 s7, exec_lo, -1
; %bb.5571:                             ;   in Loop: Header=BB6_4995 Depth=2
	s_or_b32 exec_lo, exec_lo, s25
	s_delay_alu instid0(SALU_CYCLE_1)
	s_and_b32 s7, s7, exec_lo
                                        ; implicit-def: $vgpr45
	s_or_saveexec_b32 s24, s24
	v_mov_b32_e32 v44, s23
	s_xor_b32 exec_lo, exec_lo, s24
	s_cbranch_execz .LBB6_5125
.LBB6_5572:                             ;   in Loop: Header=BB6_4995 Depth=2
	v_cmp_ne_u16_e32 vcc_lo, 0, v45
	v_mov_b32_e32 v44, 0
	s_and_not1_b32 s7, s7, exec_lo
	s_and_b32 s23, vcc_lo, exec_lo
	s_delay_alu instid0(SALU_CYCLE_1)
	s_or_b32 s7, s7, s23
	s_or_b32 exec_lo, exec_lo, s24
	s_and_saveexec_b32 s23, s7
	s_cbranch_execnz .LBB6_5126
	s_branch .LBB6_5127
.LBB6_5573:                             ;   in Loop: Header=BB6_4995 Depth=2
	s_mov_b32 s7, -1
	s_mov_b32 s25, exec_lo
                                        ; implicit-def: $sgpr23
	v_cmpx_eq_u16_e32 0x80, v45
; %bb.5574:                             ;   in Loop: Header=BB6_4995 Depth=2
	s_mov_b32 s23, 0x7f800001
	s_xor_b32 s7, exec_lo, -1
; %bb.5575:                             ;   in Loop: Header=BB6_4995 Depth=2
	s_or_b32 exec_lo, exec_lo, s25
	s_delay_alu instid0(SALU_CYCLE_1)
	s_and_b32 s7, s7, exec_lo
                                        ; implicit-def: $vgpr45
	s_or_saveexec_b32 s24, s24
	v_mov_b32_e32 v43, s23
	s_xor_b32 exec_lo, exec_lo, s24
	s_cbranch_execz .LBB6_5129
.LBB6_5576:                             ;   in Loop: Header=BB6_4995 Depth=2
	v_cmp_ne_u16_e32 vcc_lo, 0, v45
	v_mov_b32_e32 v43, 0
	s_and_not1_b32 s7, s7, exec_lo
	s_and_b32 s23, vcc_lo, exec_lo
	s_delay_alu instid0(SALU_CYCLE_1)
	s_or_b32 s7, s7, s23
	s_or_b32 exec_lo, exec_lo, s24
	s_and_saveexec_b32 s23, s7
	s_cbranch_execnz .LBB6_5130
	s_branch .LBB6_5131
.LBB6_5577:                             ;   in Loop: Header=BB6_4995 Depth=2
	s_mov_b32 s7, -1
	s_mov_b32 s25, exec_lo
                                        ; implicit-def: $sgpr23
	v_cmpx_eq_u16_e32 0x80, v44
; %bb.5578:                             ;   in Loop: Header=BB6_4995 Depth=2
	s_mov_b32 s23, 0x7f800001
	s_xor_b32 s7, exec_lo, -1
; %bb.5579:                             ;   in Loop: Header=BB6_4995 Depth=2
	s_or_b32 exec_lo, exec_lo, s25
	s_delay_alu instid0(SALU_CYCLE_1)
	s_and_b32 s7, s7, exec_lo
                                        ; implicit-def: $vgpr44
	s_or_saveexec_b32 s24, s24
	v_mov_b32_e32 v43, s23
	s_xor_b32 exec_lo, exec_lo, s24
	s_cbranch_execz .LBB6_5141
.LBB6_5580:                             ;   in Loop: Header=BB6_4995 Depth=2
	v_cmp_ne_u16_e32 vcc_lo, 0, v44
	v_mov_b32_e32 v43, 0
	s_and_not1_b32 s7, s7, exec_lo
	s_and_b32 s23, vcc_lo, exec_lo
	s_delay_alu instid0(SALU_CYCLE_1)
	s_or_b32 s7, s7, s23
	s_or_b32 exec_lo, exec_lo, s24
	s_and_saveexec_b32 s23, s7
	s_cbranch_execnz .LBB6_5142
	s_branch .LBB6_5143
.LBB6_5581:                             ;   in Loop: Header=BB6_4995 Depth=2
	s_mov_b32 s7, -1
	s_mov_b32 s25, exec_lo
                                        ; implicit-def: $sgpr23
	v_cmpx_eq_u16_e32 0x80, v44
; %bb.5582:                             ;   in Loop: Header=BB6_4995 Depth=2
	s_mov_b32 s23, 0x7f800001
	s_xor_b32 s7, exec_lo, -1
; %bb.5583:                             ;   in Loop: Header=BB6_4995 Depth=2
	s_or_b32 exec_lo, exec_lo, s25
	s_delay_alu instid0(SALU_CYCLE_1)
	s_and_b32 s7, s7, exec_lo
                                        ; implicit-def: $vgpr44
	s_or_saveexec_b32 s24, s24
	v_mov_b32_e32 v42, s23
	s_xor_b32 exec_lo, exec_lo, s24
	s_cbranch_execz .LBB6_5145
.LBB6_5584:                             ;   in Loop: Header=BB6_4995 Depth=2
	v_cmp_ne_u16_e32 vcc_lo, 0, v44
	v_mov_b32_e32 v42, 0
	s_and_not1_b32 s7, s7, exec_lo
	s_and_b32 s23, vcc_lo, exec_lo
	s_delay_alu instid0(SALU_CYCLE_1)
	s_or_b32 s7, s7, s23
	s_or_b32 exec_lo, exec_lo, s24
	s_and_saveexec_b32 s23, s7
	s_cbranch_execnz .LBB6_5146
	s_branch .LBB6_5147
.LBB6_5585:                             ;   in Loop: Header=BB6_4995 Depth=2
	s_mov_b32 s7, -1
	s_mov_b32 s25, exec_lo
                                        ; implicit-def: $sgpr23
	v_cmpx_eq_u16_e32 0x80, v43
; %bb.5586:                             ;   in Loop: Header=BB6_4995 Depth=2
	s_mov_b32 s23, 0x7f800001
	s_xor_b32 s7, exec_lo, -1
; %bb.5587:                             ;   in Loop: Header=BB6_4995 Depth=2
	s_or_b32 exec_lo, exec_lo, s25
	s_delay_alu instid0(SALU_CYCLE_1)
	s_and_b32 s7, s7, exec_lo
                                        ; implicit-def: $vgpr43
	s_or_saveexec_b32 s24, s24
	v_mov_b32_e32 v42, s23
	s_xor_b32 exec_lo, exec_lo, s24
	s_cbranch_execz .LBB6_5157
.LBB6_5588:                             ;   in Loop: Header=BB6_4995 Depth=2
	v_cmp_ne_u16_e32 vcc_lo, 0, v43
	v_mov_b32_e32 v42, 0
	s_and_not1_b32 s7, s7, exec_lo
	s_and_b32 s23, vcc_lo, exec_lo
	s_delay_alu instid0(SALU_CYCLE_1)
	s_or_b32 s7, s7, s23
	s_or_b32 exec_lo, exec_lo, s24
	s_and_saveexec_b32 s23, s7
	s_cbranch_execnz .LBB6_5158
	s_branch .LBB6_5159
.LBB6_5589:                             ;   in Loop: Header=BB6_4995 Depth=2
	s_mov_b32 s7, -1
	s_mov_b32 s25, exec_lo
                                        ; implicit-def: $sgpr23
	v_cmpx_eq_u16_e32 0x80, v43
; %bb.5590:                             ;   in Loop: Header=BB6_4995 Depth=2
	s_mov_b32 s23, 0x7f800001
	s_xor_b32 s7, exec_lo, -1
; %bb.5591:                             ;   in Loop: Header=BB6_4995 Depth=2
	s_or_b32 exec_lo, exec_lo, s25
	s_delay_alu instid0(SALU_CYCLE_1)
	s_and_b32 s7, s7, exec_lo
                                        ; implicit-def: $vgpr43
	s_or_saveexec_b32 s24, s24
	v_mov_b32_e32 v41, s23
	s_xor_b32 exec_lo, exec_lo, s24
	s_cbranch_execz .LBB6_5161
.LBB6_5592:                             ;   in Loop: Header=BB6_4995 Depth=2
	v_cmp_ne_u16_e32 vcc_lo, 0, v43
	v_mov_b32_e32 v41, 0
	s_and_not1_b32 s7, s7, exec_lo
	s_and_b32 s23, vcc_lo, exec_lo
	s_delay_alu instid0(SALU_CYCLE_1)
	s_or_b32 s7, s7, s23
	s_or_b32 exec_lo, exec_lo, s24
	s_and_saveexec_b32 s23, s7
	s_cbranch_execnz .LBB6_5162
	s_branch .LBB6_5163
.LBB6_5593:                             ;   in Loop: Header=BB6_4995 Depth=2
	s_mov_b32 s7, -1
	s_mov_b32 s25, exec_lo
                                        ; implicit-def: $sgpr23
	v_cmpx_eq_u16_e32 0x80, v42
; %bb.5594:                             ;   in Loop: Header=BB6_4995 Depth=2
	s_mov_b32 s23, 0x7f800001
	s_xor_b32 s7, exec_lo, -1
; %bb.5595:                             ;   in Loop: Header=BB6_4995 Depth=2
	s_or_b32 exec_lo, exec_lo, s25
	s_delay_alu instid0(SALU_CYCLE_1)
	s_and_b32 s7, s7, exec_lo
                                        ; implicit-def: $vgpr42
	s_or_saveexec_b32 s24, s24
	v_mov_b32_e32 v41, s23
	s_xor_b32 exec_lo, exec_lo, s24
	s_cbranch_execz .LBB6_5173
.LBB6_5596:                             ;   in Loop: Header=BB6_4995 Depth=2
	v_cmp_ne_u16_e32 vcc_lo, 0, v42
	v_mov_b32_e32 v41, 0
	s_and_not1_b32 s7, s7, exec_lo
	s_and_b32 s23, vcc_lo, exec_lo
	s_delay_alu instid0(SALU_CYCLE_1)
	s_or_b32 s7, s7, s23
	s_or_b32 exec_lo, exec_lo, s24
	s_and_saveexec_b32 s23, s7
	s_cbranch_execnz .LBB6_5174
	s_branch .LBB6_5175
.LBB6_5597:                             ;   in Loop: Header=BB6_4995 Depth=2
	s_mov_b32 s7, -1
	s_mov_b32 s25, exec_lo
                                        ; implicit-def: $sgpr23
	v_cmpx_eq_u16_e32 0x80, v42
; %bb.5598:                             ;   in Loop: Header=BB6_4995 Depth=2
	s_mov_b32 s23, 0x7f800001
	s_xor_b32 s7, exec_lo, -1
; %bb.5599:                             ;   in Loop: Header=BB6_4995 Depth=2
	s_or_b32 exec_lo, exec_lo, s25
	s_delay_alu instid0(SALU_CYCLE_1)
	s_and_b32 s7, s7, exec_lo
                                        ; implicit-def: $vgpr42
	s_or_saveexec_b32 s24, s24
	v_mov_b32_e32 v40, s23
	s_xor_b32 exec_lo, exec_lo, s24
	s_cbranch_execz .LBB6_5177
.LBB6_5600:                             ;   in Loop: Header=BB6_4995 Depth=2
	v_cmp_ne_u16_e32 vcc_lo, 0, v42
	v_mov_b32_e32 v40, 0
	s_and_not1_b32 s7, s7, exec_lo
	s_and_b32 s23, vcc_lo, exec_lo
	s_delay_alu instid0(SALU_CYCLE_1)
	s_or_b32 s7, s7, s23
	s_or_b32 exec_lo, exec_lo, s24
	s_and_saveexec_b32 s23, s7
	s_cbranch_execnz .LBB6_5178
	s_branch .LBB6_5179
.LBB6_5601:                             ;   in Loop: Header=BB6_4995 Depth=2
	s_mov_b32 s7, -1
	s_mov_b32 s25, exec_lo
                                        ; implicit-def: $sgpr23
	v_cmpx_eq_u16_e32 0x80, v41
; %bb.5602:                             ;   in Loop: Header=BB6_4995 Depth=2
	s_mov_b32 s23, 0x7f800001
	s_xor_b32 s7, exec_lo, -1
; %bb.5603:                             ;   in Loop: Header=BB6_4995 Depth=2
	s_or_b32 exec_lo, exec_lo, s25
	s_delay_alu instid0(SALU_CYCLE_1)
	s_and_b32 s7, s7, exec_lo
                                        ; implicit-def: $vgpr41
	s_or_saveexec_b32 s24, s24
	v_mov_b32_e32 v40, s23
	s_xor_b32 exec_lo, exec_lo, s24
	s_cbranch_execz .LBB6_5189
.LBB6_5604:                             ;   in Loop: Header=BB6_4995 Depth=2
	v_cmp_ne_u16_e32 vcc_lo, 0, v41
	v_mov_b32_e32 v40, 0
	s_and_not1_b32 s7, s7, exec_lo
	s_and_b32 s23, vcc_lo, exec_lo
	s_delay_alu instid0(SALU_CYCLE_1)
	s_or_b32 s7, s7, s23
	s_or_b32 exec_lo, exec_lo, s24
	s_and_saveexec_b32 s23, s7
	s_cbranch_execnz .LBB6_5190
	s_branch .LBB6_5191
.LBB6_5605:                             ;   in Loop: Header=BB6_4995 Depth=2
	s_mov_b32 s7, -1
	s_mov_b32 s25, exec_lo
                                        ; implicit-def: $sgpr23
	v_cmpx_eq_u16_e32 0x80, v41
; %bb.5606:                             ;   in Loop: Header=BB6_4995 Depth=2
	s_mov_b32 s23, 0x7f800001
	s_xor_b32 s7, exec_lo, -1
; %bb.5607:                             ;   in Loop: Header=BB6_4995 Depth=2
	s_or_b32 exec_lo, exec_lo, s25
	s_delay_alu instid0(SALU_CYCLE_1)
	s_and_b32 s7, s7, exec_lo
                                        ; implicit-def: $vgpr41
	s_or_saveexec_b32 s24, s24
	v_mov_b32_e32 v183, s23
	s_xor_b32 exec_lo, exec_lo, s24
	s_cbranch_execz .LBB6_5193
.LBB6_5608:                             ;   in Loop: Header=BB6_4995 Depth=2
	v_cmp_ne_u16_e32 vcc_lo, 0, v41
	v_mov_b32_e32 v183, 0
	s_and_not1_b32 s7, s7, exec_lo
	s_and_b32 s23, vcc_lo, exec_lo
	s_delay_alu instid0(SALU_CYCLE_1)
	s_or_b32 s7, s7, s23
	s_or_b32 exec_lo, exec_lo, s24
	s_and_saveexec_b32 s23, s7
	s_cbranch_execnz .LBB6_5194
	s_branch .LBB6_5195
.LBB6_5609:                             ;   in Loop: Header=BB6_4995 Depth=2
	s_mov_b32 s7, -1
	s_mov_b32 s25, exec_lo
                                        ; implicit-def: $sgpr23
	v_cmpx_eq_u16_e32 0x80, v40
; %bb.5610:                             ;   in Loop: Header=BB6_4995 Depth=2
	s_mov_b32 s23, 0x7f800001
	s_xor_b32 s7, exec_lo, -1
; %bb.5611:                             ;   in Loop: Header=BB6_4995 Depth=2
	s_or_b32 exec_lo, exec_lo, s25
	s_delay_alu instid0(SALU_CYCLE_1)
	s_and_b32 s7, s7, exec_lo
                                        ; implicit-def: $vgpr40
	s_or_saveexec_b32 s24, s24
	v_mov_b32_e32 v183, s23
	s_xor_b32 exec_lo, exec_lo, s24
	s_cbranch_execz .LBB6_5205
.LBB6_5612:                             ;   in Loop: Header=BB6_4995 Depth=2
	v_cmp_ne_u16_e32 vcc_lo, 0, v40
	v_mov_b32_e32 v183, 0
	s_and_not1_b32 s7, s7, exec_lo
	s_and_b32 s23, vcc_lo, exec_lo
	s_delay_alu instid0(SALU_CYCLE_1)
	s_or_b32 s7, s7, s23
	s_or_b32 exec_lo, exec_lo, s24
	s_and_saveexec_b32 s23, s7
	s_cbranch_execnz .LBB6_5206
	s_branch .LBB6_5207
.LBB6_5613:                             ;   in Loop: Header=BB6_4995 Depth=2
	s_mov_b32 s7, -1
	s_mov_b32 s25, exec_lo
                                        ; implicit-def: $sgpr23
	v_cmpx_eq_u16_e32 0x80, v40
; %bb.5614:                             ;   in Loop: Header=BB6_4995 Depth=2
	s_mov_b32 s23, 0x7f800001
	s_xor_b32 s7, exec_lo, -1
; %bb.5615:                             ;   in Loop: Header=BB6_4995 Depth=2
	s_or_b32 exec_lo, exec_lo, s25
	s_delay_alu instid0(SALU_CYCLE_1)
	s_and_b32 s7, s7, exec_lo
                                        ; implicit-def: $vgpr40
	s_or_saveexec_b32 s24, s24
	v_mov_b32_e32 v182, s23
	s_xor_b32 exec_lo, exec_lo, s24
	s_cbranch_execz .LBB6_5209
.LBB6_5616:                             ;   in Loop: Header=BB6_4995 Depth=2
	v_cmp_ne_u16_e32 vcc_lo, 0, v40
	v_mov_b32_e32 v182, 0
	s_and_not1_b32 s7, s7, exec_lo
	s_and_b32 s23, vcc_lo, exec_lo
	s_delay_alu instid0(SALU_CYCLE_1)
	s_or_b32 s7, s7, s23
	s_or_b32 exec_lo, exec_lo, s24
	s_and_saveexec_b32 s23, s7
	s_cbranch_execnz .LBB6_5210
	s_branch .LBB6_5211
.LBB6_5617:                             ;   in Loop: Header=BB6_4995 Depth=2
	s_mov_b32 s7, -1
	s_mov_b32 s25, exec_lo
                                        ; implicit-def: $sgpr23
	v_cmpx_eq_u16_e64 0x80, v183
; %bb.5618:                             ;   in Loop: Header=BB6_4995 Depth=2
	s_mov_b32 s23, 0x7f800001
	s_xor_b32 s7, exec_lo, -1
; %bb.5619:                             ;   in Loop: Header=BB6_4995 Depth=2
	s_or_b32 exec_lo, exec_lo, s25
	s_delay_alu instid0(SALU_CYCLE_1)
	s_and_b32 s7, s7, exec_lo
                                        ; implicit-def: $vgpr183
	s_or_saveexec_b32 s24, s24
	v_mov_b32_e32 v182, s23
	s_xor_b32 exec_lo, exec_lo, s24
	s_cbranch_execz .LBB6_5221
.LBB6_5620:                             ;   in Loop: Header=BB6_4995 Depth=2
	v_cmp_ne_u16_e64 vcc_lo, 0, v183
	v_mov_b32_e32 v182, 0
	s_and_not1_b32 s7, s7, exec_lo
	s_delay_alu instid0(VALU_DEP_2) | instskip(NEXT) | instid1(SALU_CYCLE_1)
	s_and_b32 s23, vcc_lo, exec_lo
	s_or_b32 s7, s7, s23
	s_or_b32 exec_lo, exec_lo, s24
	s_and_saveexec_b32 s23, s7
	s_cbranch_execnz .LBB6_5222
	s_branch .LBB6_5223
.LBB6_5621:                             ;   in Loop: Header=BB6_4995 Depth=2
	s_mov_b32 s7, -1
	s_mov_b32 s25, exec_lo
                                        ; implicit-def: $sgpr23
	v_cmpx_eq_u16_e64 0x80, v183
; %bb.5622:                             ;   in Loop: Header=BB6_4995 Depth=2
	s_mov_b32 s23, 0x7f800001
	s_xor_b32 s7, exec_lo, -1
; %bb.5623:                             ;   in Loop: Header=BB6_4995 Depth=2
	s_or_b32 exec_lo, exec_lo, s25
	s_delay_alu instid0(SALU_CYCLE_1)
	s_and_b32 s7, s7, exec_lo
                                        ; implicit-def: $vgpr183
	s_or_saveexec_b32 s24, s24
	v_mov_b32_e32 v181, s23
	s_xor_b32 exec_lo, exec_lo, s24
	s_cbranch_execz .LBB6_5225
.LBB6_5624:                             ;   in Loop: Header=BB6_4995 Depth=2
	v_cmp_ne_u16_e64 vcc_lo, 0, v183
	v_mov_b32_e32 v181, 0
	s_and_not1_b32 s7, s7, exec_lo
	s_delay_alu instid0(VALU_DEP_2) | instskip(NEXT) | instid1(SALU_CYCLE_1)
	s_and_b32 s23, vcc_lo, exec_lo
	s_or_b32 s7, s7, s23
	s_or_b32 exec_lo, exec_lo, s24
	s_and_saveexec_b32 s23, s7
	s_cbranch_execnz .LBB6_5226
	s_branch .LBB6_5227
.LBB6_5625:                             ;   in Loop: Header=BB6_4995 Depth=2
	s_mov_b32 s7, -1
	s_mov_b32 s25, exec_lo
                                        ; implicit-def: $sgpr23
	v_cmpx_eq_u16_e64 0x80, v182
; %bb.5626:                             ;   in Loop: Header=BB6_4995 Depth=2
	s_mov_b32 s23, 0x7f800001
	s_xor_b32 s7, exec_lo, -1
; %bb.5627:                             ;   in Loop: Header=BB6_4995 Depth=2
	s_or_b32 exec_lo, exec_lo, s25
	s_delay_alu instid0(SALU_CYCLE_1)
	s_and_b32 s7, s7, exec_lo
                                        ; implicit-def: $vgpr182
	s_or_saveexec_b32 s24, s24
	v_mov_b32_e32 v181, s23
	s_xor_b32 exec_lo, exec_lo, s24
	s_cbranch_execz .LBB6_5237
.LBB6_5628:                             ;   in Loop: Header=BB6_4995 Depth=2
	v_cmp_ne_u16_e64 vcc_lo, 0, v182
	v_mov_b32_e32 v181, 0
	s_and_not1_b32 s7, s7, exec_lo
	s_delay_alu instid0(VALU_DEP_2) | instskip(NEXT) | instid1(SALU_CYCLE_1)
	s_and_b32 s23, vcc_lo, exec_lo
	s_or_b32 s7, s7, s23
	s_or_b32 exec_lo, exec_lo, s24
	s_and_saveexec_b32 s23, s7
	s_cbranch_execnz .LBB6_5238
	s_branch .LBB6_5239
.LBB6_5629:                             ;   in Loop: Header=BB6_4995 Depth=2
	s_mov_b32 s7, -1
	s_mov_b32 s25, exec_lo
                                        ; implicit-def: $sgpr23
	v_cmpx_eq_u16_e64 0x80, v182
; %bb.5630:                             ;   in Loop: Header=BB6_4995 Depth=2
	s_mov_b32 s23, 0x7f800001
	s_xor_b32 s7, exec_lo, -1
; %bb.5631:                             ;   in Loop: Header=BB6_4995 Depth=2
	s_or_b32 exec_lo, exec_lo, s25
	s_delay_alu instid0(SALU_CYCLE_1)
	s_and_b32 s7, s7, exec_lo
                                        ; implicit-def: $vgpr182
	s_or_saveexec_b32 s24, s24
	v_mov_b32_e32 v180, s23
	s_xor_b32 exec_lo, exec_lo, s24
	s_cbranch_execz .LBB6_5241
.LBB6_5632:                             ;   in Loop: Header=BB6_4995 Depth=2
	v_cmp_ne_u16_e64 vcc_lo, 0, v182
	v_mov_b32_e32 v180, 0
	s_and_not1_b32 s7, s7, exec_lo
	s_delay_alu instid0(VALU_DEP_2) | instskip(NEXT) | instid1(SALU_CYCLE_1)
	s_and_b32 s23, vcc_lo, exec_lo
	s_or_b32 s7, s7, s23
	s_or_b32 exec_lo, exec_lo, s24
	s_and_saveexec_b32 s23, s7
	s_cbranch_execnz .LBB6_5242
	s_branch .LBB6_5243
.LBB6_5633:                             ;   in Loop: Header=BB6_4995 Depth=2
	s_mov_b32 s7, -1
	s_mov_b32 s25, exec_lo
                                        ; implicit-def: $sgpr23
	v_cmpx_eq_u16_e64 0x80, v181
; %bb.5634:                             ;   in Loop: Header=BB6_4995 Depth=2
	s_mov_b32 s23, 0x7f800001
	s_xor_b32 s7, exec_lo, -1
; %bb.5635:                             ;   in Loop: Header=BB6_4995 Depth=2
	s_or_b32 exec_lo, exec_lo, s25
	s_delay_alu instid0(SALU_CYCLE_1)
	s_and_b32 s7, s7, exec_lo
                                        ; implicit-def: $vgpr181
	s_or_saveexec_b32 s24, s24
	v_mov_b32_e32 v180, s23
	s_xor_b32 exec_lo, exec_lo, s24
	s_cbranch_execz .LBB6_5253
.LBB6_5636:                             ;   in Loop: Header=BB6_4995 Depth=2
	v_cmp_ne_u16_e64 vcc_lo, 0, v181
	v_mov_b32_e32 v180, 0
	s_and_not1_b32 s7, s7, exec_lo
	s_delay_alu instid0(VALU_DEP_2) | instskip(NEXT) | instid1(SALU_CYCLE_1)
	s_and_b32 s23, vcc_lo, exec_lo
	s_or_b32 s7, s7, s23
	s_or_b32 exec_lo, exec_lo, s24
	s_and_saveexec_b32 s23, s7
	s_cbranch_execnz .LBB6_5254
	s_branch .LBB6_5255
.LBB6_5637:                             ;   in Loop: Header=BB6_4995 Depth=2
	s_mov_b32 s7, -1
	s_mov_b32 s25, exec_lo
                                        ; implicit-def: $sgpr23
	v_cmpx_eq_u16_e64 0x80, v181
; %bb.5638:                             ;   in Loop: Header=BB6_4995 Depth=2
	s_mov_b32 s23, 0x7f800001
	s_xor_b32 s7, exec_lo, -1
; %bb.5639:                             ;   in Loop: Header=BB6_4995 Depth=2
	s_or_b32 exec_lo, exec_lo, s25
	s_delay_alu instid0(SALU_CYCLE_1)
	s_and_b32 s7, s7, exec_lo
                                        ; implicit-def: $vgpr181
	s_or_saveexec_b32 s24, s24
	v_mov_b32_e32 v178, s23
	s_xor_b32 exec_lo, exec_lo, s24
	s_cbranch_execz .LBB6_5257
.LBB6_5640:                             ;   in Loop: Header=BB6_4995 Depth=2
	v_cmp_ne_u16_e64 vcc_lo, 0, v181
	v_mov_b32_e32 v178, 0
	s_and_not1_b32 s7, s7, exec_lo
	s_delay_alu instid0(VALU_DEP_2) | instskip(NEXT) | instid1(SALU_CYCLE_1)
	s_and_b32 s23, vcc_lo, exec_lo
	s_or_b32 s7, s7, s23
	s_or_b32 exec_lo, exec_lo, s24
	s_and_saveexec_b32 s23, s7
	s_cbranch_execnz .LBB6_5258
	s_branch .LBB6_5259
.LBB6_5641:                             ;   in Loop: Header=BB6_4995 Depth=2
	s_mov_b32 s7, -1
	s_mov_b32 s25, exec_lo
                                        ; implicit-def: $sgpr23
	v_cmpx_eq_u16_e64 0x80, v180
; %bb.5642:                             ;   in Loop: Header=BB6_4995 Depth=2
	s_mov_b32 s23, 0x7f800001
	s_xor_b32 s7, exec_lo, -1
; %bb.5643:                             ;   in Loop: Header=BB6_4995 Depth=2
	s_or_b32 exec_lo, exec_lo, s25
	s_delay_alu instid0(SALU_CYCLE_1)
	s_and_b32 s7, s7, exec_lo
                                        ; implicit-def: $vgpr180
	s_or_saveexec_b32 s24, s24
	v_mov_b32_e32 v178, s23
	s_xor_b32 exec_lo, exec_lo, s24
	s_cbranch_execz .LBB6_5269
.LBB6_5644:                             ;   in Loop: Header=BB6_4995 Depth=2
	v_cmp_ne_u16_e64 vcc_lo, 0, v180
	v_mov_b32_e32 v178, 0
	s_and_not1_b32 s7, s7, exec_lo
	s_delay_alu instid0(VALU_DEP_2) | instskip(NEXT) | instid1(SALU_CYCLE_1)
	s_and_b32 s23, vcc_lo, exec_lo
	s_or_b32 s7, s7, s23
	s_or_b32 exec_lo, exec_lo, s24
	s_and_saveexec_b32 s23, s7
	s_cbranch_execnz .LBB6_5270
	s_branch .LBB6_5271
.LBB6_5645:                             ;   in Loop: Header=BB6_4995 Depth=2
	s_mov_b32 s7, -1
	s_mov_b32 s25, exec_lo
                                        ; implicit-def: $sgpr23
	v_cmpx_eq_u16_e64 0x80, v180
; %bb.5646:                             ;   in Loop: Header=BB6_4995 Depth=2
	s_mov_b32 s23, 0x7f800001
	s_xor_b32 s7, exec_lo, -1
; %bb.5647:                             ;   in Loop: Header=BB6_4995 Depth=2
	s_or_b32 exec_lo, exec_lo, s25
	s_delay_alu instid0(SALU_CYCLE_1)
	s_and_b32 s7, s7, exec_lo
                                        ; implicit-def: $vgpr180
	s_or_saveexec_b32 s24, s24
	v_mov_b32_e32 v167, s23
	s_xor_b32 exec_lo, exec_lo, s24
	s_cbranch_execz .LBB6_5273
.LBB6_5648:                             ;   in Loop: Header=BB6_4995 Depth=2
	v_cmp_ne_u16_e64 vcc_lo, 0, v180
	v_mov_b32_e32 v167, 0
	s_and_not1_b32 s7, s7, exec_lo
	s_delay_alu instid0(VALU_DEP_2) | instskip(NEXT) | instid1(SALU_CYCLE_1)
	s_and_b32 s23, vcc_lo, exec_lo
	s_or_b32 s7, s7, s23
	s_or_b32 exec_lo, exec_lo, s24
	s_and_saveexec_b32 s23, s7
	s_cbranch_execnz .LBB6_5274
	s_branch .LBB6_5275
.LBB6_5649:                             ;   in Loop: Header=BB6_4995 Depth=2
	s_mov_b32 s7, -1
	s_mov_b32 s25, exec_lo
                                        ; implicit-def: $sgpr23
	v_cmpx_eq_u16_e64 0x80, v178
; %bb.5650:                             ;   in Loop: Header=BB6_4995 Depth=2
	s_mov_b32 s23, 0x7f800001
	s_xor_b32 s7, exec_lo, -1
; %bb.5651:                             ;   in Loop: Header=BB6_4995 Depth=2
	s_or_b32 exec_lo, exec_lo, s25
	s_delay_alu instid0(SALU_CYCLE_1)
	s_and_b32 s7, s7, exec_lo
                                        ; implicit-def: $vgpr178
	s_or_saveexec_b32 s24, s24
	v_mov_b32_e32 v167, s23
	s_xor_b32 exec_lo, exec_lo, s24
	s_cbranch_execz .LBB6_5285
.LBB6_5652:                             ;   in Loop: Header=BB6_4995 Depth=2
	v_cmp_ne_u16_e64 vcc_lo, 0, v178
	v_mov_b32_e32 v167, 0
	s_and_not1_b32 s7, s7, exec_lo
	s_delay_alu instid0(VALU_DEP_2) | instskip(NEXT) | instid1(SALU_CYCLE_1)
	s_and_b32 s23, vcc_lo, exec_lo
	s_or_b32 s7, s7, s23
	s_or_b32 exec_lo, exec_lo, s24
	s_and_saveexec_b32 s23, s7
	s_cbranch_execnz .LBB6_5286
	s_branch .LBB6_5287
.LBB6_5653:                             ;   in Loop: Header=BB6_4995 Depth=2
	s_mov_b32 s7, -1
	s_mov_b32 s25, exec_lo
                                        ; implicit-def: $sgpr23
	v_cmpx_eq_u16_e64 0x80, v178
; %bb.5654:                             ;   in Loop: Header=BB6_4995 Depth=2
	s_mov_b32 s23, 0x7f800001
	s_xor_b32 s7, exec_lo, -1
; %bb.5655:                             ;   in Loop: Header=BB6_4995 Depth=2
	s_or_b32 exec_lo, exec_lo, s25
	s_delay_alu instid0(SALU_CYCLE_1)
	s_and_b32 s7, s7, exec_lo
                                        ; implicit-def: $vgpr178
	s_or_saveexec_b32 s24, s24
	v_mov_b32_e32 v164, s23
	s_xor_b32 exec_lo, exec_lo, s24
	s_cbranch_execz .LBB6_5289
.LBB6_5656:                             ;   in Loop: Header=BB6_4995 Depth=2
	v_cmp_ne_u16_e64 vcc_lo, 0, v178
	v_mov_b32_e32 v164, 0
	s_and_not1_b32 s7, s7, exec_lo
	s_delay_alu instid0(VALU_DEP_2) | instskip(NEXT) | instid1(SALU_CYCLE_1)
	s_and_b32 s23, vcc_lo, exec_lo
	s_or_b32 s7, s7, s23
	s_or_b32 exec_lo, exec_lo, s24
	s_and_saveexec_b32 s23, s7
	s_cbranch_execnz .LBB6_5290
	s_branch .LBB6_5291
.LBB6_5657:                             ;   in Loop: Header=BB6_4995 Depth=2
	s_mov_b32 s7, -1
	s_mov_b32 s25, exec_lo
                                        ; implicit-def: $sgpr23
	v_cmpx_eq_u16_e64 0x80, v167
; %bb.5658:                             ;   in Loop: Header=BB6_4995 Depth=2
	s_mov_b32 s23, 0x7f800001
	s_xor_b32 s7, exec_lo, -1
; %bb.5659:                             ;   in Loop: Header=BB6_4995 Depth=2
	s_or_b32 exec_lo, exec_lo, s25
	s_delay_alu instid0(SALU_CYCLE_1)
	s_and_b32 s7, s7, exec_lo
                                        ; implicit-def: $vgpr167
	s_or_saveexec_b32 s24, s24
	v_mov_b32_e32 v164, s23
	s_xor_b32 exec_lo, exec_lo, s24
	s_cbranch_execz .LBB6_5301
.LBB6_5660:                             ;   in Loop: Header=BB6_4995 Depth=2
	v_cmp_ne_u16_e64 vcc_lo, 0, v167
	v_mov_b32_e32 v164, 0
	s_and_not1_b32 s7, s7, exec_lo
	s_delay_alu instid0(VALU_DEP_2) | instskip(NEXT) | instid1(SALU_CYCLE_1)
	s_and_b32 s23, vcc_lo, exec_lo
	s_or_b32 s7, s7, s23
	s_or_b32 exec_lo, exec_lo, s24
	s_and_saveexec_b32 s23, s7
	s_cbranch_execnz .LBB6_5302
	s_branch .LBB6_5303
.LBB6_5661:                             ;   in Loop: Header=BB6_4995 Depth=2
	s_mov_b32 s7, -1
	s_mov_b32 s25, exec_lo
                                        ; implicit-def: $sgpr23
	v_cmpx_eq_u16_e64 0x80, v167
; %bb.5662:                             ;   in Loop: Header=BB6_4995 Depth=2
	s_mov_b32 s23, 0x7f800001
	s_xor_b32 s7, exec_lo, -1
; %bb.5663:                             ;   in Loop: Header=BB6_4995 Depth=2
	s_or_b32 exec_lo, exec_lo, s25
	s_delay_alu instid0(SALU_CYCLE_1)
	s_and_b32 s7, s7, exec_lo
                                        ; implicit-def: $vgpr167
	s_or_saveexec_b32 s24, s24
	v_mov_b32_e32 v161, s23
	s_xor_b32 exec_lo, exec_lo, s24
	s_cbranch_execz .LBB6_5305
.LBB6_5664:                             ;   in Loop: Header=BB6_4995 Depth=2
	v_cmp_ne_u16_e64 vcc_lo, 0, v167
	v_mov_b32_e32 v161, 0
	s_and_not1_b32 s7, s7, exec_lo
	s_delay_alu instid0(VALU_DEP_2) | instskip(NEXT) | instid1(SALU_CYCLE_1)
	s_and_b32 s23, vcc_lo, exec_lo
	s_or_b32 s7, s7, s23
	s_or_b32 exec_lo, exec_lo, s24
	s_and_saveexec_b32 s23, s7
	s_cbranch_execnz .LBB6_5306
	s_branch .LBB6_5307
.LBB6_5665:                             ;   in Loop: Header=BB6_4995 Depth=2
	s_mov_b32 s7, -1
	s_mov_b32 s25, exec_lo
                                        ; implicit-def: $sgpr23
	v_cmpx_eq_u16_e64 0x80, v164
; %bb.5666:                             ;   in Loop: Header=BB6_4995 Depth=2
	s_mov_b32 s23, 0x7f800001
	s_xor_b32 s7, exec_lo, -1
; %bb.5667:                             ;   in Loop: Header=BB6_4995 Depth=2
	s_or_b32 exec_lo, exec_lo, s25
	s_delay_alu instid0(SALU_CYCLE_1)
	s_and_b32 s7, s7, exec_lo
                                        ; implicit-def: $vgpr164
	s_or_saveexec_b32 s24, s24
	v_mov_b32_e32 v161, s23
	s_xor_b32 exec_lo, exec_lo, s24
	s_cbranch_execz .LBB6_5317
.LBB6_5668:                             ;   in Loop: Header=BB6_4995 Depth=2
	v_cmp_ne_u16_e64 vcc_lo, 0, v164
	v_mov_b32_e32 v161, 0
	s_and_not1_b32 s7, s7, exec_lo
	s_delay_alu instid0(VALU_DEP_2) | instskip(NEXT) | instid1(SALU_CYCLE_1)
	s_and_b32 s23, vcc_lo, exec_lo
	s_or_b32 s7, s7, s23
	s_or_b32 exec_lo, exec_lo, s24
	s_and_saveexec_b32 s23, s7
	s_cbranch_execnz .LBB6_5318
	s_branch .LBB6_5319
.LBB6_5669:                             ;   in Loop: Header=BB6_4995 Depth=2
	s_mov_b32 s7, -1
	s_mov_b32 s25, exec_lo
                                        ; implicit-def: $sgpr23
	v_cmpx_eq_u16_e64 0x80, v164
; %bb.5670:                             ;   in Loop: Header=BB6_4995 Depth=2
	s_mov_b32 s23, 0x7f800001
	s_xor_b32 s7, exec_lo, -1
; %bb.5671:                             ;   in Loop: Header=BB6_4995 Depth=2
	s_or_b32 exec_lo, exec_lo, s25
	s_delay_alu instid0(SALU_CYCLE_1)
	s_and_b32 s7, s7, exec_lo
                                        ; implicit-def: $vgpr164
	s_or_saveexec_b32 s24, s24
	v_mov_b32_e32 v150, s23
	s_xor_b32 exec_lo, exec_lo, s24
	s_cbranch_execz .LBB6_5321
.LBB6_5672:                             ;   in Loop: Header=BB6_4995 Depth=2
	v_cmp_ne_u16_e64 vcc_lo, 0, v164
	v_mov_b32_e32 v150, 0
	s_and_not1_b32 s7, s7, exec_lo
	s_delay_alu instid0(VALU_DEP_2) | instskip(NEXT) | instid1(SALU_CYCLE_1)
	s_and_b32 s23, vcc_lo, exec_lo
	s_or_b32 s7, s7, s23
	s_or_b32 exec_lo, exec_lo, s24
	s_and_saveexec_b32 s23, s7
	s_cbranch_execnz .LBB6_5322
	s_branch .LBB6_5323
.LBB6_5673:                             ;   in Loop: Header=BB6_4995 Depth=2
	s_mov_b32 s7, -1
	s_mov_b32 s25, exec_lo
                                        ; implicit-def: $sgpr23
	v_cmpx_eq_u16_e64 0x80, v161
; %bb.5674:                             ;   in Loop: Header=BB6_4995 Depth=2
	s_mov_b32 s23, 0x7f800001
	s_xor_b32 s7, exec_lo, -1
; %bb.5675:                             ;   in Loop: Header=BB6_4995 Depth=2
	s_or_b32 exec_lo, exec_lo, s25
	s_delay_alu instid0(SALU_CYCLE_1)
	s_and_b32 s7, s7, exec_lo
                                        ; implicit-def: $vgpr161
	s_or_saveexec_b32 s24, s24
	v_mov_b32_e32 v150, s23
	s_xor_b32 exec_lo, exec_lo, s24
	s_cbranch_execz .LBB6_5333
.LBB6_5676:                             ;   in Loop: Header=BB6_4995 Depth=2
	v_cmp_ne_u16_e64 vcc_lo, 0, v161
	v_mov_b32_e32 v150, 0
	s_and_not1_b32 s7, s7, exec_lo
	s_delay_alu instid0(VALU_DEP_2) | instskip(NEXT) | instid1(SALU_CYCLE_1)
	s_and_b32 s23, vcc_lo, exec_lo
	s_or_b32 s7, s7, s23
	s_or_b32 exec_lo, exec_lo, s24
	s_and_saveexec_b32 s23, s7
	s_cbranch_execnz .LBB6_5334
	s_branch .LBB6_5335
.LBB6_5677:                             ;   in Loop: Header=BB6_4995 Depth=2
	s_mov_b32 s7, -1
	s_mov_b32 s25, exec_lo
                                        ; implicit-def: $sgpr23
	v_cmpx_eq_u16_e64 0x80, v161
; %bb.5678:                             ;   in Loop: Header=BB6_4995 Depth=2
	s_mov_b32 s23, 0x7f800001
	s_xor_b32 s7, exec_lo, -1
; %bb.5679:                             ;   in Loop: Header=BB6_4995 Depth=2
	s_or_b32 exec_lo, exec_lo, s25
	s_delay_alu instid0(SALU_CYCLE_1)
	s_and_b32 s7, s7, exec_lo
                                        ; implicit-def: $vgpr161
	s_or_saveexec_b32 s24, s24
	v_mov_b32_e32 v147, s23
	s_xor_b32 exec_lo, exec_lo, s24
	s_cbranch_execz .LBB6_5337
.LBB6_5680:                             ;   in Loop: Header=BB6_4995 Depth=2
	v_cmp_ne_u16_e64 vcc_lo, 0, v161
	v_mov_b32_e32 v147, 0
	s_and_not1_b32 s7, s7, exec_lo
	s_delay_alu instid0(VALU_DEP_2) | instskip(NEXT) | instid1(SALU_CYCLE_1)
	s_and_b32 s23, vcc_lo, exec_lo
	s_or_b32 s7, s7, s23
	s_or_b32 exec_lo, exec_lo, s24
	s_and_saveexec_b32 s23, s7
	s_cbranch_execnz .LBB6_5338
	s_branch .LBB6_5339
.LBB6_5681:                             ;   in Loop: Header=BB6_4995 Depth=2
	s_mov_b32 s7, -1
	s_mov_b32 s25, exec_lo
                                        ; implicit-def: $sgpr23
	v_cmpx_eq_u16_e64 0x80, v150
; %bb.5682:                             ;   in Loop: Header=BB6_4995 Depth=2
	s_mov_b32 s23, 0x7f800001
	s_xor_b32 s7, exec_lo, -1
; %bb.5683:                             ;   in Loop: Header=BB6_4995 Depth=2
	s_or_b32 exec_lo, exec_lo, s25
	s_delay_alu instid0(SALU_CYCLE_1)
	s_and_b32 s7, s7, exec_lo
                                        ; implicit-def: $vgpr150
	s_or_saveexec_b32 s24, s24
	v_mov_b32_e32 v147, s23
	s_xor_b32 exec_lo, exec_lo, s24
	s_cbranch_execz .LBB6_5349
.LBB6_5684:                             ;   in Loop: Header=BB6_4995 Depth=2
	v_cmp_ne_u16_e64 vcc_lo, 0, v150
	v_mov_b32_e32 v147, 0
	s_and_not1_b32 s7, s7, exec_lo
	s_delay_alu instid0(VALU_DEP_2) | instskip(NEXT) | instid1(SALU_CYCLE_1)
	s_and_b32 s23, vcc_lo, exec_lo
	s_or_b32 s7, s7, s23
	s_or_b32 exec_lo, exec_lo, s24
	s_and_saveexec_b32 s23, s7
	s_cbranch_execnz .LBB6_5350
	s_branch .LBB6_5351
.LBB6_5685:                             ;   in Loop: Header=BB6_4995 Depth=2
	s_mov_b32 s7, -1
	s_mov_b32 s25, exec_lo
                                        ; implicit-def: $sgpr23
	v_cmpx_eq_u16_e64 0x80, v150
; %bb.5686:                             ;   in Loop: Header=BB6_4995 Depth=2
	s_mov_b32 s23, 0x7f800001
	s_xor_b32 s7, exec_lo, -1
; %bb.5687:                             ;   in Loop: Header=BB6_4995 Depth=2
	s_or_b32 exec_lo, exec_lo, s25
	s_delay_alu instid0(SALU_CYCLE_1)
	s_and_b32 s7, s7, exec_lo
                                        ; implicit-def: $vgpr150
	s_or_saveexec_b32 s24, s24
	v_mov_b32_e32 v144, s23
	s_xor_b32 exec_lo, exec_lo, s24
	s_cbranch_execz .LBB6_5353
.LBB6_5688:                             ;   in Loop: Header=BB6_4995 Depth=2
	v_cmp_ne_u16_e64 vcc_lo, 0, v150
	v_mov_b32_e32 v144, 0
	s_and_not1_b32 s7, s7, exec_lo
	s_delay_alu instid0(VALU_DEP_2) | instskip(NEXT) | instid1(SALU_CYCLE_1)
	s_and_b32 s23, vcc_lo, exec_lo
	s_or_b32 s7, s7, s23
	s_or_b32 exec_lo, exec_lo, s24
	s_and_saveexec_b32 s23, s7
	s_cbranch_execnz .LBB6_5354
	s_branch .LBB6_5355
.LBB6_5689:                             ;   in Loop: Header=BB6_4995 Depth=2
	s_mov_b32 s7, -1
	s_mov_b32 s25, exec_lo
                                        ; implicit-def: $sgpr23
	v_cmpx_eq_u16_e64 0x80, v147
; %bb.5690:                             ;   in Loop: Header=BB6_4995 Depth=2
	s_mov_b32 s23, 0x7f800001
	s_xor_b32 s7, exec_lo, -1
; %bb.5691:                             ;   in Loop: Header=BB6_4995 Depth=2
	s_or_b32 exec_lo, exec_lo, s25
	s_delay_alu instid0(SALU_CYCLE_1)
	s_and_b32 s7, s7, exec_lo
                                        ; implicit-def: $vgpr147
	s_or_saveexec_b32 s24, s24
	v_mov_b32_e32 v144, s23
	s_xor_b32 exec_lo, exec_lo, s24
	s_cbranch_execz .LBB6_5365
.LBB6_5692:                             ;   in Loop: Header=BB6_4995 Depth=2
	v_cmp_ne_u16_e64 vcc_lo, 0, v147
	v_mov_b32_e32 v144, 0
	s_and_not1_b32 s7, s7, exec_lo
	s_delay_alu instid0(VALU_DEP_2) | instskip(NEXT) | instid1(SALU_CYCLE_1)
	s_and_b32 s23, vcc_lo, exec_lo
	s_or_b32 s7, s7, s23
	s_or_b32 exec_lo, exec_lo, s24
	s_and_saveexec_b32 s23, s7
	s_cbranch_execnz .LBB6_5366
	s_branch .LBB6_5367
.LBB6_5693:                             ;   in Loop: Header=BB6_4995 Depth=2
	s_mov_b32 s7, -1
	s_mov_b32 s25, exec_lo
                                        ; implicit-def: $sgpr23
	v_cmpx_eq_u16_e64 0x80, v147
; %bb.5694:                             ;   in Loop: Header=BB6_4995 Depth=2
	s_mov_b32 s23, 0x7f800001
	s_xor_b32 s7, exec_lo, -1
; %bb.5695:                             ;   in Loop: Header=BB6_4995 Depth=2
	s_or_b32 exec_lo, exec_lo, s25
	s_delay_alu instid0(SALU_CYCLE_1)
	s_and_b32 s7, s7, exec_lo
                                        ; implicit-def: $vgpr147
	s_or_saveexec_b32 s24, s24
	v_mov_b32_e32 v98, s23
	s_xor_b32 exec_lo, exec_lo, s24
	s_cbranch_execz .LBB6_5369
.LBB6_5696:                             ;   in Loop: Header=BB6_4995 Depth=2
	v_cmp_ne_u16_e64 vcc_lo, 0, v147
	v_mov_b32_e32 v98, 0
	s_and_not1_b32 s7, s7, exec_lo
	s_delay_alu instid0(VALU_DEP_2) | instskip(NEXT) | instid1(SALU_CYCLE_1)
	s_and_b32 s23, vcc_lo, exec_lo
	s_or_b32 s7, s7, s23
	s_or_b32 exec_lo, exec_lo, s24
	s_and_saveexec_b32 s23, s7
	s_cbranch_execnz .LBB6_5370
	s_branch .LBB6_5371
.LBB6_5697:                             ;   in Loop: Header=BB6_4995 Depth=2
	s_mov_b32 s7, -1
	s_mov_b32 s25, exec_lo
                                        ; implicit-def: $sgpr23
	v_cmpx_eq_u16_e64 0x80, v144
; %bb.5698:                             ;   in Loop: Header=BB6_4995 Depth=2
	s_mov_b32 s23, 0x7f800001
	s_xor_b32 s7, exec_lo, -1
; %bb.5699:                             ;   in Loop: Header=BB6_4995 Depth=2
	s_or_b32 exec_lo, exec_lo, s25
	s_delay_alu instid0(SALU_CYCLE_1)
	s_and_b32 s7, s7, exec_lo
                                        ; implicit-def: $vgpr144
	s_or_saveexec_b32 s24, s24
	v_mov_b32_e32 v98, s23
	s_xor_b32 exec_lo, exec_lo, s24
	s_cbranch_execz .LBB6_5381
.LBB6_5700:                             ;   in Loop: Header=BB6_4995 Depth=2
	v_cmp_ne_u16_e64 vcc_lo, 0, v144
	v_mov_b32_e32 v98, 0
	s_and_not1_b32 s7, s7, exec_lo
	s_delay_alu instid0(VALU_DEP_2) | instskip(NEXT) | instid1(SALU_CYCLE_1)
	s_and_b32 s23, vcc_lo, exec_lo
	s_or_b32 s7, s7, s23
	s_or_b32 exec_lo, exec_lo, s24
	s_and_saveexec_b32 s23, s7
	s_cbranch_execnz .LBB6_5382
	s_branch .LBB6_5383
.LBB6_5701:                             ;   in Loop: Header=BB6_4995 Depth=2
	s_mov_b32 s7, -1
	s_mov_b32 s25, exec_lo
                                        ; implicit-def: $sgpr23
	v_cmpx_eq_u16_e64 0x80, v144
; %bb.5702:                             ;   in Loop: Header=BB6_4995 Depth=2
	s_mov_b32 s23, 0x7f800001
	s_xor_b32 s7, exec_lo, -1
; %bb.5703:                             ;   in Loop: Header=BB6_4995 Depth=2
	s_or_b32 exec_lo, exec_lo, s25
	s_delay_alu instid0(SALU_CYCLE_1)
	s_and_b32 s7, s7, exec_lo
                                        ; implicit-def: $vgpr144
	s_or_saveexec_b32 s24, s24
	v_mov_b32_e32 v86, s23
	s_xor_b32 exec_lo, exec_lo, s24
	s_cbranch_execz .LBB6_5385
.LBB6_5704:                             ;   in Loop: Header=BB6_4995 Depth=2
	v_cmp_ne_u16_e64 vcc_lo, 0, v144
	v_mov_b32_e32 v86, 0
	s_and_not1_b32 s7, s7, exec_lo
	s_delay_alu instid0(VALU_DEP_2) | instskip(NEXT) | instid1(SALU_CYCLE_1)
	s_and_b32 s23, vcc_lo, exec_lo
	s_or_b32 s7, s7, s23
	s_or_b32 exec_lo, exec_lo, s24
	s_and_saveexec_b32 s23, s7
	s_cbranch_execnz .LBB6_5386
	s_branch .LBB6_5387
.LBB6_5705:                             ;   in Loop: Header=BB6_4995 Depth=2
	s_mov_b32 s7, -1
	s_mov_b32 s25, exec_lo
                                        ; implicit-def: $sgpr23
	v_cmpx_eq_u16_e32 0x80, v98
; %bb.5706:                             ;   in Loop: Header=BB6_4995 Depth=2
	s_mov_b32 s23, 0x7f800001
	s_xor_b32 s7, exec_lo, -1
; %bb.5707:                             ;   in Loop: Header=BB6_4995 Depth=2
	s_or_b32 exec_lo, exec_lo, s25
	s_delay_alu instid0(SALU_CYCLE_1)
	s_and_b32 s7, s7, exec_lo
                                        ; implicit-def: $vgpr98
	s_or_saveexec_b32 s24, s24
	v_mov_b32_e32 v86, s23
	s_xor_b32 exec_lo, exec_lo, s24
	s_cbranch_execz .LBB6_5397
.LBB6_5708:                             ;   in Loop: Header=BB6_4995 Depth=2
	v_cmp_ne_u16_e32 vcc_lo, 0, v98
	v_mov_b32_e32 v86, 0
	s_and_not1_b32 s7, s7, exec_lo
	s_and_b32 s23, vcc_lo, exec_lo
	s_delay_alu instid0(SALU_CYCLE_1)
	s_or_b32 s7, s7, s23
	s_or_b32 exec_lo, exec_lo, s24
	s_and_saveexec_b32 s23, s7
	s_cbranch_execnz .LBB6_5398
	s_branch .LBB6_5399
.LBB6_5709:                             ;   in Loop: Header=BB6_4995 Depth=2
	s_mov_b32 s7, -1
	s_mov_b32 s25, exec_lo
                                        ; implicit-def: $sgpr23
	v_cmpx_eq_u16_e32 0x80, v98
; %bb.5710:                             ;   in Loop: Header=BB6_4995 Depth=2
	s_mov_b32 s23, 0x7f800001
	s_xor_b32 s7, exec_lo, -1
; %bb.5711:                             ;   in Loop: Header=BB6_4995 Depth=2
	s_or_b32 exec_lo, exec_lo, s25
	s_delay_alu instid0(SALU_CYCLE_1)
	s_and_b32 s7, s7, exec_lo
                                        ; implicit-def: $vgpr98
	s_or_saveexec_b32 s24, s24
	v_mov_b32_e32 v50, s23
	s_xor_b32 exec_lo, exec_lo, s24
	s_cbranch_execz .LBB6_5401
.LBB6_5712:                             ;   in Loop: Header=BB6_4995 Depth=2
	v_cmp_ne_u16_e32 vcc_lo, 0, v98
	v_mov_b32_e32 v50, 0
	s_and_not1_b32 s7, s7, exec_lo
	s_and_b32 s23, vcc_lo, exec_lo
	s_delay_alu instid0(SALU_CYCLE_1)
	s_or_b32 s7, s7, s23
	s_or_b32 exec_lo, exec_lo, s24
	s_and_saveexec_b32 s23, s7
	s_cbranch_execnz .LBB6_5402
	s_branch .LBB6_5403
.LBB6_5713:                             ;   in Loop: Header=BB6_4995 Depth=2
	s_mov_b32 s7, -1
	s_mov_b32 s25, exec_lo
                                        ; implicit-def: $sgpr23
	v_cmpx_eq_u16_e32 0x80, v86
; %bb.5714:                             ;   in Loop: Header=BB6_4995 Depth=2
	s_mov_b32 s23, 0x7f800001
	s_xor_b32 s7, exec_lo, -1
; %bb.5715:                             ;   in Loop: Header=BB6_4995 Depth=2
	s_or_b32 exec_lo, exec_lo, s25
	s_delay_alu instid0(SALU_CYCLE_1)
	s_and_b32 s7, s7, exec_lo
                                        ; implicit-def: $vgpr86
	s_or_saveexec_b32 s24, s24
	v_mov_b32_e32 v50, s23
	s_xor_b32 exec_lo, exec_lo, s24
	s_cbranch_execz .LBB6_5413
.LBB6_5716:                             ;   in Loop: Header=BB6_4995 Depth=2
	v_cmp_ne_u16_e32 vcc_lo, 0, v86
	v_mov_b32_e32 v50, 0
	s_and_not1_b32 s7, s7, exec_lo
	s_and_b32 s23, vcc_lo, exec_lo
	s_delay_alu instid0(SALU_CYCLE_1)
	s_or_b32 s7, s7, s23
	s_or_b32 exec_lo, exec_lo, s24
	s_and_saveexec_b32 s23, s7
	s_cbranch_execnz .LBB6_5414
	s_branch .LBB6_5415
.LBB6_5717:                             ;   in Loop: Header=BB6_4995 Depth=2
	s_mov_b32 s7, -1
	s_mov_b32 s25, exec_lo
                                        ; implicit-def: $sgpr23
	v_cmpx_eq_u16_e32 0x80, v86
; %bb.5718:                             ;   in Loop: Header=BB6_4995 Depth=2
	s_mov_b32 s23, 0x7f800001
	s_xor_b32 s7, exec_lo, -1
; %bb.5719:                             ;   in Loop: Header=BB6_4995 Depth=2
	s_or_b32 exec_lo, exec_lo, s25
	s_delay_alu instid0(SALU_CYCLE_1)
	s_and_b32 s7, s7, exec_lo
                                        ; implicit-def: $vgpr86
	s_or_saveexec_b32 s24, s24
	v_mov_b32_e32 v39, s23
	s_xor_b32 exec_lo, exec_lo, s24
	s_cbranch_execz .LBB6_5417
.LBB6_5720:                             ;   in Loop: Header=BB6_4995 Depth=2
	v_cmp_ne_u16_e32 vcc_lo, 0, v86
	v_mov_b32_e32 v39, 0
	s_and_not1_b32 s7, s7, exec_lo
	s_and_b32 s23, vcc_lo, exec_lo
	s_delay_alu instid0(SALU_CYCLE_1)
	s_or_b32 s7, s7, s23
	s_or_b32 exec_lo, exec_lo, s24
	s_and_saveexec_b32 s23, s7
	s_cbranch_execnz .LBB6_5418
	s_branch .LBB6_5419
.LBB6_5721:                             ;   in Loop: Header=BB6_4995 Depth=2
	s_mov_b32 s7, -1
	s_mov_b32 s25, exec_lo
                                        ; implicit-def: $sgpr23
	v_cmpx_eq_u16_e32 0x80, v50
; %bb.5722:                             ;   in Loop: Header=BB6_4995 Depth=2
	s_mov_b32 s23, 0x7f800001
	s_xor_b32 s7, exec_lo, -1
; %bb.5723:                             ;   in Loop: Header=BB6_4995 Depth=2
	s_or_b32 exec_lo, exec_lo, s25
	s_delay_alu instid0(SALU_CYCLE_1)
	s_and_b32 s7, s7, exec_lo
                                        ; implicit-def: $vgpr50
	s_or_saveexec_b32 s24, s24
	v_mov_b32_e32 v39, s23
	s_xor_b32 exec_lo, exec_lo, s24
	s_cbranch_execz .LBB6_5429
.LBB6_5724:                             ;   in Loop: Header=BB6_4995 Depth=2
	v_cmp_ne_u16_e32 vcc_lo, 0, v50
	v_mov_b32_e32 v39, 0
	s_and_not1_b32 s7, s7, exec_lo
	s_and_b32 s23, vcc_lo, exec_lo
	s_delay_alu instid0(SALU_CYCLE_1)
	s_or_b32 s7, s7, s23
	s_or_b32 exec_lo, exec_lo, s24
	s_and_saveexec_b32 s23, s7
	s_cbranch_execnz .LBB6_5430
	s_branch .LBB6_5431
.LBB6_5725:                             ;   in Loop: Header=BB6_4995 Depth=2
	s_mov_b32 s7, -1
	s_mov_b32 s25, exec_lo
                                        ; implicit-def: $sgpr23
	v_cmpx_eq_u16_e32 0x80, v50
; %bb.5726:                             ;   in Loop: Header=BB6_4995 Depth=2
	s_mov_b32 s23, 0x7f800001
	s_xor_b32 s7, exec_lo, -1
; %bb.5727:                             ;   in Loop: Header=BB6_4995 Depth=2
	s_or_b32 exec_lo, exec_lo, s25
	s_delay_alu instid0(SALU_CYCLE_1)
	s_and_b32 s7, s7, exec_lo
                                        ; implicit-def: $vgpr50
	s_or_saveexec_b32 s24, s24
	v_mov_b32_e32 v36, s23
	s_xor_b32 exec_lo, exec_lo, s24
	s_cbranch_execz .LBB6_5433
.LBB6_5728:                             ;   in Loop: Header=BB6_4995 Depth=2
	v_cmp_ne_u16_e32 vcc_lo, 0, v50
	v_mov_b32_e32 v36, 0
	s_and_not1_b32 s7, s7, exec_lo
	s_and_b32 s23, vcc_lo, exec_lo
	s_delay_alu instid0(SALU_CYCLE_1)
	s_or_b32 s7, s7, s23
	s_or_b32 exec_lo, exec_lo, s24
	s_and_saveexec_b32 s23, s7
	s_cbranch_execnz .LBB6_5434
	s_branch .LBB6_5435
.LBB6_5729:                             ;   in Loop: Header=BB6_4995 Depth=2
	s_mov_b32 s7, -1
	s_mov_b32 s25, exec_lo
                                        ; implicit-def: $sgpr23
	v_cmpx_eq_u16_e32 0x80, v39
; %bb.5730:                             ;   in Loop: Header=BB6_4995 Depth=2
	s_mov_b32 s23, 0x7f800001
	s_xor_b32 s7, exec_lo, -1
; %bb.5731:                             ;   in Loop: Header=BB6_4995 Depth=2
	s_or_b32 exec_lo, exec_lo, s25
	s_delay_alu instid0(SALU_CYCLE_1)
	s_and_b32 s7, s7, exec_lo
                                        ; implicit-def: $vgpr39
	s_or_saveexec_b32 s24, s24
	v_mov_b32_e32 v36, s23
	s_xor_b32 exec_lo, exec_lo, s24
	s_cbranch_execz .LBB6_5445
.LBB6_5732:                             ;   in Loop: Header=BB6_4995 Depth=2
	v_cmp_ne_u16_e32 vcc_lo, 0, v39
	v_mov_b32_e32 v36, 0
	s_and_not1_b32 s7, s7, exec_lo
	s_and_b32 s23, vcc_lo, exec_lo
	s_delay_alu instid0(SALU_CYCLE_1)
	s_or_b32 s7, s7, s23
	s_or_b32 exec_lo, exec_lo, s24
	s_and_saveexec_b32 s23, s7
	s_cbranch_execnz .LBB6_5446
	s_branch .LBB6_5447
.LBB6_5733:                             ;   in Loop: Header=BB6_4995 Depth=2
	s_mov_b32 s7, -1
	s_mov_b32 s25, exec_lo
                                        ; implicit-def: $sgpr23
	v_cmpx_eq_u16_e32 0x80, v39
; %bb.5734:                             ;   in Loop: Header=BB6_4995 Depth=2
	s_mov_b32 s23, 0x7f800001
	s_xor_b32 s7, exec_lo, -1
; %bb.5735:                             ;   in Loop: Header=BB6_4995 Depth=2
	s_or_b32 exec_lo, exec_lo, s25
	s_delay_alu instid0(SALU_CYCLE_1)
	s_and_b32 s7, s7, exec_lo
                                        ; implicit-def: $vgpr39
	s_or_saveexec_b32 s24, s24
	v_mov_b32_e32 v33, s23
	s_xor_b32 exec_lo, exec_lo, s24
	s_cbranch_execz .LBB6_5449
.LBB6_5736:                             ;   in Loop: Header=BB6_4995 Depth=2
	v_cmp_ne_u16_e32 vcc_lo, 0, v39
	v_mov_b32_e32 v33, 0
	s_and_not1_b32 s7, s7, exec_lo
	s_and_b32 s23, vcc_lo, exec_lo
	s_delay_alu instid0(SALU_CYCLE_1)
	s_or_b32 s7, s7, s23
	s_or_b32 exec_lo, exec_lo, s24
	s_and_saveexec_b32 s23, s7
	s_cbranch_execnz .LBB6_5450
	s_branch .LBB6_5451
.LBB6_5737:                             ;   in Loop: Header=BB6_4995 Depth=2
	s_mov_b32 s7, -1
	s_mov_b32 s25, exec_lo
                                        ; implicit-def: $sgpr23
	v_cmpx_eq_u16_e32 0x80, v36
; %bb.5738:                             ;   in Loop: Header=BB6_4995 Depth=2
	s_mov_b32 s23, 0x7f800001
	s_xor_b32 s7, exec_lo, -1
; %bb.5739:                             ;   in Loop: Header=BB6_4995 Depth=2
	s_or_b32 exec_lo, exec_lo, s25
	s_delay_alu instid0(SALU_CYCLE_1)
	s_and_b32 s7, s7, exec_lo
                                        ; implicit-def: $vgpr36
	s_or_saveexec_b32 s24, s24
	v_mov_b32_e32 v33, s23
	s_xor_b32 exec_lo, exec_lo, s24
	s_cbranch_execz .LBB6_5461
.LBB6_5740:                             ;   in Loop: Header=BB6_4995 Depth=2
	v_cmp_ne_u16_e32 vcc_lo, 0, v36
	v_mov_b32_e32 v33, 0
	s_and_not1_b32 s7, s7, exec_lo
	s_and_b32 s23, vcc_lo, exec_lo
	s_delay_alu instid0(SALU_CYCLE_1)
	s_or_b32 s7, s7, s23
	s_or_b32 exec_lo, exec_lo, s24
	s_and_saveexec_b32 s23, s7
	s_cbranch_execnz .LBB6_5462
	s_branch .LBB6_5463
.LBB6_5741:                             ;   in Loop: Header=BB6_4995 Depth=2
	s_mov_b32 s7, -1
	s_mov_b32 s25, exec_lo
                                        ; implicit-def: $sgpr23
	v_cmpx_eq_u16_e32 0x80, v36
; %bb.5742:                             ;   in Loop: Header=BB6_4995 Depth=2
	s_mov_b32 s23, 0x7f800001
	s_xor_b32 s7, exec_lo, -1
; %bb.5743:                             ;   in Loop: Header=BB6_4995 Depth=2
	s_or_b32 exec_lo, exec_lo, s25
	s_delay_alu instid0(SALU_CYCLE_1)
	s_and_b32 s7, s7, exec_lo
                                        ; implicit-def: $vgpr36
	s_or_saveexec_b32 s24, s24
	v_mov_b32_e32 v28, s23
	s_xor_b32 exec_lo, exec_lo, s24
	s_cbranch_execz .LBB6_5465
.LBB6_5744:                             ;   in Loop: Header=BB6_4995 Depth=2
	v_cmp_ne_u16_e32 vcc_lo, 0, v36
	v_mov_b32_e32 v28, 0
	s_and_not1_b32 s7, s7, exec_lo
	s_and_b32 s23, vcc_lo, exec_lo
	s_delay_alu instid0(SALU_CYCLE_1)
	s_or_b32 s7, s7, s23
	s_or_b32 exec_lo, exec_lo, s24
	s_and_saveexec_b32 s23, s7
	s_cbranch_execnz .LBB6_5466
	s_branch .LBB6_5467
.LBB6_5745:                             ;   in Loop: Header=BB6_4995 Depth=2
	s_mov_b32 s7, -1
	s_mov_b32 s25, exec_lo
                                        ; implicit-def: $sgpr23
	v_cmpx_eq_u16_e32 0x80, v33
; %bb.5746:                             ;   in Loop: Header=BB6_4995 Depth=2
	s_mov_b32 s23, 0x7f800001
	s_xor_b32 s7, exec_lo, -1
; %bb.5747:                             ;   in Loop: Header=BB6_4995 Depth=2
	s_or_b32 exec_lo, exec_lo, s25
	s_delay_alu instid0(SALU_CYCLE_1)
	s_and_b32 s7, s7, exec_lo
                                        ; implicit-def: $vgpr33
	s_or_saveexec_b32 s24, s24
	v_mov_b32_e32 v28, s23
	s_xor_b32 exec_lo, exec_lo, s24
	s_cbranch_execz .LBB6_5477
.LBB6_5748:                             ;   in Loop: Header=BB6_4995 Depth=2
	v_cmp_ne_u16_e32 vcc_lo, 0, v33
	v_mov_b32_e32 v28, 0
	s_and_not1_b32 s7, s7, exec_lo
	s_and_b32 s23, vcc_lo, exec_lo
	s_delay_alu instid0(SALU_CYCLE_1)
	s_or_b32 s7, s7, s23
	s_or_b32 exec_lo, exec_lo, s24
	s_and_saveexec_b32 s23, s7
	s_cbranch_execnz .LBB6_5478
	s_branch .LBB6_5479
.LBB6_5749:                             ;   in Loop: Header=BB6_4995 Depth=2
	s_mov_b32 s7, -1
	s_mov_b32 s25, exec_lo
                                        ; implicit-def: $sgpr23
	v_cmpx_eq_u16_e32 0x80, v33
; %bb.5750:                             ;   in Loop: Header=BB6_4995 Depth=2
	s_mov_b32 s23, 0x7f800001
	s_xor_b32 s7, exec_lo, -1
; %bb.5751:                             ;   in Loop: Header=BB6_4995 Depth=2
	s_or_b32 exec_lo, exec_lo, s25
	s_delay_alu instid0(SALU_CYCLE_1)
	s_and_b32 s7, s7, exec_lo
                                        ; implicit-def: $vgpr33
	s_or_saveexec_b32 s24, s24
	v_mov_b32_e32 v25, s23
	s_xor_b32 exec_lo, exec_lo, s24
	s_cbranch_execz .LBB6_5481
.LBB6_5752:                             ;   in Loop: Header=BB6_4995 Depth=2
	v_cmp_ne_u16_e32 vcc_lo, 0, v33
	v_mov_b32_e32 v25, 0
	s_and_not1_b32 s7, s7, exec_lo
	s_and_b32 s23, vcc_lo, exec_lo
	s_delay_alu instid0(SALU_CYCLE_1)
	s_or_b32 s7, s7, s23
	s_or_b32 exec_lo, exec_lo, s24
	s_and_saveexec_b32 s23, s7
	s_cbranch_execnz .LBB6_5482
	s_branch .LBB6_5483
.LBB6_5753:                             ;   in Loop: Header=BB6_4995 Depth=2
	s_mov_b32 s7, -1
	s_mov_b32 s25, exec_lo
                                        ; implicit-def: $sgpr23
	v_cmpx_eq_u16_e32 0x80, v28
; %bb.5754:                             ;   in Loop: Header=BB6_4995 Depth=2
	s_mov_b32 s23, 0x7f800001
	s_xor_b32 s7, exec_lo, -1
; %bb.5755:                             ;   in Loop: Header=BB6_4995 Depth=2
	s_or_b32 exec_lo, exec_lo, s25
	s_delay_alu instid0(SALU_CYCLE_1)
	s_and_b32 s7, s7, exec_lo
                                        ; implicit-def: $vgpr28
	s_or_saveexec_b32 s24, s24
	v_mov_b32_e32 v25, s23
	s_xor_b32 exec_lo, exec_lo, s24
	s_cbranch_execz .LBB6_5493
.LBB6_5756:                             ;   in Loop: Header=BB6_4995 Depth=2
	v_cmp_ne_u16_e32 vcc_lo, 0, v28
	v_mov_b32_e32 v25, 0
	s_and_not1_b32 s7, s7, exec_lo
	s_and_b32 s23, vcc_lo, exec_lo
	s_delay_alu instid0(SALU_CYCLE_1)
	s_or_b32 s7, s7, s23
	s_or_b32 exec_lo, exec_lo, s24
	s_and_saveexec_b32 s23, s7
	s_cbranch_execnz .LBB6_5494
	s_branch .LBB6_5495
.LBB6_5757:                             ;   in Loop: Header=BB6_4995 Depth=2
	s_mov_b32 s7, -1
	s_mov_b32 s25, exec_lo
                                        ; implicit-def: $sgpr23
	v_cmpx_eq_u16_e32 0x80, v28
; %bb.5758:                             ;   in Loop: Header=BB6_4995 Depth=2
	s_mov_b32 s23, 0x7f800001
	s_xor_b32 s7, exec_lo, -1
; %bb.5759:                             ;   in Loop: Header=BB6_4995 Depth=2
	s_or_b32 exec_lo, exec_lo, s25
	s_delay_alu instid0(SALU_CYCLE_1)
	s_and_b32 s7, s7, exec_lo
                                        ; implicit-def: $vgpr28
	s_or_saveexec_b32 s24, s24
	v_mov_b32_e32 v22, s23
	s_xor_b32 exec_lo, exec_lo, s24
	s_cbranch_execz .LBB6_5497
.LBB6_5760:                             ;   in Loop: Header=BB6_4995 Depth=2
	v_cmp_ne_u16_e32 vcc_lo, 0, v28
	v_mov_b32_e32 v22, 0
	s_and_not1_b32 s7, s7, exec_lo
	s_and_b32 s23, vcc_lo, exec_lo
	s_delay_alu instid0(SALU_CYCLE_1)
	s_or_b32 s7, s7, s23
	s_or_b32 exec_lo, exec_lo, s24
	s_and_saveexec_b32 s23, s7
	s_cbranch_execnz .LBB6_5498
	s_branch .LBB6_5499
.LBB6_5761:                             ;   in Loop: Header=BB6_2973 Depth=1
	s_or_b32 exec_lo, exec_lo, s22
.LBB6_5762:                             ;   in Loop: Header=BB6_2973 Depth=1
	s_delay_alu instid0(SALU_CYCLE_1) | instskip(SKIP_1) | instid1(VALU_DEP_1)
	s_or_b32 exec_lo, exec_lo, s21
	v_lshlrev_b32_e32 v10, 10, v20
	v_cmp_ne_u32_e32 vcc_lo, v17, v10
	s_and_b32 exec_lo, exec_lo, vcc_lo
	s_cbranch_execz .LBB6_5791
; %bb.5763:                             ;   in Loop: Header=BB6_2973 Depth=1
	v_ashrrev_i32_e32 v11, 31, v18
	v_lshlrev_b32_e32 v12, 5, v19
	s_delay_alu instid0(VALU_DEP_2) | instskip(NEXT) | instid1(VALU_DEP_1)
	v_lshrrev_b32_e32 v11, 27, v11
	v_add_nc_u32_e32 v11, v18, v11
	s_delay_alu instid0(VALU_DEP_1) | instskip(NEXT) | instid1(VALU_DEP_1)
	v_and_b32_e32 v11, 0xffffffe0, v11
	v_sub_nc_u32_e32 v11, v18, v11
	s_delay_alu instid0(VALU_DEP_1) | instskip(NEXT) | instid1(VALU_DEP_1)
	v_sub_nc_u32_e32 v11, v11, v12
	v_add_nc_u32_e32 v10, v10, v11
	s_delay_alu instid0(VALU_DEP_1) | instskip(NEXT) | instid1(VALU_DEP_1)
	v_sub_nc_u32_e32 v17, v17, v10
	v_cmp_lt_i32_e32 vcc_lo, 0, v17
	s_and_b32 exec_lo, exec_lo, vcc_lo
	s_cbranch_execz .LBB6_5791
; %bb.5764:                             ;   in Loop: Header=BB6_2973 Depth=1
	s_cbranch_execnz .LBB6_6321
; %bb.5765:                             ;   in Loop: Header=BB6_2973 Depth=1
	ds_load_b128 v[11:14], v0
	ds_load_b64 v[18:19], v0
	v_add_nc_u32_e32 v15, v10, v16
	s_mov_b32 s21, 0
	s_delay_alu instid0(VALU_DEP_1) | instskip(SKIP_2) | instid1(VALU_DEP_2)
	v_ashrrev_i32_e32 v16, 31, v15
	s_waitcnt lgkmcnt(1)
	v_add_co_u32 v10, vcc_lo, v11, v15
	v_add_co_ci_u32_e32 v11, vcc_lo, v12, v16, vcc_lo
	v_add_co_u32 v12, vcc_lo, v13, v15
	v_add_co_ci_u32_e32 v13, vcc_lo, v14, v16, vcc_lo
	s_waitcnt lgkmcnt(0)
	v_add_co_u32 v14, vcc_lo, v18, v15
	v_add_co_ci_u32_e32 v15, vcc_lo, v19, v16, vcc_lo
	s_branch .LBB6_5769
.LBB6_5766:                             ;   in Loop: Header=BB6_5769 Depth=2
	s_or_b32 exec_lo, exec_lo, s7
	s_delay_alu instid0(VALU_DEP_1) | instskip(NEXT) | instid1(VALU_DEP_2)
	v_lshrrev_b32_e32 v19, 21, v19
	v_cmp_gt_i32_e32 vcc_lo, 32, v18
	v_lshrrev_b32_e32 v16, 24, v16
	v_min_i32_e32 v20, 31, v18
	s_delay_alu instid0(VALU_DEP_2) | instskip(NEXT) | instid1(VALU_DEP_2)
	v_dual_cndmask_b32 v19, 3, v19 :: v_dual_and_b32 v16, 0x80, v16
	v_lshlrev_b32_e32 v20, 2, v20
	s_delay_alu instid0(VALU_DEP_2) | instskip(NEXT) | instid1(VALU_DEP_1)
	v_or_b32_e32 v18, v18, v19
	v_cmp_ne_u32_e32 vcc_lo, 0, v18
	v_and_b32_e32 v21, 3, v19
	s_delay_alu instid0(VALU_DEP_1) | instskip(NEXT) | instid1(VALU_DEP_1)
	v_or3_b32 v16, v20, v16, v21
	v_cndmask_b32_e32 v18, 0, v16, vcc_lo
.LBB6_5767:                             ;   in Loop: Header=BB6_5769 Depth=2
	s_or_b32 exec_lo, exec_lo, s23
.LBB6_5768:                             ;   in Loop: Header=BB6_5769 Depth=2
	s_delay_alu instid0(SALU_CYCLE_1)
	s_or_b32 exec_lo, exec_lo, s22
	v_add_co_u32 v10, vcc_lo, v10, v128
	v_sub_nc_u32_e32 v17, v17, v128
	v_add_co_ci_u32_e32 v11, vcc_lo, v11, v131, vcc_lo
	v_add_co_u32 v12, vcc_lo, v12, v128
	v_add_co_ci_u32_e32 v13, vcc_lo, v13, v131, vcc_lo
	flat_store_b8 v[14:15], v18 glc slc dlc
	v_cmp_gt_i32_e32 vcc_lo, 1, v17
	v_add_co_u32 v14, s7, v14, v128
	s_delay_alu instid0(VALU_DEP_1) | instskip(SKIP_1) | instid1(SALU_CYCLE_1)
	v_add_co_ci_u32_e64 v15, s7, v15, v131, s7
	s_or_b32 s21, vcc_lo, s21
	s_and_not1_b32 exec_lo, exec_lo, s21
	s_cbranch_execz .LBB6_5791
.LBB6_5769:                             ;   Parent Loop BB6_2973 Depth=1
                                        ; =>  This Inner Loop Header: Depth=2
	flat_load_u8 v19, v[10:11] slc dlc
	flat_load_u8 v16, v[12:13] slc dlc
	s_mov_b32 s7, 0
	s_mov_b32 s23, exec_lo
                                        ; implicit-def: $sgpr22
	s_waitcnt vmcnt(1) lgkmcnt(1)
	v_cmpx_lt_i16_e32 0x7f, v19
	s_xor_b32 s23, exec_lo, s23
	s_cbranch_execnz .LBB6_5783
; %bb.5770:                             ;   in Loop: Header=BB6_5769 Depth=2
	s_or_saveexec_b32 s23, s23
	v_mov_b32_e32 v18, s22
	s_xor_b32 exec_lo, exec_lo, s23
	s_cbranch_execnz .LBB6_5786
.LBB6_5771:                             ;   in Loop: Header=BB6_5769 Depth=2
	s_or_b32 exec_lo, exec_lo, s23
	s_and_saveexec_b32 s22, s7
	s_cbranch_execz .LBB6_5773
.LBB6_5772:                             ;   in Loop: Header=BB6_5769 Depth=2
	v_and_b32_e32 v18, 0xffff, v19
	s_delay_alu instid0(VALU_DEP_1) | instskip(NEXT) | instid1(VALU_DEP_1)
	v_and_b32_e32 v20, 3, v18
	v_clz_i32_u32_e32 v21, v20
	s_delay_alu instid0(VALU_DEP_1) | instskip(NEXT) | instid1(VALU_DEP_1)
	v_min_u32_e32 v21, 32, v21
	v_subrev_nc_u32_e32 v22, 29, v21
	v_sub_nc_u32_e32 v21, 30, v21
	s_delay_alu instid0(VALU_DEP_2) | instskip(SKIP_1) | instid1(VALU_DEP_2)
	v_lshlrev_b32_e32 v22, v22, v18
	v_bfe_u32 v18, v18, 2, 5
	v_and_b32_e32 v22, 3, v22
	s_delay_alu instid0(VALU_DEP_2) | instskip(SKIP_1) | instid1(VALU_DEP_1)
	v_cmp_eq_u32_e32 vcc_lo, 0, v18
	v_dual_cndmask_b32 v18, v18, v21 :: v_dual_lshlrev_b32 v19, 24, v19
	v_dual_cndmask_b32 v20, v20, v22 :: v_dual_and_b32 v19, 0x80000000, v19
	s_delay_alu instid0(VALU_DEP_2) | instskip(NEXT) | instid1(VALU_DEP_2)
	v_lshl_add_u32 v18, v18, 23, 0x37800000
	v_lshlrev_b32_e32 v20, 21, v20
	s_delay_alu instid0(VALU_DEP_1)
	v_or3_b32 v18, v19, v18, v20
.LBB6_5773:                             ;   in Loop: Header=BB6_5769 Depth=2
	s_or_b32 exec_lo, exec_lo, s22
	s_waitcnt vmcnt(0) lgkmcnt(0)
	v_and_b32_e32 v20, 0xff, v16
	s_mov_b32 s7, 0
	s_mov_b32 s23, exec_lo
                                        ; implicit-def: $sgpr22
	s_delay_alu instid0(VALU_DEP_1)
	v_cmpx_lt_i16_e32 0x7f, v20
	s_xor_b32 s23, exec_lo, s23
	s_cbranch_execnz .LBB6_5787
; %bb.5774:                             ;   in Loop: Header=BB6_5769 Depth=2
	s_or_saveexec_b32 s23, s23
	v_mov_b32_e32 v19, s22
	s_xor_b32 exec_lo, exec_lo, s23
	s_cbranch_execnz .LBB6_5790
.LBB6_5775:                             ;   in Loop: Header=BB6_5769 Depth=2
	s_or_b32 exec_lo, exec_lo, s23
	s_and_saveexec_b32 s22, s7
	s_cbranch_execz .LBB6_5777
.LBB6_5776:                             ;   in Loop: Header=BB6_5769 Depth=2
	v_and_b32_e32 v19, 3, v16
	v_lshrrev_b16 v22, 2, v16
	s_delay_alu instid0(VALU_DEP_2) | instskip(NEXT) | instid1(VALU_DEP_1)
	v_clz_i32_u32_e32 v20, v19
	v_min_u32_e32 v20, 32, v20
	s_delay_alu instid0(VALU_DEP_1) | instskip(SKIP_1) | instid1(VALU_DEP_2)
	v_subrev_nc_u32_e32 v21, 29, v20
	v_sub_nc_u32_e32 v20, 30, v20
	v_lshlrev_b32_e32 v21, v21, v16
	v_lshlrev_b32_e32 v16, 24, v16
	s_delay_alu instid0(VALU_DEP_2) | instskip(SKIP_1) | instid1(VALU_DEP_3)
	v_and_b32_e32 v21, 3, v21
	v_and_b32_e32 v22, 31, v22
	v_and_b32_e32 v16, 0x80000000, v16
	s_delay_alu instid0(VALU_DEP_2) | instskip(NEXT) | instid1(VALU_DEP_4)
	v_cmp_eq_u32_e32 vcc_lo, 0, v22
	v_dual_cndmask_b32 v19, v19, v21 :: v_dual_cndmask_b32 v20, v22, v20
	s_delay_alu instid0(VALU_DEP_1) | instskip(NEXT) | instid1(VALU_DEP_2)
	v_lshlrev_b32_e32 v19, 21, v19
	v_lshl_add_u32 v20, v20, 23, 0x37800000
	s_delay_alu instid0(VALU_DEP_1)
	v_or3_b32 v19, v16, v20, v19
.LBB6_5777:                             ;   in Loop: Header=BB6_5769 Depth=2
	s_or_b32 exec_lo, exec_lo, s22
	s_delay_alu instid0(VALU_DEP_1) | instskip(NEXT) | instid1(VALU_DEP_1)
	v_mul_f32_e32 v16, v18, v19
	v_and_b32_e32 v18, 0x7f800000, v16
	s_delay_alu instid0(VALU_DEP_1)
	v_cmp_ne_u32_e32 vcc_lo, 0x7f800000, v18
	v_mov_b32_e32 v18, 0x80
	s_and_saveexec_b32 s22, vcc_lo
	s_cbranch_execz .LBB6_5768
; %bb.5778:                             ;   in Loop: Header=BB6_5769 Depth=2
	v_mov_b32_e32 v18, 0
	s_mov_b32 s23, exec_lo
	v_cmpx_ne_u32_e32 0, v16
	s_cbranch_execz .LBB6_5767
; %bb.5779:                             ;   in Loop: Header=BB6_5769 Depth=2
	v_bfe_u32 v18, v16, 23, 8
	v_and_b32_e32 v19, 0x7fffff, v16
	s_delay_alu instid0(VALU_DEP_2) | instskip(SKIP_1) | instid1(VALU_DEP_3)
	v_sub_nc_u32_e32 v20, 0x70, v18
	v_cmp_gt_u32_e32 vcc_lo, 0x71, v18
	v_or_b32_e32 v21, 0x800000, v19
	s_delay_alu instid0(VALU_DEP_3) | instskip(SKIP_1) | instid1(VALU_DEP_3)
	v_cndmask_b32_e32 v20, 0, v20, vcc_lo
	v_cmp_eq_u32_e32 vcc_lo, 0, v18
	v_dual_cndmask_b32 v19, v21, v19 :: v_dual_add_nc_u32 v18, 0xffffff91, v18
	s_delay_alu instid0(VALU_DEP_3) | instskip(NEXT) | instid1(VALU_DEP_2)
	v_cndmask_b32_e64 v20, v20, 0x6f, vcc_lo
	v_cndmask_b32_e64 v18, v18, 0xffffff92, vcc_lo
	s_delay_alu instid0(VALU_DEP_2) | instskip(SKIP_2) | instid1(VALU_DEP_4)
	v_lshrrev_b32_e32 v22, v20, v19
	v_lshl_add_u32 v21, 0x200000, v20, -1
	v_lshlrev_b32_e64 v24, v20, 0x100000
	v_add_nc_u32_e32 v20, v20, v18
	s_delay_alu instid0(VALU_DEP_4) | instskip(NEXT) | instid1(VALU_DEP_4)
	v_bfe_u32 v23, v22, 21, 1
	v_and_b32_e32 v19, v21, v19
	s_delay_alu instid0(VALU_DEP_2) | instskip(NEXT) | instid1(VALU_DEP_2)
	v_add_nc_u32_e32 v21, -1, v23
	v_cmp_eq_u32_e64 s7, v19, v24
	s_delay_alu instid0(VALU_DEP_1) | instskip(SKIP_2) | instid1(VALU_DEP_2)
	v_cndmask_b32_e64 v19, 0, v21, s7
	v_lshrrev_b32_e32 v21, 23, v22
	s_mov_b32 s7, exec_lo
	v_add_nc_u32_e32 v19, v19, v22
	s_delay_alu instid0(VALU_DEP_2) | instskip(NEXT) | instid1(VALU_DEP_2)
	v_xor_b32_e32 v21, 1, v21
	v_and_b32_e32 v18, 0x1fffff, v19
	s_delay_alu instid0(VALU_DEP_1) | instskip(NEXT) | instid1(VALU_DEP_3)
	v_add_nc_u32_e32 v19, v18, v22
                                        ; implicit-def: $vgpr18
	v_cmpx_ne_u32_e64 v20, v21
	s_xor_b32 s7, exec_lo, s7
; %bb.5780:                             ;   in Loop: Header=BB6_5769 Depth=2
	s_delay_alu instid0(VALU_DEP_2) | instskip(SKIP_2) | instid1(VALU_DEP_2)
	v_cmp_lt_u32_e32 vcc_lo, 0xffffff, v19
	v_sub_nc_u32_e32 v18, v20, v21
	v_cndmask_b32_e64 v20, 0, 1, vcc_lo
	v_add_co_ci_u32_e32 v18, vcc_lo, 0, v18, vcc_lo
	s_delay_alu instid0(VALU_DEP_2)
	v_lshrrev_b32_e32 v19, v20, v19
; %bb.5781:                             ;   in Loop: Header=BB6_5769 Depth=2
	s_and_not1_saveexec_b32 s7, s7
	s_cbranch_execz .LBB6_5766
; %bb.5782:                             ;   in Loop: Header=BB6_5769 Depth=2
	s_delay_alu instid0(VALU_DEP_1)
	v_bfe_u32 v18, v19, 23, 1
	s_branch .LBB6_5766
.LBB6_5783:                             ;   in Loop: Header=BB6_5769 Depth=2
	s_mov_b32 s7, -1
	s_mov_b32 s24, exec_lo
                                        ; implicit-def: $sgpr22
	v_cmpx_eq_u16_e32 0x80, v19
; %bb.5784:                             ;   in Loop: Header=BB6_5769 Depth=2
	s_mov_b32 s22, 0x7f800001
	s_xor_b32 s7, exec_lo, -1
; %bb.5785:                             ;   in Loop: Header=BB6_5769 Depth=2
	s_or_b32 exec_lo, exec_lo, s24
	s_delay_alu instid0(SALU_CYCLE_1)
	s_and_b32 s7, s7, exec_lo
	s_or_saveexec_b32 s23, s23
	v_mov_b32_e32 v18, s22
	s_xor_b32 exec_lo, exec_lo, s23
	s_cbranch_execz .LBB6_5771
.LBB6_5786:                             ;   in Loop: Header=BB6_5769 Depth=2
	v_cmp_ne_u16_e32 vcc_lo, 0, v19
	v_mov_b32_e32 v18, 0
	s_and_not1_b32 s7, s7, exec_lo
	s_and_b32 s22, vcc_lo, exec_lo
	s_delay_alu instid0(SALU_CYCLE_1)
	s_or_b32 s7, s7, s22
	s_or_b32 exec_lo, exec_lo, s23
	s_and_saveexec_b32 s22, s7
	s_cbranch_execnz .LBB6_5772
	s_branch .LBB6_5773
.LBB6_5787:                             ;   in Loop: Header=BB6_5769 Depth=2
	s_mov_b32 s7, -1
	s_mov_b32 s24, exec_lo
                                        ; implicit-def: $sgpr22
	v_cmpx_eq_u16_e32 0x80, v20
; %bb.5788:                             ;   in Loop: Header=BB6_5769 Depth=2
	s_mov_b32 s22, 0x7f800001
	s_xor_b32 s7, exec_lo, -1
; %bb.5789:                             ;   in Loop: Header=BB6_5769 Depth=2
	s_or_b32 exec_lo, exec_lo, s24
	s_delay_alu instid0(SALU_CYCLE_1)
	s_and_b32 s7, s7, exec_lo
                                        ; implicit-def: $vgpr20
	s_or_saveexec_b32 s23, s23
	v_mov_b32_e32 v19, s22
	s_xor_b32 exec_lo, exec_lo, s23
	s_cbranch_execz .LBB6_5775
.LBB6_5790:                             ;   in Loop: Header=BB6_5769 Depth=2
	v_cmp_ne_u16_e32 vcc_lo, 0, v20
	v_mov_b32_e32 v19, 0
	s_and_not1_b32 s7, s7, exec_lo
	s_and_b32 s22, vcc_lo, exec_lo
	s_delay_alu instid0(SALU_CYCLE_1)
	s_or_b32 s7, s7, s22
	s_or_b32 exec_lo, exec_lo, s23
	s_and_saveexec_b32 s22, s7
	s_cbranch_execnz .LBB6_5776
	s_branch .LBB6_5777
.LBB6_5791:                             ;   in Loop: Header=BB6_2973 Depth=1
	s_or_b32 exec_lo, exec_lo, s10
	v_cmp_ne_u32_e64 s7, 0, v134
.LBB6_5792:                             ;   in Loop: Header=BB6_2973 Depth=1
	s_and_saveexec_b32 s10, s2
	s_cbranch_execz .LBB6_5814
; %bb.5793:                             ;   in Loop: Header=BB6_2973 Depth=1
	s_and_saveexec_b32 s21, s3
	s_delay_alu instid0(SALU_CYCLE_1)
	s_xor_b32 s21, exec_lo, s21
	s_cbranch_execz .LBB6_5811
; %bb.5794:                             ;   in Loop: Header=BB6_2973 Depth=1
	s_and_saveexec_b32 s22, s4
	s_cbranch_execz .LBB6_5810
; %bb.5795:                             ;   in Loop: Header=BB6_2973 Depth=1
	s_mov_b32 s24, exec_lo
	s_mov_b32 s23, exec_lo
	v_mbcnt_lo_u32_b32 v10, s24, 0
	s_waitcnt lgkmcnt(0)
	s_waitcnt_vscnt null, 0x0
	buffer_gl1_inv
	buffer_gl0_inv
	v_cmpx_eq_u32_e32 0, v10
	s_cbranch_execz .LBB6_5797
; %bb.5796:                             ;   in Loop: Header=BB6_2973 Depth=1
	s_bcnt1_i32_b32 s24, s24
	s_delay_alu instid0(SALU_CYCLE_1)
	v_mov_b32_e32 v29, s24
	ds_add_u64 v0, v[29:30]
	s_cbranch_execnz .LBB6_6309
.LBB6_5797:                             ;   in Loop: Header=BB6_2973 Depth=1
	s_or_b32 exec_lo, exec_lo, s23
	s_cbranch_execnz .LBB6_6287
; %bb.5798:                             ;   in Loop: Header=BB6_2973 Depth=1
	ds_load_b64 v[10:11], v0
	v_add_co_u32 v70, vcc_lo, v70, v87
	v_add_co_ci_u32_e32 v71, vcc_lo, 0, v71, vcc_lo
	s_mov_b32 s23, exec_lo
	s_waitcnt lgkmcnt(0)
	s_delay_alu instid0(VALU_DEP_1)
	v_cmpx_lt_u64_e64 v[10:11], v[70:71]
	s_cbranch_execz .LBB6_5809
; %bb.5799:                             ;   in Loop: Header=BB6_2973 Depth=1
	s_mov_b32 s24, 0
	s_mov_b32 s27, 0
                                        ; implicit-def: $sgpr25
                                        ; implicit-def: $sgpr26
	s_branch .LBB6_5801
.LBB6_5800:                             ;   in Loop: Header=BB6_5801 Depth=2
	s_or_b32 exec_lo, exec_lo, vcc_hi
	s_delay_alu instid0(SALU_CYCLE_1) | instskip(NEXT) | instid1(SALU_CYCLE_1)
	s_and_b32 s28, exec_lo, s29
	s_or_b32 s24, s28, s24
	s_and_not1_b32 s25, s25, exec_lo
	s_and_b32 s28, s26, exec_lo
	s_delay_alu instid0(SALU_CYCLE_1)
	s_or_b32 s25, s25, s28
	s_and_not1_b32 exec_lo, exec_lo, s24
	s_cbranch_execz .LBB6_5807
.LBB6_5801:                             ;   Parent Loop BB6_2973 Depth=1
                                        ; =>  This Inner Loop Header: Depth=2
	s_add_i32 s27, s27, 1
                                        ; implicit-def: $sgpr29
	s_delay_alu instid0(SALU_CYCLE_1) | instskip(SKIP_1) | instid1(SALU_CYCLE_1)
	s_cmpk_lg_i32 s27, 0x2710
	s_cselect_b32 s28, -1, 0
	s_and_b32 vcc_lo, exec_lo, s28
	s_cbranch_vccz .LBB6_5805
.LBB6_5802:                             ;   in Loop: Header=BB6_5801 Depth=2
	s_and_not1_b32 s26, s26, exec_lo
	s_and_b32 vcc_lo, s29, exec_lo
	s_mov_b32 s29, -1
	s_or_b32 s26, s26, vcc_lo
	s_and_saveexec_b32 vcc_hi, s28
	s_cbranch_execz .LBB6_5800
; %bb.5803:                             ;   in Loop: Header=BB6_5801 Depth=2
	s_sleep 1
	s_cbranch_execnz .LBB6_6331
; %bb.5804:                             ;   in Loop: Header=BB6_5801 Depth=2
	ds_load_b64 v[10:11], v0
	s_and_not1_b32 s26, s26, exec_lo
	s_waitcnt lgkmcnt(0)
	v_cmp_ge_u64_e32 vcc_lo, v[10:11], v[70:71]
	s_or_not1_b32 s29, vcc_lo, exec_lo
	s_branch .LBB6_5800
.LBB6_5805:                             ;   in Loop: Header=BB6_5801 Depth=2
	s_cbranch_execnz .LBB6_6337
; %bb.5806:                             ;   in Loop: Header=BB6_5801 Depth=2
	ds_load_b64 v[10:11], v0
	s_and_not1_b32 s28, s28, exec_lo
	s_mov_b32 s27, 0
	s_mov_b32 s29, -1
	s_waitcnt lgkmcnt(0)
	flat_load_b32 v10, v[10:11] glc
	s_waitcnt vmcnt(0) lgkmcnt(0)
	buffer_gl1_inv
	buffer_gl0_inv
	v_cmp_eq_u32_e32 vcc_lo, 0, v10
	s_and_b32 vcc_lo, vcc_lo, exec_lo
	s_delay_alu instid0(SALU_CYCLE_1)
	s_or_b32 s28, s28, vcc_lo
	s_branch .LBB6_5802
.LBB6_5807:                             ;   in Loop: Header=BB6_2973 Depth=1
	s_or_b32 exec_lo, exec_lo, s24
	s_and_saveexec_b32 s24, s25
	s_delay_alu instid0(SALU_CYCLE_1)
	s_xor_b32 s24, exec_lo, s24
	s_cbranch_execz .LBB6_5809
; %bb.5808:                             ;   in Loop: Header=BB6_2973 Depth=1
	ds_store_b32 v0, v132
	s_cbranch_execnz .LBB6_6361
.LBB6_5809:                             ;   in Loop: Header=BB6_2973 Depth=1
	s_or_b32 exec_lo, exec_lo, s23
	;;#ASMSTART
	s_wakeup
	;;#ASMEND
.LBB6_5810:                             ;   in Loop: Header=BB6_2973 Depth=1
	s_or_b32 exec_lo, exec_lo, s22
.LBB6_5811:                             ;   in Loop: Header=BB6_2973 Depth=1
	s_and_not1_saveexec_b32 s21, s21
	s_cbranch_execz .LBB6_5813
; %bb.5812:                             ;   in Loop: Header=BB6_2973 Depth=1
	s_waitcnt lgkmcnt(0)
	s_waitcnt_vscnt null, 0x0
	buffer_gl1_inv
	buffer_gl0_inv
	s_barrier
.LBB6_5813:                             ;   in Loop: Header=BB6_2973 Depth=1
	s_or_b32 exec_lo, exec_lo, s21
.LBB6_5814:                             ;   in Loop: Header=BB6_2973 Depth=1
	s_delay_alu instid0(SALU_CYCLE_1) | instskip(SKIP_1) | instid1(VALU_DEP_1)
	s_or_b32 exec_lo, exec_lo, s10
	v_and_b32_e32 v10, 16, v103
	v_cmp_ne_u32_e32 vcc_lo, 0, v10
	s_and_b32 s10, vcc_lo, s7
	s_delay_alu instid0(SALU_CYCLE_1)
	s_and_saveexec_b32 s7, s10
	s_cbranch_execz .LBB6_5816
; %bb.5815:                             ;   in Loop: Header=BB6_2973 Depth=1
	s_waitcnt lgkmcnt(0)
	s_waitcnt_vscnt null, 0x0
	buffer_gl1_inv
	buffer_gl0_inv
.LBB6_5816:                             ;   in Loop: Header=BB6_2973 Depth=1
	s_or_b32 exec_lo, exec_lo, s7
	v_and_b32_e32 v10, 32, v103
	s_mov_b32 s7, exec_lo
	s_delay_alu instid0(VALU_DEP_1)
	v_cmpx_ne_u32_e32 0, v10
	s_cbranch_execz .LBB6_5818
; %bb.5817:                             ;   in Loop: Header=BB6_2973 Depth=1
	v_add_co_u32 v8, vcc_lo, v8, 1
	v_add_co_ci_u32_e32 v9, vcc_lo, 0, v9, vcc_lo
	s_waitcnt lgkmcnt(0)
	s_waitcnt_vscnt null, 0x0
	flat_store_b64 v[64:65], v[8:9]
.LBB6_5818:                             ;   in Loop: Header=BB6_2973 Depth=1
	s_or_b32 exec_lo, exec_lo, s7
	v_mov_b32_e32 v14, v133
.LBB6_5819:                             ;   in Loop: Header=BB6_2973 Depth=1
	s_or_b32 exec_lo, exec_lo, s20
	s_and_saveexec_b32 s10, s19
	s_cbranch_execz .LBB6_5872
; %bb.5820:                             ;   in Loop: Header=BB6_2973 Depth=1
	v_and_b32_e32 v10, 4, v103
	s_mov_b32 s19, -1
	s_mov_b32 s7, exec_lo
	s_delay_alu instid0(VALU_DEP_1)
	v_cmpx_ne_u32_e32 0, v10
	s_cbranch_execz .LBB6_5834
; %bb.5821:                             ;   in Loop: Header=BB6_2973 Depth=1
	s_waitcnt lgkmcnt(0)
	v_add_co_u32 v10, vcc_lo, v8, 1
	v_add_co_ci_u32_e32 v11, vcc_lo, 0, v9, vcc_lo
	v_mov_b32_e32 v12, 1
	s_mov_b32 s19, exec_lo
	s_delay_alu instid0(VALU_DEP_2)
	v_cmpx_lt_u64_e64 v[68:69], v[10:11]
	s_cbranch_execz .LBB6_5833
; %bb.5822:                             ;   in Loop: Header=BB6_2973 Depth=1
	v_mov_b32_e32 v12, 0
	s_mov_b32 s20, 0
                                        ; implicit-def: $sgpr21
	s_branch .LBB6_5826
.LBB6_5823:                             ;   in Loop: Header=BB6_5826 Depth=2
	s_or_b32 exec_lo, exec_lo, s25
	v_mov_b32_e32 v13, 0
	s_or_not1_b32 s24, s24, exec_lo
.LBB6_5824:                             ;   in Loop: Header=BB6_5826 Depth=2
	s_or_b32 exec_lo, exec_lo, s23
	s_delay_alu instid0(VALU_DEP_1) | instskip(SKIP_2) | instid1(SALU_CYCLE_1)
	v_mov_b32_e32 v12, v13
	s_and_not1_b32 s21, s21, exec_lo
	s_and_b32 s23, s24, exec_lo
	s_or_b32 s21, s21, s23
.LBB6_5825:                             ;   in Loop: Header=BB6_5826 Depth=2
	s_or_b32 exec_lo, exec_lo, s22
	s_waitcnt vmcnt(0) lgkmcnt(0)
	v_cmp_ge_u64_e32 vcc_lo, v[68:69], v[10:11]
	s_xor_b32 s22, s21, -1
	s_delay_alu instid0(SALU_CYCLE_1) | instskip(NEXT) | instid1(SALU_CYCLE_1)
	s_or_b32 s22, s22, vcc_lo
	s_and_b32 s22, exec_lo, s22
	s_delay_alu instid0(SALU_CYCLE_1) | instskip(NEXT) | instid1(SALU_CYCLE_1)
	s_or_b32 s20, s22, s20
	s_and_not1_b32 exec_lo, exec_lo, s20
	s_cbranch_execz .LBB6_5832
.LBB6_5826:                             ;   Parent Loop BB6_2973 Depth=1
                                        ; =>  This Inner Loop Header: Depth=2
	s_sleep 1
	flat_load_b64 v[68:69], v[64:65] glc
	v_and_b32_e32 v13, 64, v103
	s_and_not1_b32 s21, s21, exec_lo
	s_mov_b32 s22, exec_lo
	s_delay_alu instid0(VALU_DEP_1)
	v_cmpx_eq_u32_e32 0, v13
	s_cbranch_execz .LBB6_5825
; %bb.5827:                             ;   in Loop: Header=BB6_5826 Depth=2
	v_add_nc_u32_e32 v13, 1, v12
	s_mov_b32 s24, -1
	s_mov_b32 s23, exec_lo
	v_cmpx_lt_i32_e32 0x270e, v12
	s_cbranch_execz .LBB6_5824
; %bb.5828:                             ;   in Loop: Header=BB6_5826 Depth=2
	s_cbranch_execnz .LBB6_6191
; %bb.5829:                             ;   in Loop: Header=BB6_5826 Depth=2
	ds_load_b64 v[12:13], v0
	s_mov_b32 s25, exec_lo
	s_waitcnt vmcnt(0) lgkmcnt(0)
	s_waitcnt_vscnt null, 0x0
	flat_load_b32 v12, v[12:13] glc
	s_waitcnt vmcnt(0) lgkmcnt(0)
	buffer_gl1_inv
	buffer_gl0_inv
	v_cmpx_ne_u32_e32 0, v12
	s_cbranch_execz .LBB6_5823
; %bb.5830:                             ;   in Loop: Header=BB6_5826 Depth=2
	ds_store_b32 v0, v12
	s_cbranch_execnz .LBB6_6221
; %bb.5831:                             ;   in Loop: Header=BB6_5826 Depth=2
	v_or_b32_e32 v103, 64, v103
	s_xor_b32 s24, exec_lo, -1
	s_branch .LBB6_5823
.LBB6_5832:                             ;   in Loop: Header=BB6_2973 Depth=1
	s_or_b32 exec_lo, exec_lo, s20
	v_and_b32_e32 v12, 4, v103
.LBB6_5833:                             ;   in Loop: Header=BB6_2973 Depth=1
	s_or_b32 exec_lo, exec_lo, s19
	s_delay_alu instid0(VALU_DEP_1)
	v_cmp_eq_u32_e32 vcc_lo, 0, v12
	;;#ASMSTART
	s_wakeup
	;;#ASMEND
	s_or_not1_b32 s19, vcc_lo, exec_lo
.LBB6_5834:                             ;   in Loop: Header=BB6_2973 Depth=1
	s_or_b32 exec_lo, exec_lo, s7
	s_xor_b32 s7, s19, -1
	s_delay_alu instid0(SALU_CYCLE_1)
	s_and_saveexec_b32 s19, s7
	s_cbranch_execz .LBB6_5844
; %bb.5835:                             ;   in Loop: Header=BB6_2973 Depth=1
	v_and_b32_e32 v10, 0x100, v103
	s_waitcnt lgkmcnt(0)
	v_and_b32_e32 v15, 7, v8
	s_mov_b32 s7, -1
	s_delay_alu instid0(VALU_DEP_2)
	v_cmp_ne_u32_e32 vcc_lo, 0, v10
                                        ; implicit-def: $vgpr10_vgpr11
	s_and_saveexec_b32 s20, vcc_lo
	s_cbranch_execz .LBB6_5839
; %bb.5836:                             ;   in Loop: Header=BB6_2973 Depth=1
	v_mad_u64_u32 v[12:13], null, v15, 24, v[6:7]
	flat_load_b32 v10, v[12:13]
	s_waitcnt vmcnt(0) lgkmcnt(0)
	v_cmp_ne_u32_e32 vcc_lo, 1, v10
	v_cmp_eq_u32_e64 s7, 1, v10
                                        ; implicit-def: $vgpr10_vgpr11
	s_delay_alu instid0(VALU_DEP_1)
	s_and_saveexec_b32 s21, s7
	s_cbranch_execz .LBB6_5838
; %bb.5837:                             ;   in Loop: Header=BB6_2973 Depth=1
	flat_load_b32 v10, v[12:13] offset:4 glc
	s_waitcnt vmcnt(0) lgkmcnt(0)
	v_ashrrev_i32_e32 v11, 31, v10
.LBB6_5838:                             ;   in Loop: Header=BB6_2973 Depth=1
	s_or_b32 exec_lo, exec_lo, s21
	s_delay_alu instid0(SALU_CYCLE_1)
	s_or_not1_b32 s7, vcc_lo, exec_lo
.LBB6_5839:                             ;   in Loop: Header=BB6_2973 Depth=1
	s_or_b32 exec_lo, exec_lo, s20
	s_and_saveexec_b32 s20, s7
; %bb.5840:                             ;   in Loop: Header=BB6_2973 Depth=1
	v_mad_i64_i32 v[10:11], null, v15, v113, 0
; %bb.5841:                             ;   in Loop: Header=BB6_2973 Depth=1
	s_or_b32 exec_lo, exec_lo, s20
	s_delay_alu instid0(VALU_DEP_1) | instskip(SKIP_1) | instid1(VALU_DEP_3)
	v_add_co_u32 v10, vcc_lo, v66, v10
	v_and_b32_e32 v12, 0x2000, v103
	v_add_co_ci_u32_e32 v11, vcc_lo, v67, v11, vcc_lo
	s_mov_b32 s7, exec_lo
	ds_store_b64 v0, v[10:11] offset:728
	v_cmpx_ne_u32_e32 0, v12
	s_cbranch_execz .LBB6_5843
; %bb.5842:                             ;   in Loop: Header=BB6_2973 Depth=1
	ds_load_b64 v[10:11], v0 offset:584
	s_waitcnt lgkmcnt(0)
	v_add_co_u32 v10, vcc_lo, v10, 1
	v_add_co_ci_u32_e32 v11, vcc_lo, 0, v11, vcc_lo
	ds_store_b64 v0, v[10:11] offset:584
.LBB6_5843:                             ;   in Loop: Header=BB6_2973 Depth=1
	s_or_b32 exec_lo, exec_lo, s7
	v_add_co_u32 v8, vcc_lo, v8, 1
	v_add_co_ci_u32_e32 v9, vcc_lo, 0, v9, vcc_lo
.LBB6_5844:                             ;   in Loop: Header=BB6_2973 Depth=1
	s_or_b32 exec_lo, exec_lo, s19
	s_and_saveexec_b32 s7, s2
	s_cbranch_execz .LBB6_5866
; %bb.5845:                             ;   in Loop: Header=BB6_2973 Depth=1
	s_and_saveexec_b32 s19, s3
	s_delay_alu instid0(SALU_CYCLE_1)
	s_xor_b32 s19, exec_lo, s19
	s_cbranch_execz .LBB6_5863
; %bb.5846:                             ;   in Loop: Header=BB6_2973 Depth=1
	s_and_saveexec_b32 s20, s4
	s_cbranch_execz .LBB6_5862
; %bb.5847:                             ;   in Loop: Header=BB6_2973 Depth=1
	s_mov_b32 s22, exec_lo
	s_mov_b32 s21, exec_lo
	v_mbcnt_lo_u32_b32 v10, s22, 0
	s_waitcnt lgkmcnt(0)
	s_waitcnt_vscnt null, 0x0
	buffer_gl1_inv
	buffer_gl0_inv
	v_cmpx_eq_u32_e32 0, v10
	s_cbranch_execz .LBB6_5849
; %bb.5848:                             ;   in Loop: Header=BB6_2973 Depth=1
	s_bcnt1_i32_b32 s22, s22
	s_delay_alu instid0(SALU_CYCLE_1)
	v_mov_b32_e32 v29, s22
	ds_add_u64 v0, v[29:30]
	s_cbranch_execnz .LBB6_6237
.LBB6_5849:                             ;   in Loop: Header=BB6_2973 Depth=1
	s_or_b32 exec_lo, exec_lo, s21
	s_cbranch_execnz .LBB6_6223
; %bb.5850:                             ;   in Loop: Header=BB6_2973 Depth=1
	ds_load_b64 v[10:11], v0
	v_add_co_u32 v70, vcc_lo, v70, v87
	v_add_co_ci_u32_e32 v71, vcc_lo, 0, v71, vcc_lo
	s_mov_b32 s21, exec_lo
	s_waitcnt lgkmcnt(0)
	s_delay_alu instid0(VALU_DEP_1)
	v_cmpx_lt_u64_e64 v[10:11], v[70:71]
	s_cbranch_execz .LBB6_5861
; %bb.5851:                             ;   in Loop: Header=BB6_2973 Depth=1
	s_mov_b32 s22, 0
	s_mov_b32 s25, 0
                                        ; implicit-def: $sgpr23
                                        ; implicit-def: $sgpr24
	s_branch .LBB6_5853
.LBB6_5852:                             ;   in Loop: Header=BB6_5853 Depth=2
	s_or_b32 exec_lo, exec_lo, s28
	s_delay_alu instid0(SALU_CYCLE_1) | instskip(NEXT) | instid1(SALU_CYCLE_1)
	s_and_b32 s26, exec_lo, s27
	s_or_b32 s22, s26, s22
	s_and_not1_b32 s23, s23, exec_lo
	s_and_b32 s26, s24, exec_lo
	s_delay_alu instid0(SALU_CYCLE_1)
	s_or_b32 s23, s23, s26
	s_and_not1_b32 exec_lo, exec_lo, s22
	s_cbranch_execz .LBB6_5859
.LBB6_5853:                             ;   Parent Loop BB6_2973 Depth=1
                                        ; =>  This Inner Loop Header: Depth=2
	s_add_i32 s25, s25, 1
                                        ; implicit-def: $sgpr27
	s_delay_alu instid0(SALU_CYCLE_1) | instskip(SKIP_1) | instid1(SALU_CYCLE_1)
	s_cmpk_lg_i32 s25, 0x2710
	s_cselect_b32 s26, -1, 0
	s_and_b32 vcc_lo, exec_lo, s26
	s_cbranch_vccz .LBB6_5857
.LBB6_5854:                             ;   in Loop: Header=BB6_5853 Depth=2
	s_and_not1_b32 s24, s24, exec_lo
	s_and_b32 s28, s27, exec_lo
	s_mov_b32 s27, -1
	s_or_b32 s24, s24, s28
	s_and_saveexec_b32 s28, s26
	s_cbranch_execz .LBB6_5852
; %bb.5855:                             ;   in Loop: Header=BB6_5853 Depth=2
	s_sleep 1
	s_cbranch_execnz .LBB6_6281
; %bb.5856:                             ;   in Loop: Header=BB6_5853 Depth=2
	ds_load_b64 v[10:11], v0
	s_and_not1_b32 s24, s24, exec_lo
	s_waitcnt lgkmcnt(0)
	v_cmp_ge_u64_e32 vcc_lo, v[10:11], v[70:71]
	s_or_not1_b32 s27, vcc_lo, exec_lo
	s_branch .LBB6_5852
.LBB6_5857:                             ;   in Loop: Header=BB6_5853 Depth=2
	s_cbranch_execnz .LBB6_6303
; %bb.5858:                             ;   in Loop: Header=BB6_5853 Depth=2
	ds_load_b64 v[10:11], v0
	s_and_not1_b32 s26, s26, exec_lo
	s_mov_b32 s25, 0
	s_mov_b32 s27, -1
	s_waitcnt lgkmcnt(0)
	flat_load_b32 v10, v[10:11] glc
	s_waitcnt vmcnt(0) lgkmcnt(0)
	buffer_gl1_inv
	buffer_gl0_inv
	v_cmp_eq_u32_e32 vcc_lo, 0, v10
	s_and_b32 s28, vcc_lo, exec_lo
	s_delay_alu instid0(SALU_CYCLE_1)
	s_or_b32 s26, s26, s28
	s_branch .LBB6_5854
.LBB6_5859:                             ;   in Loop: Header=BB6_2973 Depth=1
	s_or_b32 exec_lo, exec_lo, s22
	s_and_saveexec_b32 s22, s23
	s_delay_alu instid0(SALU_CYCLE_1)
	s_xor_b32 s22, exec_lo, s22
	s_cbranch_execz .LBB6_5861
; %bb.5860:                             ;   in Loop: Header=BB6_2973 Depth=1
	ds_store_b32 v0, v132
	s_cbranch_execnz .LBB6_6351
.LBB6_5861:                             ;   in Loop: Header=BB6_2973 Depth=1
	s_or_b32 exec_lo, exec_lo, s21
	;;#ASMSTART
	s_wakeup
	;;#ASMEND
.LBB6_5862:                             ;   in Loop: Header=BB6_2973 Depth=1
	s_or_b32 exec_lo, exec_lo, s20
.LBB6_5863:                             ;   in Loop: Header=BB6_2973 Depth=1
	s_and_not1_saveexec_b32 s19, s19
	s_cbranch_execz .LBB6_5865
; %bb.5864:                             ;   in Loop: Header=BB6_2973 Depth=1
	s_waitcnt lgkmcnt(0)
	s_waitcnt_vscnt null, 0x0
	buffer_gl1_inv
	buffer_gl0_inv
	s_barrier
.LBB6_5865:                             ;   in Loop: Header=BB6_2973 Depth=1
	s_or_b32 exec_lo, exec_lo, s19
.LBB6_5866:                             ;   in Loop: Header=BB6_2973 Depth=1
	s_delay_alu instid0(SALU_CYCLE_1)
	s_or_b32 exec_lo, exec_lo, s7
	s_cbranch_execnz .LBB6_6162
; %bb.5867:                             ;   in Loop: Header=BB6_2973 Depth=1
	ds_load_b32 v10, v0
	v_sub_nc_u32_e32 v11, v84, v14
	s_delay_alu instid0(VALU_DEP_1) | instskip(NEXT) | instid1(VALU_DEP_1)
	v_min_i32_e32 v11, v133, v11
	v_cmp_lt_i32_e32 vcc_lo, 0, v11
	s_waitcnt lgkmcnt(0)
	v_readfirstlane_b32 s7, v10
	v_and_b32_e32 v10, 16, v103
	s_delay_alu instid0(VALU_DEP_2) | instskip(NEXT) | instid1(VALU_DEP_1)
	s_cmp_eq_u32 s7, 0
	v_cmp_ne_u32_e64 s7, 0, v10
	s_cselect_b32 s19, -1, 0
	s_delay_alu instid0(SALU_CYCLE_1)
	s_and_b32 s19, vcc_lo, s19
	s_delay_alu instid0(VALU_DEP_1) | instid1(SALU_CYCLE_1)
	s_and_b32 s19, s7, s19
	s_delay_alu instid0(SALU_CYCLE_1)
	s_and_saveexec_b32 s7, s19
	s_cbranch_execz .LBB6_5869
; %bb.5868:                             ;   in Loop: Header=BB6_2973 Depth=1
	s_waitcnt_vscnt null, 0x0
	buffer_gl1_inv
	buffer_gl0_inv
.LBB6_5869:                             ;   in Loop: Header=BB6_2973 Depth=1
	s_or_b32 exec_lo, exec_lo, s7
	v_and_b32_e32 v10, 32, v103
	s_mov_b32 s7, exec_lo
	s_delay_alu instid0(VALU_DEP_1)
	v_cmpx_ne_u32_e32 0, v10
	s_cbranch_execz .LBB6_5871
; %bb.5870:                             ;   in Loop: Header=BB6_2973 Depth=1
	v_add_co_u32 v8, vcc_lo, v8, 1
	v_add_co_ci_u32_e32 v9, vcc_lo, 0, v9, vcc_lo
	s_waitcnt_vscnt null, 0x0
	flat_store_b64 v[64:65], v[8:9]
.LBB6_5871:                             ;   in Loop: Header=BB6_2973 Depth=1
	s_or_b32 exec_lo, exec_lo, s7
.LBB6_5872:                             ;   in Loop: Header=BB6_2973 Depth=1
	s_delay_alu instid0(SALU_CYCLE_1) | instskip(SKIP_2) | instid1(VALU_DEP_1)
	s_or_b32 exec_lo, exec_lo, s10
	v_add_co_u32 v82, vcc_lo, v82, v80
	v_add_co_ci_u32_e32 v83, vcc_lo, 0, v83, vcc_lo
	v_cmp_ge_u64_e32 vcc_lo, v[82:83], v[4:5]
	s_or_b32 s16, vcc_lo, s16
	s_delay_alu instid0(SALU_CYCLE_1)
	s_and_not1_b32 exec_lo, exec_lo, s16
	s_cbranch_execnz .LBB6_2973
; %bb.5873:
	s_or_b32 exec_lo, exec_lo, s16
.LBB6_5874:
	s_delay_alu instid0(SALU_CYCLE_1)
	s_or_b32 exec_lo, exec_lo, s12
.LBB6_5875:
	s_delay_alu instid0(SALU_CYCLE_1)
	s_or_b32 exec_lo, exec_lo, s11
                                        ; implicit-def: $vgpr52_vgpr53
                                        ; implicit-def: $vgpr4_vgpr5
                                        ; implicit-def: $vgpr82_vgpr83
                                        ; implicit-def: $vgpr113
                                        ; implicit-def: $vgpr68_vgpr69
                                        ; implicit-def: $vgpr66_vgpr67
                                        ; implicit-def: $vgpr64_vgpr65
                                        ; implicit-def: $vgpr0
                                        ; implicit-def: $vgpr26
                                        ; implicit-def: $vgpr80_vgpr81
.LBB6_5876:
	s_and_not1_saveexec_b32 s12, s15
	s_cbranch_execz .LBB6_6074
; %bb.5877:
	v_mov_b32_e32 v70, 0
	v_mov_b32_e32 v71, 0
	s_mov_b32 s15, exec_lo
	v_cmpx_ne_u64_e32 0, v[4:5]
	s_cbranch_execz .LBB6_6073
; %bb.5878:
	v_cmp_ge_i32_e64 s1, v0, v1
	s_cbranch_execnz .LBB6_6103
; %bb.5879:
	v_ashrrev_i32_e32 v10, 31, v0
	v_lshrrev_b32_e32 v19, 5, v1
	v_and_b32_e32 v12, 31, v31
	s_ashr_i32 s4, s14, 31
	v_and_b32_e32 v29, 0xffffffe0, v1
	v_lshrrev_b32_e32 v10, 27, v10
	s_lshr_b32 s4, s4, 24
	v_lshlrev_b32_e32 v21, 9, v19
	s_add_i32 s14, s14, s4
	v_cmp_eq_u32_e64 s4, 0, v12
	v_dual_mov_b32 v11, 0 :: v_dual_add_nc_u32 v10, v0, v10
	v_lshl_add_u32 v14, v19, 10, 0xfffffc00
	v_cmp_eq_u32_e32 vcc_lo, 32, v1
	v_cmp_ne_u32_e64 s2, 32, v1
	s_delay_alu instid0(VALU_DEP_4)
	v_dual_mov_b32 v34, 1 :: v_dual_and_b32 v13, 0xffffffe0, v10
	s_waitcnt lgkmcnt(0)
	v_ashrrev_i32_e32 v20, 5, v10
	v_lshl_add_u32 v10, v19, 12, 0xfffff000
	v_cmp_ne_u32_e64 s3, v112, v1
	v_sub_nc_u32_e32 v22, v0, v13
	v_ashrrev_i32_e32 v33, 31, v29
	v_lshlrev_b32_e32 v13, 12, v20
	v_ashrrev_i32_e32 v12, 31, v10
	v_add_co_u32 v24, s5, 0x1000, v10
	v_cmp_lt_i32_e64 s6, v22, v26
	s_delay_alu instid0(VALU_DEP_4) | instskip(NEXT) | instid1(VALU_DEP_4)
	v_lshl_add_u32 v23, v22, 4, v13
	v_add_co_ci_u32_e64 v25, s5, 0, v12, s5
	v_mov_b32_e32 v12, 0
	v_mov_b32_e32 v13, 0
	v_add_nc_u32_e32 v15, 0xfffffe00, v21
	v_cmp_gt_i32_e64 s5, 1, v22
	v_ashrrev_i32_e32 v26, 31, v23
	s_ashr_i32 s16, s14, 8
	v_dual_mov_b32 v71, v13 :: v_dual_mov_b32 v70, v12
	v_ashrrev_i32_e32 v10, 31, v15
	v_add_co_u32 v27, s7, 0x200, v15
	s_mov_b32 s14, 0
	s_xor_b32 s17, vcc_lo, -1
	s_delay_alu instid0(VALU_DEP_2) | instskip(SKIP_2) | instid1(VALU_DEP_1)
	v_add_co_ci_u32_e64 v28, s7, 0, v10, s7
	v_ashrrev_i32_e32 v10, 31, v14
	v_add_co_u32 v30, s7, 0x400, v14
	v_add_co_ci_u32_e64 v32, s7, 0, v10, s7
	v_cmp_ne_u64_e64 s7, 0, v[82:83]
.LBB6_5880:                             ; =>This Loop Header: Depth=1
                                        ;     Child Loop BB6_5890 Depth 2
                                        ;     Child Loop BB6_5917 Depth 2
	;; [unrolled: 1-line block ×10, first 2 shown]
	v_sub_co_u32 v14, vcc_lo, v4, v12
	v_sub_co_ci_u32_e32 v15, vcc_lo, v5, v13, vcc_lo
	v_mov_b32_e32 v17, 0
	s_delay_alu instid0(VALU_DEP_2) | instskip(SKIP_2) | instid1(VALU_DEP_2)
	v_cmp_lt_u64_e32 vcc_lo, v[80:81], v[14:15]
	v_cndmask_b32_e32 v14, v14, v80, vcc_lo
	v_cndmask_b32_e64 v15, v15, 0, vcc_lo
	v_add_nc_u32_e32 v10, 15, v14
	s_delay_alu instid0(VALU_DEP_2) | instskip(NEXT) | instid1(VALU_DEP_2)
	v_cmp_eq_u64_e32 vcc_lo, 0, v[14:15]
	v_and_b32_e32 v10, 0x7ffffff0, v10
	s_or_b32 s18, s1, vcc_lo
	s_delay_alu instid0(SALU_CYCLE_1) | instskip(NEXT) | instid1(VALU_DEP_1)
	s_xor_b32 s10, s18, -1
	v_max_i32_e32 v10, s16, v10
	s_and_saveexec_b32 s19, s10
	s_cbranch_execz .LBB6_6016
; %bb.5881:                             ;   in Loop: Header=BB6_5880 Depth=1
	s_and_saveexec_b32 s10, s0
	s_cbranch_execz .LBB6_5884
; %bb.5882:                             ;   in Loop: Header=BB6_5880 Depth=1
	s_cbranch_execnz .LBB6_6144
; %bb.5883:                             ;   in Loop: Header=BB6_5880 Depth=1
	ds_load_b64 v[15:16], v0
	s_waitcnt lgkmcnt(0)
	v_add_co_u32 v17, vcc_lo, v15, v52
	v_add_co_ci_u32_e32 v16, vcc_lo, v16, v53, vcc_lo
	v_mov_b32_e32 v15, v11
	s_delay_alu instid0(VALU_DEP_3) | instskip(NEXT) | instid1(VALU_DEP_3)
	v_add_co_u32 v17, vcc_lo, v17, v12
	v_add_co_ci_u32_e32 v18, vcc_lo, v16, v13, vcc_lo
	v_mov_b32_e32 v16, v11
	ds_store_b64 v0, v[17:18]
	ds_store_b64 v0, v[15:16]
.LBB6_5884:                             ;   in Loop: Header=BB6_5880 Depth=1
	s_or_b32 exec_lo, exec_lo, s10
	v_and_b32_e32 v15, 8, v103
	s_mov_b32 s11, -1
	s_mov_b32 s10, exec_lo
	s_delay_alu instid0(VALU_DEP_1)
	v_cmpx_ne_u32_e32 0, v15
	s_cbranch_execz .LBB6_5898
; %bb.5885:                             ;   in Loop: Header=BB6_5880 Depth=1
	v_add_co_u32 v17, vcc_lo, v68, 8
	v_add_co_ci_u32_e32 v18, vcc_lo, 0, v69, vcc_lo
	v_add_co_u32 v15, vcc_lo, v8, 1
	v_add_co_ci_u32_e32 v16, vcc_lo, 0, v9, vcc_lo
	s_delay_alu instid0(VALU_DEP_1)
	v_cmp_lt_u64_e32 vcc_lo, v[17:18], v[15:16]
	v_mov_b32_e32 v17, 1
	s_and_saveexec_b32 s11, vcc_lo
	s_cbranch_execz .LBB6_5897
; %bb.5886:                             ;   in Loop: Header=BB6_5880 Depth=1
	v_mov_b32_e32 v17, 0
	s_mov_b32 s20, 0
                                        ; implicit-def: $sgpr21
	s_branch .LBB6_5890
.LBB6_5887:                             ;   in Loop: Header=BB6_5890 Depth=2
	s_or_b32 exec_lo, exec_lo, s25
	v_mov_b32_e32 v18, 0
	s_or_not1_b32 s24, s24, exec_lo
.LBB6_5888:                             ;   in Loop: Header=BB6_5890 Depth=2
	s_or_b32 exec_lo, exec_lo, s23
	s_delay_alu instid0(VALU_DEP_1) | instskip(SKIP_2) | instid1(SALU_CYCLE_1)
	v_mov_b32_e32 v17, v18
	s_and_not1_b32 s21, s21, exec_lo
	s_and_b32 s23, s24, exec_lo
	s_or_b32 s21, s21, s23
.LBB6_5889:                             ;   in Loop: Header=BB6_5890 Depth=2
	s_or_b32 exec_lo, exec_lo, s22
	s_waitcnt vmcnt(0) lgkmcnt(0)
	v_add_co_u32 v35, vcc_lo, v68, 8
	v_add_co_ci_u32_e32 v36, vcc_lo, 0, v69, vcc_lo
	s_xor_b32 s22, s21, -1
	s_delay_alu instid0(VALU_DEP_1) | instskip(SKIP_1) | instid1(SALU_CYCLE_1)
	v_cmp_ge_u64_e32 vcc_lo, v[35:36], v[15:16]
	s_or_b32 s22, s22, vcc_lo
	s_and_b32 s22, exec_lo, s22
	s_delay_alu instid0(SALU_CYCLE_1) | instskip(NEXT) | instid1(SALU_CYCLE_1)
	s_or_b32 s20, s22, s20
	s_and_not1_b32 exec_lo, exec_lo, s20
	s_cbranch_execz .LBB6_5896
.LBB6_5890:                             ;   Parent Loop BB6_5880 Depth=1
                                        ; =>  This Inner Loop Header: Depth=2
	s_sleep 1
	flat_load_b64 v[68:69], v[64:65] glc
	v_and_b32_e32 v18, 64, v103
	s_and_not1_b32 s21, s21, exec_lo
	s_mov_b32 s22, exec_lo
	s_delay_alu instid0(VALU_DEP_1)
	v_cmpx_eq_u32_e32 0, v18
	s_cbranch_execz .LBB6_5889
; %bb.5891:                             ;   in Loop: Header=BB6_5890 Depth=2
	v_add_nc_u32_e32 v18, 1, v17
	s_mov_b32 s24, -1
	s_mov_b32 s23, exec_lo
	v_cmpx_lt_i32_e32 0x270e, v17
	s_cbranch_execz .LBB6_5888
; %bb.5892:                             ;   in Loop: Header=BB6_5890 Depth=2
	s_cbranch_execnz .LBB6_6150
; %bb.5893:                             ;   in Loop: Header=BB6_5890 Depth=2
	ds_load_b64 v[17:18], v0
	s_mov_b32 s25, exec_lo
	s_waitcnt vmcnt(0) lgkmcnt(0)
	s_waitcnt_vscnt null, 0x0
	flat_load_b32 v17, v[17:18] glc
	s_waitcnt vmcnt(0) lgkmcnt(0)
	buffer_gl1_inv
	buffer_gl0_inv
	v_cmpx_ne_u32_e32 0, v17
	s_cbranch_execz .LBB6_5887
; %bb.5894:                             ;   in Loop: Header=BB6_5890 Depth=2
	ds_store_b32 v0, v17
	s_cbranch_execnz .LBB6_6193
; %bb.5895:                             ;   in Loop: Header=BB6_5890 Depth=2
	v_or_b32_e32 v103, 64, v103
	s_xor_b32 s24, exec_lo, -1
	s_branch .LBB6_5887
.LBB6_5896:                             ;   in Loop: Header=BB6_5880 Depth=1
	s_or_b32 exec_lo, exec_lo, s20
	v_and_b32_e32 v17, 8, v103
.LBB6_5897:                             ;   in Loop: Header=BB6_5880 Depth=1
	s_or_b32 exec_lo, exec_lo, s11
	s_delay_alu instid0(VALU_DEP_1)
	v_cmp_eq_u32_e32 vcc_lo, 0, v17
	;;#ASMSTART
	s_wakeup
	;;#ASMEND
	s_or_not1_b32 s11, vcc_lo, exec_lo
.LBB6_5898:                             ;   in Loop: Header=BB6_5880 Depth=1
	s_or_b32 exec_lo, exec_lo, s10
	v_min_u32_e32 v10, v10, v14
	s_xor_b32 s10, s11, -1
	s_delay_alu instid0(SALU_CYCLE_1)
	s_and_saveexec_b32 s11, s10
	s_cbranch_execz .LBB6_5908
; %bb.5899:                             ;   in Loop: Header=BB6_5880 Depth=1
	v_and_b32_e32 v15, 0x100, v103
	v_and_b32_e32 v35, 7, v8
	s_mov_b32 s10, -1
	s_delay_alu instid0(VALU_DEP_2)
	v_cmp_ne_u32_e32 vcc_lo, 0, v15
                                        ; implicit-def: $vgpr15_vgpr16
	s_and_saveexec_b32 s20, vcc_lo
	s_cbranch_execz .LBB6_5903
; %bb.5900:                             ;   in Loop: Header=BB6_5880 Depth=1
	v_mad_u64_u32 v[17:18], null, v35, 24, v[6:7]
	flat_load_b32 v15, v[17:18]
	flat_store_b64 v[17:18], v[10:11] offset:8
	s_waitcnt vmcnt(0) lgkmcnt(1)
	v_cmp_ne_u32_e32 vcc_lo, 1, v15
	v_cmp_eq_u32_e64 s10, 1, v15
                                        ; implicit-def: $vgpr15_vgpr16
	s_delay_alu instid0(VALU_DEP_1)
	s_and_saveexec_b32 s21, s10
	s_cbranch_execz .LBB6_5902
; %bb.5901:                             ;   in Loop: Header=BB6_5880 Depth=1
	flat_load_b32 v15, v[17:18] offset:4 glc
	s_waitcnt vmcnt(0) lgkmcnt(0)
	v_ashrrev_i32_e32 v16, 31, v15
.LBB6_5902:                             ;   in Loop: Header=BB6_5880 Depth=1
	s_or_b32 exec_lo, exec_lo, s21
	s_delay_alu instid0(SALU_CYCLE_1)
	s_or_not1_b32 s10, vcc_lo, exec_lo
.LBB6_5903:                             ;   in Loop: Header=BB6_5880 Depth=1
	s_or_b32 exec_lo, exec_lo, s20
	s_and_saveexec_b32 s20, s10
; %bb.5904:                             ;   in Loop: Header=BB6_5880 Depth=1
	v_mad_i64_i32 v[15:16], null, v35, v113, 0
; %bb.5905:                             ;   in Loop: Header=BB6_5880 Depth=1
	s_or_b32 exec_lo, exec_lo, s20
	s_delay_alu instid0(VALU_DEP_1) | instskip(SKIP_1) | instid1(VALU_DEP_3)
	v_add_co_u32 v15, vcc_lo, v66, v15
	v_and_b32_e32 v17, 0x2000, v103
	v_add_co_ci_u32_e32 v16, vcc_lo, v67, v16, vcc_lo
	s_mov_b32 s10, exec_lo
	ds_store_b64 v0, v[15:16] offset:784
	v_cmpx_ne_u32_e32 0, v17
	s_cbranch_execz .LBB6_5907
; %bb.5906:                             ;   in Loop: Header=BB6_5880 Depth=1
	ds_load_b64 v[15:16], v0 offset:584
	s_waitcnt lgkmcnt(0)
	v_add_co_u32 v15, vcc_lo, v15, 1
	v_add_co_ci_u32_e32 v16, vcc_lo, 0, v16, vcc_lo
	ds_store_b64 v0, v[15:16] offset:584
.LBB6_5907:                             ;   in Loop: Header=BB6_5880 Depth=1
	s_or_b32 exec_lo, exec_lo, s10
	v_add_co_u32 v8, vcc_lo, v8, 1
	v_add_co_ci_u32_e32 v9, vcc_lo, 0, v9, vcc_lo
.LBB6_5908:                             ;   in Loop: Header=BB6_5880 Depth=1
	s_or_b32 exec_lo, exec_lo, s11
	s_and_saveexec_b32 s10, s2
	s_cbranch_execz .LBB6_5930
; %bb.5909:                             ;   in Loop: Header=BB6_5880 Depth=1
	s_and_saveexec_b32 s11, s3
	s_delay_alu instid0(SALU_CYCLE_1)
	s_xor_b32 s11, exec_lo, s11
	s_cbranch_execz .LBB6_5927
; %bb.5910:                             ;   in Loop: Header=BB6_5880 Depth=1
	s_and_saveexec_b32 s20, s4
	s_cbranch_execz .LBB6_5926
; %bb.5911:                             ;   in Loop: Header=BB6_5880 Depth=1
	s_mov_b32 s22, exec_lo
	s_mov_b32 s21, exec_lo
	v_mbcnt_lo_u32_b32 v15, s22, 0
	s_waitcnt lgkmcnt(0)
	s_waitcnt_vscnt null, 0x0
	buffer_gl1_inv
	buffer_gl0_inv
	v_cmpx_eq_u32_e32 0, v15
	s_cbranch_execz .LBB6_5913
; %bb.5912:                             ;   in Loop: Header=BB6_5880 Depth=1
	s_bcnt1_i32_b32 s22, s22
	s_delay_alu instid0(SALU_CYCLE_1)
	v_dual_mov_b32 v16, v11 :: v_dual_mov_b32 v15, s22
	ds_add_u64 v0, v[15:16]
	s_cbranch_execnz .LBB6_6205
.LBB6_5913:                             ;   in Loop: Header=BB6_5880 Depth=1
	s_or_b32 exec_lo, exec_lo, s21
	s_cbranch_execnz .LBB6_6195
; %bb.5914:                             ;   in Loop: Header=BB6_5880 Depth=1
	ds_load_b64 v[15:16], v0
	v_add_co_u32 v70, vcc_lo, v70, v19
	v_add_co_ci_u32_e32 v71, vcc_lo, 0, v71, vcc_lo
	s_mov_b32 s21, exec_lo
	s_waitcnt lgkmcnt(0)
	s_delay_alu instid0(VALU_DEP_1)
	v_cmpx_lt_u64_e64 v[15:16], v[70:71]
	s_cbranch_execz .LBB6_5925
; %bb.5915:                             ;   in Loop: Header=BB6_5880 Depth=1
	s_mov_b32 s22, 0
	s_mov_b32 s25, 0
                                        ; implicit-def: $sgpr23
                                        ; implicit-def: $sgpr24
	s_branch .LBB6_5917
.LBB6_5916:                             ;   in Loop: Header=BB6_5917 Depth=2
	s_or_b32 exec_lo, exec_lo, s28
	s_delay_alu instid0(SALU_CYCLE_1) | instskip(NEXT) | instid1(SALU_CYCLE_1)
	s_and_b32 s26, exec_lo, s27
	s_or_b32 s22, s26, s22
	s_and_not1_b32 s23, s23, exec_lo
	s_and_b32 s26, s24, exec_lo
	s_delay_alu instid0(SALU_CYCLE_1)
	s_or_b32 s23, s23, s26
	s_and_not1_b32 exec_lo, exec_lo, s22
	s_cbranch_execz .LBB6_5923
.LBB6_5917:                             ;   Parent Loop BB6_5880 Depth=1
                                        ; =>  This Inner Loop Header: Depth=2
	s_add_i32 s25, s25, 1
                                        ; implicit-def: $sgpr27
	s_delay_alu instid0(SALU_CYCLE_1) | instskip(SKIP_1) | instid1(SALU_CYCLE_1)
	s_cmpk_lg_i32 s25, 0x2710
	s_cselect_b32 s26, -1, 0
	s_and_b32 vcc_lo, exec_lo, s26
	s_cbranch_vccz .LBB6_5921
.LBB6_5918:                             ;   in Loop: Header=BB6_5917 Depth=2
	s_and_not1_b32 s24, s24, exec_lo
	s_and_b32 s28, s27, exec_lo
	s_mov_b32 s27, -1
	s_or_b32 s24, s24, s28
	s_and_saveexec_b32 s28, s26
	s_cbranch_execz .LBB6_5916
; %bb.5919:                             ;   in Loop: Header=BB6_5917 Depth=2
	s_sleep 1
	s_cbranch_execnz .LBB6_6233
; %bb.5920:                             ;   in Loop: Header=BB6_5917 Depth=2
	ds_load_b64 v[15:16], v0
	s_and_not1_b32 s24, s24, exec_lo
	s_waitcnt lgkmcnt(0)
	v_cmp_ge_u64_e32 vcc_lo, v[15:16], v[70:71]
	s_or_not1_b32 s27, vcc_lo, exec_lo
	s_branch .LBB6_5916
.LBB6_5921:                             ;   in Loop: Header=BB6_5917 Depth=2
	s_cbranch_execnz .LBB6_6243
; %bb.5922:                             ;   in Loop: Header=BB6_5917 Depth=2
	ds_load_b64 v[15:16], v0
	s_and_not1_b32 s26, s26, exec_lo
	s_mov_b32 s25, 0
	s_mov_b32 s27, -1
	s_waitcnt lgkmcnt(0)
	flat_load_b32 v15, v[15:16] glc
	s_waitcnt vmcnt(0) lgkmcnt(0)
	buffer_gl1_inv
	buffer_gl0_inv
	v_cmp_eq_u32_e32 vcc_lo, 0, v15
	s_and_b32 s28, vcc_lo, exec_lo
	s_delay_alu instid0(SALU_CYCLE_1)
	s_or_b32 s26, s26, s28
	s_branch .LBB6_5918
.LBB6_5923:                             ;   in Loop: Header=BB6_5880 Depth=1
	s_or_b32 exec_lo, exec_lo, s22
	s_and_saveexec_b32 s22, s23
	s_delay_alu instid0(SALU_CYCLE_1)
	s_xor_b32 s22, exec_lo, s22
	s_cbranch_execz .LBB6_5925
; %bb.5924:                             ;   in Loop: Header=BB6_5880 Depth=1
	ds_store_b32 v0, v34
	s_cbranch_execnz .LBB6_6341
.LBB6_5925:                             ;   in Loop: Header=BB6_5880 Depth=1
	s_or_b32 exec_lo, exec_lo, s21
	;;#ASMSTART
	s_wakeup
	;;#ASMEND
.LBB6_5926:                             ;   in Loop: Header=BB6_5880 Depth=1
	s_or_b32 exec_lo, exec_lo, s20
.LBB6_5927:                             ;   in Loop: Header=BB6_5880 Depth=1
	s_and_not1_saveexec_b32 s11, s11
	s_cbranch_execz .LBB6_5929
; %bb.5928:                             ;   in Loop: Header=BB6_5880 Depth=1
	s_waitcnt lgkmcnt(0)
	s_waitcnt_vscnt null, 0x0
	buffer_gl1_inv
	buffer_gl0_inv
	s_barrier
.LBB6_5929:                             ;   in Loop: Header=BB6_5880 Depth=1
	s_or_b32 exec_lo, exec_lo, s11
.LBB6_5930:                             ;   in Loop: Header=BB6_5880 Depth=1
	s_delay_alu instid0(SALU_CYCLE_1)
	s_or_b32 exec_lo, exec_lo, s10
	s_cbranch_execnz .LBB6_6142
; %bb.5931:                             ;   in Loop: Header=BB6_5880 Depth=1
	ds_load_b32 v15, v0
	v_and_b32_e32 v16, 0x4000, v103
	s_delay_alu instid0(VALU_DEP_1) | instskip(SKIP_1) | instid1(SALU_CYCLE_1)
	v_cmp_ne_u32_e32 vcc_lo, 0, v16
	s_and_b32 s11, s17, vcc_lo
	s_and_saveexec_b32 s10, s11
	s_cbranch_execz .LBB6_5953
; %bb.5932:                             ;   in Loop: Header=BB6_5880 Depth=1
	s_and_saveexec_b32 s11, s3
	s_delay_alu instid0(SALU_CYCLE_1)
	s_xor_b32 s11, exec_lo, s11
	s_cbranch_execz .LBB6_5950
; %bb.5933:                             ;   in Loop: Header=BB6_5880 Depth=1
	s_and_saveexec_b32 s20, s4
	s_cbranch_execz .LBB6_5949
; %bb.5934:                             ;   in Loop: Header=BB6_5880 Depth=1
	s_mov_b32 s22, exec_lo
	s_mov_b32 s21, exec_lo
	v_mbcnt_lo_u32_b32 v16, s22, 0
	s_waitcnt lgkmcnt(0)
	s_waitcnt_vscnt null, 0x0
	buffer_gl1_inv
	buffer_gl0_inv
	v_cmpx_eq_u32_e32 0, v16
	s_cbranch_execz .LBB6_5936
; %bb.5935:                             ;   in Loop: Header=BB6_5880 Depth=1
	s_bcnt1_i32_b32 s22, s22
	s_delay_alu instid0(SALU_CYCLE_1)
	v_dual_mov_b32 v17, v11 :: v_dual_mov_b32 v16, s22
	ds_add_u64 v0, v[16:17]
	s_cbranch_execnz .LBB6_6231
.LBB6_5936:                             ;   in Loop: Header=BB6_5880 Depth=1
	s_or_b32 exec_lo, exec_lo, s21
	s_cbranch_execnz .LBB6_6219
; %bb.5937:                             ;   in Loop: Header=BB6_5880 Depth=1
	ds_load_b64 v[16:17], v0
	v_add_co_u32 v70, vcc_lo, v70, v19
	v_add_co_ci_u32_e32 v71, vcc_lo, 0, v71, vcc_lo
	s_mov_b32 s21, exec_lo
	s_waitcnt lgkmcnt(0)
	s_delay_alu instid0(VALU_DEP_1)
	v_cmpx_lt_u64_e64 v[16:17], v[70:71]
	s_cbranch_execz .LBB6_5948
; %bb.5938:                             ;   in Loop: Header=BB6_5880 Depth=1
	s_mov_b32 s22, 0
	s_mov_b32 s25, 0
                                        ; implicit-def: $sgpr23
                                        ; implicit-def: $sgpr24
	s_branch .LBB6_5940
.LBB6_5939:                             ;   in Loop: Header=BB6_5940 Depth=2
	s_or_b32 exec_lo, exec_lo, s28
	s_delay_alu instid0(SALU_CYCLE_1) | instskip(NEXT) | instid1(SALU_CYCLE_1)
	s_and_b32 s26, exec_lo, s27
	s_or_b32 s22, s26, s22
	s_and_not1_b32 s23, s23, exec_lo
	s_and_b32 s26, s24, exec_lo
	s_delay_alu instid0(SALU_CYCLE_1)
	s_or_b32 s23, s23, s26
	s_and_not1_b32 exec_lo, exec_lo, s22
	s_cbranch_execz .LBB6_5946
.LBB6_5940:                             ;   Parent Loop BB6_5880 Depth=1
                                        ; =>  This Inner Loop Header: Depth=2
	s_add_i32 s25, s25, 1
                                        ; implicit-def: $sgpr27
	s_delay_alu instid0(SALU_CYCLE_1) | instskip(SKIP_1) | instid1(SALU_CYCLE_1)
	s_cmpk_lg_i32 s25, 0x2710
	s_cselect_b32 s26, -1, 0
	s_and_b32 vcc_lo, exec_lo, s26
	s_cbranch_vccz .LBB6_5944
.LBB6_5941:                             ;   in Loop: Header=BB6_5940 Depth=2
	s_and_not1_b32 s24, s24, exec_lo
	s_and_b32 s28, s27, exec_lo
	s_mov_b32 s27, -1
	s_or_b32 s24, s24, s28
	s_and_saveexec_b32 s28, s26
	s_cbranch_execz .LBB6_5939
; %bb.5942:                             ;   in Loop: Header=BB6_5940 Depth=2
	s_sleep 1
	s_cbranch_execnz .LBB6_6263
; %bb.5943:                             ;   in Loop: Header=BB6_5940 Depth=2
	ds_load_b64 v[16:17], v0
	s_and_not1_b32 s24, s24, exec_lo
	s_waitcnt lgkmcnt(0)
	v_cmp_ge_u64_e32 vcc_lo, v[16:17], v[70:71]
	s_or_not1_b32 s27, vcc_lo, exec_lo
	s_branch .LBB6_5939
.LBB6_5944:                             ;   in Loop: Header=BB6_5940 Depth=2
	s_cbranch_execnz .LBB6_6277
; %bb.5945:                             ;   in Loop: Header=BB6_5940 Depth=2
	ds_load_b64 v[16:17], v0
	s_and_not1_b32 s26, s26, exec_lo
	s_mov_b32 s25, 0
	s_mov_b32 s27, -1
	s_waitcnt lgkmcnt(0)
	flat_load_b32 v16, v[16:17] glc
	s_waitcnt vmcnt(0) lgkmcnt(0)
	buffer_gl1_inv
	buffer_gl0_inv
	v_cmp_eq_u32_e32 vcc_lo, 0, v16
	s_and_b32 s28, vcc_lo, exec_lo
	s_delay_alu instid0(SALU_CYCLE_1)
	s_or_b32 s26, s26, s28
	s_branch .LBB6_5941
.LBB6_5946:                             ;   in Loop: Header=BB6_5880 Depth=1
	s_or_b32 exec_lo, exec_lo, s22
	s_and_saveexec_b32 s22, s23
	s_delay_alu instid0(SALU_CYCLE_1)
	s_xor_b32 s22, exec_lo, s22
	s_cbranch_execz .LBB6_5948
; %bb.5947:                             ;   in Loop: Header=BB6_5880 Depth=1
	ds_store_b32 v0, v34
	s_cbranch_execnz .LBB6_6349
.LBB6_5948:                             ;   in Loop: Header=BB6_5880 Depth=1
	s_or_b32 exec_lo, exec_lo, s21
	;;#ASMSTART
	s_wakeup
	;;#ASMEND
.LBB6_5949:                             ;   in Loop: Header=BB6_5880 Depth=1
	s_or_b32 exec_lo, exec_lo, s20
.LBB6_5950:                             ;   in Loop: Header=BB6_5880 Depth=1
	s_and_not1_saveexec_b32 s11, s11
	s_cbranch_execz .LBB6_5952
; %bb.5951:                             ;   in Loop: Header=BB6_5880 Depth=1
	s_waitcnt lgkmcnt(0)
	s_waitcnt_vscnt null, 0x0
	buffer_gl1_inv
	buffer_gl0_inv
	s_barrier
.LBB6_5952:                             ;   in Loop: Header=BB6_5880 Depth=1
	s_or_b32 exec_lo, exec_lo, s11
.LBB6_5953:                             ;   in Loop: Header=BB6_5880 Depth=1
	s_delay_alu instid0(SALU_CYCLE_1)
	s_or_b32 exec_lo, exec_lo, s10
	s_cbranch_execnz .LBB6_6158
; %bb.5954:                             ;   in Loop: Header=BB6_5880 Depth=1
	ds_load_b64 v[16:17], v0
	s_waitcnt lgkmcnt(0)
	v_cmp_eq_u64_e32 vcc_lo, 0, v[16:17]
	s_or_b32 s10, vcc_lo, vcc_lo
	s_delay_alu instid0(SALU_CYCLE_1)
	s_and_b32 vcc_lo, exec_lo, s10
	s_mov_b32 s10, 0
	s_cbranch_vccnz .LBB6_5987
; %bb.5955:                             ;   in Loop: Header=BB6_5880 Depth=1
	s_mov_b32 s10, -1
	s_and_saveexec_b32 s11, s5
	s_cbranch_execz .LBB6_5957
; %bb.5956:                             ;   in Loop: Header=BB6_5880 Depth=1
	ds_load_b32 v16, v0 offset:720
	s_waitcnt lgkmcnt(0)
	v_and_b32_e32 v16, 15, v16
	s_delay_alu instid0(VALU_DEP_1)
	v_cmp_eq_u32_e32 vcc_lo, 0, v16
	s_or_not1_b32 s10, vcc_lo, exec_lo
.LBB6_5957:                             ;   in Loop: Header=BB6_5880 Depth=1
	s_or_b32 exec_lo, exec_lo, s11
	s_and_saveexec_b32 s11, s6
	s_cbranch_execz .LBB6_5959
; %bb.5958:                             ;   in Loop: Header=BB6_5880 Depth=1
	ds_load_b32 v16, v0 offset:784
	s_waitcnt lgkmcnt(0)
	v_and_b32_e32 v16, 15, v16
	s_delay_alu instid0(VALU_DEP_1) | instskip(SKIP_3) | instid1(SALU_CYCLE_1)
	v_cmp_eq_u32_e32 vcc_lo, 0, v16
	s_and_b32 s20, s10, vcc_lo
	s_and_not1_b32 s10, s10, exec_lo
	s_and_b32 s20, s20, exec_lo
	s_or_b32 s10, s10, s20
.LBB6_5959:                             ;   in Loop: Header=BB6_5880 Depth=1
	s_or_b32 exec_lo, exec_lo, s11
	v_cmp_eq_u32_e32 vcc_lo, 0, v15
	s_xor_b32 s10, s10, -1
	v_mov_b32_e32 v49, v20
	v_cndmask_b32_e64 v16, 0, 1, s10
	;;#ASMSTART
	;;#ASMEND
	v_dual_cndmask_b32 v35, 0, v10 :: v_dual_mov_b32 v38, v0
	s_delay_alu instid0(VALU_DEP_2) | instskip(SKIP_2) | instid1(VALU_DEP_3)
	v_cmp_ne_u32_e32 vcc_lo, 0, v16
	v_mov_b32_e32 v37, 0
	s_mov_b32 s10, -1
	v_mov_b32_e32 v36, v35
	s_cbranch_vccnz .LBB6_5975
; %bb.5960:                             ;   in Loop: Header=BB6_5880 Depth=1
	v_lshrrev_b32_e32 v15, 12, v35
	s_mov_b32 s10, exec_lo
	s_delay_alu instid0(VALU_DEP_1) | instskip(NEXT) | instid1(VALU_DEP_1)
	v_sub_nc_u32_e32 v39, v15, v20
	v_cmpx_lt_i32_e32 0, v39
	s_cbranch_execz .LBB6_5965
; %bb.5961:                             ;   in Loop: Header=BB6_5880 Depth=1
	s_cbranch_execnz .LBB6_6247
; %bb.5962:                             ;   in Loop: Header=BB6_5880 Depth=1
	ds_load_b64 v[15:16], v0
	s_mov_b32 s11, 0
	s_waitcnt lgkmcnt(0)
	v_dual_mov_b32 v18, v16 :: v_dual_mov_b32 v17, v15
.LBB6_5963:                             ;   Parent Loop BB6_5880 Depth=1
                                        ; =>  This Inner Loop Header: Depth=2
	s_delay_alu instid0(VALU_DEP_1) | instskip(NEXT) | instid1(VALU_DEP_2)
	v_add_co_u32 v36, vcc_lo, v23, v17
	v_add_co_ci_u32_e32 v37, vcc_lo, v26, v18, vcc_lo
	v_sub_nc_u32_e32 v39, v39, v19
	s_clause 0x7
	global_load_b128 v[48:51], v[36:37], off slc dlc
	global_load_b128 v[84:87], v[36:37], off offset:512 slc dlc
	global_load_b128 v[96:99], v[36:37], off offset:1024 slc dlc
	;; [unrolled: 1-line block ×7, first 2 shown]
	v_add_co_u32 v36, vcc_lo, v23, v15
	v_add_co_ci_u32_e32 v37, vcc_lo, v26, v16, vcc_lo
	v_add_co_u32 v17, vcc_lo, v17, v24
	v_add_co_ci_u32_e32 v18, vcc_lo, v18, v25, vcc_lo
	;; [unrolled: 2-line block ×3, first 2 shown]
	v_cmp_gt_i32_e32 vcc_lo, 1, v39
	s_waitcnt vmcnt(7)
	global_store_b128 v[36:37], v[48:51], off glc slc dlc
	s_waitcnt vmcnt(6)
	global_store_b128 v[36:37], v[84:87], off offset:512 glc slc dlc
	s_waitcnt vmcnt(5)
	global_store_b128 v[36:37], v[96:99], off offset:1024 glc slc dlc
	;; [unrolled: 2-line block ×7, first 2 shown]
	s_or_b32 s11, vcc_lo, s11
	s_delay_alu instid0(SALU_CYCLE_1)
	s_and_not1_b32 exec_lo, exec_lo, s11
	s_cbranch_execnz .LBB6_5963
; %bb.5964:                             ;   in Loop: Header=BB6_5880 Depth=1
	s_or_b32 exec_lo, exec_lo, s11
.LBB6_5965:                             ;   in Loop: Header=BB6_5880 Depth=1
	s_delay_alu instid0(SALU_CYCLE_1) | instskip(SKIP_3) | instid1(VALU_DEP_1)
	s_or_b32 exec_lo, exec_lo, s10
	v_dual_mov_b32 v37, 0 :: v_dual_and_b32 v48, 0x3ffff000, v35
	s_mov_b32 s10, 0
	s_mov_b32 s20, exec_lo
                                        ; implicit-def: $vgpr36
                                        ; implicit-def: $vgpr38
                                        ; implicit-def: $vgpr49
	v_cmpx_ne_u32_e64 v48, v35
	s_cbranch_execz .LBB6_5974
; %bb.5966:                             ;   in Loop: Header=BB6_5880 Depth=1
	v_lshlrev_b32_e32 v15, 5, v39
	v_and_b32_e32 v18, 0xe00, v35
	v_bfe_u32 v38, v35, 9, 3
	s_mov_b32 s21, exec_lo
	s_delay_alu instid0(VALU_DEP_3) | instskip(NEXT) | instid1(VALU_DEP_1)
	v_sub_nc_u32_e32 v15, v22, v15
	v_ashrrev_i32_e32 v16, 31, v15
	s_delay_alu instid0(VALU_DEP_1) | instskip(NEXT) | instid1(VALU_DEP_1)
	v_lshrrev_b32_e32 v16, 27, v16
	v_add_nc_u32_e32 v16, v15, v16
	s_delay_alu instid0(VALU_DEP_1) | instskip(SKIP_1) | instid1(VALU_DEP_2)
	v_and_b32_e32 v17, 0xffffffe0, v16
	v_ashrrev_i32_e32 v16, 5, v16
	v_sub_nc_u32_e32 v17, v15, v17
	v_and_b32_e32 v15, 0xfff, v35
	s_delay_alu instid0(VALU_DEP_2) | instskip(NEXT) | instid1(VALU_DEP_2)
	v_lshlrev_b32_e32 v36, 4, v17
	v_sub_nc_u32_e32 v18, v15, v18
	s_delay_alu instid0(VALU_DEP_2) | instskip(NEXT) | instid1(VALU_DEP_2)
	v_lshl_add_u32 v37, v16, 9, v36
	v_cmp_lt_i32_e32 vcc_lo, 15, v18
	s_delay_alu instid0(VALU_DEP_2) | instskip(SKIP_1) | instid1(VALU_DEP_1)
	v_sub_nc_u32_e32 v36, v15, v37
	v_add_co_ci_u32_e64 v38, s10, 0, v38, vcc_lo
	v_sub_nc_u32_e32 v39, v38, v16
	s_delay_alu instid0(VALU_DEP_3)
	v_cmpx_lt_i32_e32 15, v36
	s_cbranch_execz .LBB6_5971
; %bb.5967:                             ;   in Loop: Header=BB6_5880 Depth=1
	s_cbranch_execnz .LBB6_6301
; %bb.5968:                             ;   in Loop: Header=BB6_5880 Depth=1
	ds_load_b64 v[15:16], v0
	v_add_nc_u32_e32 v37, v37, v48
	s_mov_b32 s22, 0
	s_delay_alu instid0(VALU_DEP_1)
	v_ashrrev_i32_e32 v38, 31, v37
.LBB6_5969:                             ;   Parent Loop BB6_5880 Depth=1
                                        ; =>  This Inner Loop Header: Depth=2
	s_waitcnt lgkmcnt(0)
	v_add_co_u32 v84, s10, v15, v37
	s_delay_alu instid0(VALU_DEP_1)
	v_add_co_ci_u32_e64 v85, s10, v16, v38, s10
	v_sub_nc_u32_e32 v36, v36, v21
	v_add_co_u32 v37, s11, v37, v27
	global_load_b128 v[48:51], v[84:85], off slc dlc
	v_sub_nc_u32_e32 v39, v39, v19
	v_cmp_gt_i32_e64 s10, 16, v36
	v_add_co_ci_u32_e64 v38, s11, v38, v28, s11
	s_delay_alu instid0(VALU_DEP_2)
	s_or_b32 s22, s10, s22
	s_waitcnt vmcnt(0)
	global_store_b128 v[84:85], v[48:51], off glc slc dlc
	s_and_not1_b32 exec_lo, exec_lo, s22
	s_cbranch_execnz .LBB6_5969
; %bb.5970:                             ;   in Loop: Header=BB6_5880 Depth=1
	s_or_b32 exec_lo, exec_lo, s22
.LBB6_5971:                             ;   in Loop: Header=BB6_5880 Depth=1
	s_delay_alu instid0(SALU_CYCLE_1) | instskip(SKIP_3) | instid1(VALU_DEP_1)
	s_or_b32 exec_lo, exec_lo, s21
	v_and_b32_e32 v15, 15, v35
	s_mov_b32 s11, 0
	s_mov_b32 s21, exec_lo
                                        ; implicit-def: $vgpr38
                                        ; implicit-def: $vgpr49
	v_dual_mov_b32 v37, 0 :: v_dual_cndmask_b32 v36, v18, v15
	s_delay_alu instid0(VALU_DEP_1)
	v_cmpx_ne_u32_e32 0, v36
	s_cbranch_execz .LBB6_5973
; %bb.5972:                             ;   in Loop: Header=BB6_5880 Depth=1
	v_cmp_lt_i32_e64 s10, 0, v39
	v_sub_nc_u32_e32 v15, v18, v15
	s_mov_b32 s11, exec_lo
	s_delay_alu instid0(VALU_DEP_2) | instskip(NEXT) | instid1(VALU_DEP_1)
	v_cndmask_b32_e64 v16, 0, v19, s10
	v_sub_nc_u32_e32 v16, v16, v39
	s_delay_alu instid0(VALU_DEP_1) | instskip(SKIP_1) | instid1(VALU_DEP_2)
	v_lshl_add_u32 v38, v16, 5, v17
	v_and_b32_e32 v17, 0x3ffffe00, v35
	v_ashrrev_i32_e32 v16, 31, v38
	s_delay_alu instid0(VALU_DEP_1) | instskip(NEXT) | instid1(VALU_DEP_1)
	v_lshrrev_b32_e32 v16, 27, v16
	v_dual_cndmask_b32 v15, 0, v15 :: v_dual_add_nc_u32 v16, v38, v16
	s_delay_alu instid0(VALU_DEP_1) | instskip(NEXT) | instid1(VALU_DEP_2)
	v_add_nc_u32_e32 v37, v15, v17
	v_ashrrev_i32_e32 v49, 5, v16
.LBB6_5973:                             ;   in Loop: Header=BB6_5880 Depth=1
	s_or_b32 exec_lo, exec_lo, s21
	s_delay_alu instid0(SALU_CYCLE_1)
	s_and_b32 s10, s11, exec_lo
.LBB6_5974:                             ;   in Loop: Header=BB6_5880 Depth=1
	s_or_b32 exec_lo, exec_lo, s20
.LBB6_5975:                             ;   in Loop: Header=BB6_5880 Depth=1
	s_and_saveexec_b32 s11, s10
	s_cbranch_execz .LBB6_5986
; %bb.5976:                             ;   in Loop: Header=BB6_5880 Depth=1
	s_delay_alu instid0(VALU_DEP_1) | instskip(SKIP_1) | instid1(VALU_DEP_1)
	v_ashrrev_i32_e32 v15, 31, v36
	s_mov_b32 s10, exec_lo
	v_lshrrev_b32_e32 v15, 22, v15
	s_delay_alu instid0(VALU_DEP_1) | instskip(NEXT) | instid1(VALU_DEP_1)
	v_add_nc_u32_e32 v15, v36, v15
	v_ashrrev_i32_e32 v48, 10, v15
	s_delay_alu instid0(VALU_DEP_1) | instskip(NEXT) | instid1(VALU_DEP_1)
	v_sub_nc_u32_e32 v39, v48, v49
	v_cmpx_lt_i32_e32 0, v39
	s_cbranch_execz .LBB6_5981
; %bb.5977:                             ;   in Loop: Header=BB6_5880 Depth=1
	s_cbranch_execnz .LBB6_6235
; %bb.5978:                             ;   in Loop: Header=BB6_5880 Depth=1
	v_ashrrev_i32_e32 v15, 31, v38
	s_mov_b32 s20, 0
	s_delay_alu instid0(VALU_DEP_1) | instskip(NEXT) | instid1(VALU_DEP_1)
	v_lshrrev_b32_e32 v15, 27, v15
	v_add_nc_u32_e32 v17, v38, v15
	ds_load_b64 v[15:16], v0
	v_lshlrev_b32_e32 v18, 10, v49
	v_and_b32_e32 v17, 0xffffffe0, v17
	s_delay_alu instid0(VALU_DEP_1) | instskip(NEXT) | instid1(VALU_DEP_1)
	v_sub_nc_u32_e32 v17, v38, v17
	v_add3_u32 v49, v37, v17, v18
	s_delay_alu instid0(VALU_DEP_1)
	v_ashrrev_i32_e32 v50, 31, v49
	s_waitcnt lgkmcnt(0)
	v_dual_mov_b32 v18, v16 :: v_dual_mov_b32 v17, v15
.LBB6_5979:                             ;   Parent Loop BB6_5880 Depth=1
                                        ; =>  This Inner Loop Header: Depth=2
	s_delay_alu instid0(VALU_DEP_1) | instskip(NEXT) | instid1(VALU_DEP_2)
	v_add_co_u32 v84, vcc_lo, v49, v17
	v_add_co_ci_u32_e32 v85, vcc_lo, v50, v18, vcc_lo
	v_sub_nc_u32_e32 v39, v39, v19
	s_clause 0x1f
	flat_load_u8 v51, v[84:85] slc dlc
	flat_load_u8 v86, v[84:85] offset:32 slc dlc
	flat_load_u8 v87, v[84:85] offset:64 slc dlc
	;; [unrolled: 1-line block ×31, first 2 shown]
	v_add_co_u32 v84, vcc_lo, v49, v15
	v_add_co_ci_u32_e32 v85, vcc_lo, v50, v16, vcc_lo
	v_add_co_u32 v17, vcc_lo, v17, v30
	v_add_co_ci_u32_e32 v18, vcc_lo, v18, v32, vcc_lo
	;; [unrolled: 2-line block ×3, first 2 shown]
	v_cmp_gt_i32_e32 vcc_lo, 1, v39
	s_waitcnt vmcnt(31) lgkmcnt(31)
	flat_store_b8 v[84:85], v51 glc slc dlc
	s_waitcnt vmcnt(30) lgkmcnt(31)
	flat_store_b8 v[84:85], v86 offset:32 glc slc dlc
	s_waitcnt vmcnt(29) lgkmcnt(31)
	flat_store_b8 v[84:85], v87 offset:64 glc slc dlc
	;; [unrolled: 2-line block ×31, first 2 shown]
	s_or_b32 s20, vcc_lo, s20
	s_delay_alu instid0(SALU_CYCLE_1)
	s_and_not1_b32 exec_lo, exec_lo, s20
	s_cbranch_execnz .LBB6_5979
; %bb.5980:                             ;   in Loop: Header=BB6_5880 Depth=1
	s_or_b32 exec_lo, exec_lo, s20
.LBB6_5981:                             ;   in Loop: Header=BB6_5880 Depth=1
	s_delay_alu instid0(SALU_CYCLE_1) | instskip(SKIP_1) | instid1(VALU_DEP_1)
	s_or_b32 exec_lo, exec_lo, s10
	v_lshlrev_b32_e32 v15, 10, v48
	v_cmp_ne_u32_e32 vcc_lo, v36, v15
	s_and_b32 exec_lo, exec_lo, vcc_lo
	s_cbranch_execz .LBB6_5986
; %bb.5982:                             ;   in Loop: Header=BB6_5880 Depth=1
	v_ashrrev_i32_e32 v16, 31, v38
	v_lshlrev_b32_e32 v17, 5, v39
	s_delay_alu instid0(VALU_DEP_2) | instskip(NEXT) | instid1(VALU_DEP_1)
	v_lshrrev_b32_e32 v16, 27, v16
	v_add_nc_u32_e32 v16, v38, v16
	s_delay_alu instid0(VALU_DEP_1) | instskip(NEXT) | instid1(VALU_DEP_1)
	v_and_b32_e32 v16, 0xffffffe0, v16
	v_sub_nc_u32_e32 v16, v38, v16
	s_delay_alu instid0(VALU_DEP_1) | instskip(NEXT) | instid1(VALU_DEP_1)
	v_sub_nc_u32_e32 v16, v16, v17
	v_add_nc_u32_e32 v18, v15, v16
	s_delay_alu instid0(VALU_DEP_1) | instskip(NEXT) | instid1(VALU_DEP_1)
	v_sub_nc_u32_e32 v17, v36, v18
	v_cmp_lt_i32_e32 vcc_lo, 0, v17
	s_and_b32 exec_lo, exec_lo, vcc_lo
	s_cbranch_execz .LBB6_5986
; %bb.5983:                             ;   in Loop: Header=BB6_5880 Depth=1
	s_cbranch_execnz .LBB6_6283
; %bb.5984:                             ;   in Loop: Header=BB6_5880 Depth=1
	ds_load_b64 v[15:16], v0
	v_add_nc_u32_e32 v18, v18, v37
	s_mov_b32 s20, 0
	s_delay_alu instid0(VALU_DEP_1)
	v_ashrrev_i32_e32 v36, 31, v18
.LBB6_5985:                             ;   Parent Loop BB6_5880 Depth=1
                                        ; =>  This Inner Loop Header: Depth=2
	s_waitcnt lgkmcnt(0)
	v_add_co_u32 v37, vcc_lo, v15, v18
	s_delay_alu instid0(VALU_DEP_2)
	v_add_co_ci_u32_e32 v38, vcc_lo, v16, v36, vcc_lo
	v_sub_nc_u32_e32 v17, v17, v29
	v_add_co_u32 v18, s10, v18, v29
	flat_load_u8 v39, v[37:38] slc dlc
	v_add_co_ci_u32_e64 v36, s10, v36, v33, s10
	v_cmp_gt_i32_e32 vcc_lo, 1, v17
	s_or_b32 s20, vcc_lo, s20
	s_waitcnt vmcnt(0) lgkmcnt(0)
	flat_store_b8 v[37:38], v39 glc slc dlc
	s_and_not1_b32 exec_lo, exec_lo, s20
	s_cbranch_execnz .LBB6_5985
.LBB6_5986:                             ;   in Loop: Header=BB6_5880 Depth=1
	s_or_b32 exec_lo, exec_lo, s11
	v_cmp_ne_u32_e64 s10, 0, v35
.LBB6_5987:                             ;   in Loop: Header=BB6_5880 Depth=1
	s_and_saveexec_b32 s11, s2
	s_cbranch_execz .LBB6_6009
; %bb.5988:                             ;   in Loop: Header=BB6_5880 Depth=1
	s_and_saveexec_b32 s20, s3
	s_delay_alu instid0(SALU_CYCLE_1)
	s_xor_b32 s20, exec_lo, s20
	s_cbranch_execz .LBB6_6006
; %bb.5989:                             ;   in Loop: Header=BB6_5880 Depth=1
	s_and_saveexec_b32 s21, s4
	s_cbranch_execz .LBB6_6005
; %bb.5990:                             ;   in Loop: Header=BB6_5880 Depth=1
	s_mov_b32 s23, exec_lo
	s_mov_b32 s22, exec_lo
	v_mbcnt_lo_u32_b32 v15, s23, 0
	s_waitcnt lgkmcnt(0)
	s_waitcnt_vscnt null, 0x0
	buffer_gl1_inv
	buffer_gl0_inv
	v_cmpx_eq_u32_e32 0, v15
	s_cbranch_execz .LBB6_5992
; %bb.5991:                             ;   in Loop: Header=BB6_5880 Depth=1
	s_bcnt1_i32_b32 s23, s23
	s_delay_alu instid0(SALU_CYCLE_1)
	v_dual_mov_b32 v16, v11 :: v_dual_mov_b32 v15, s23
	ds_add_u64 v0, v[15:16]
	s_cbranch_execnz .LBB6_6265
.LBB6_5992:                             ;   in Loop: Header=BB6_5880 Depth=1
	s_or_b32 exec_lo, exec_lo, s22
	s_cbranch_execnz .LBB6_6251
; %bb.5993:                             ;   in Loop: Header=BB6_5880 Depth=1
	ds_load_b64 v[15:16], v0
	v_add_co_u32 v70, vcc_lo, v70, v19
	v_add_co_ci_u32_e32 v71, vcc_lo, 0, v71, vcc_lo
	s_mov_b32 s22, exec_lo
	s_waitcnt lgkmcnt(0)
	s_delay_alu instid0(VALU_DEP_1)
	v_cmpx_lt_u64_e64 v[15:16], v[70:71]
	s_cbranch_execz .LBB6_6004
; %bb.5994:                             ;   in Loop: Header=BB6_5880 Depth=1
	s_mov_b32 s23, 0
	s_mov_b32 s26, 0
                                        ; implicit-def: $sgpr24
                                        ; implicit-def: $sgpr25
	s_branch .LBB6_5996
.LBB6_5995:                             ;   in Loop: Header=BB6_5996 Depth=2
	s_or_b32 exec_lo, exec_lo, s29
	s_delay_alu instid0(SALU_CYCLE_1) | instskip(NEXT) | instid1(SALU_CYCLE_1)
	s_and_b32 s27, exec_lo, s28
	s_or_b32 s23, s27, s23
	s_and_not1_b32 s24, s24, exec_lo
	s_and_b32 s27, s25, exec_lo
	s_delay_alu instid0(SALU_CYCLE_1)
	s_or_b32 s24, s24, s27
	s_and_not1_b32 exec_lo, exec_lo, s23
	s_cbranch_execz .LBB6_6002
.LBB6_5996:                             ;   Parent Loop BB6_5880 Depth=1
                                        ; =>  This Inner Loop Header: Depth=2
	s_add_i32 s26, s26, 1
                                        ; implicit-def: $sgpr28
	s_delay_alu instid0(SALU_CYCLE_1) | instskip(SKIP_1) | instid1(SALU_CYCLE_1)
	s_cmpk_lg_i32 s26, 0x2710
	s_cselect_b32 s27, -1, 0
	s_and_b32 vcc_lo, exec_lo, s27
	s_cbranch_vccz .LBB6_6000
.LBB6_5997:                             ;   in Loop: Header=BB6_5996 Depth=2
	s_and_not1_b32 s25, s25, exec_lo
	s_and_b32 s29, s28, exec_lo
	s_mov_b32 s28, -1
	s_or_b32 s25, s25, s29
	s_and_saveexec_b32 s29, s27
	s_cbranch_execz .LBB6_5995
; %bb.5998:                             ;   in Loop: Header=BB6_5996 Depth=2
	s_sleep 1
	s_cbranch_execnz .LBB6_6315
; %bb.5999:                             ;   in Loop: Header=BB6_5996 Depth=2
	ds_load_b64 v[15:16], v0
	s_and_not1_b32 s25, s25, exec_lo
	s_waitcnt lgkmcnt(0)
	v_cmp_ge_u64_e32 vcc_lo, v[15:16], v[70:71]
	s_or_not1_b32 s28, vcc_lo, exec_lo
	s_branch .LBB6_5995
.LBB6_6000:                             ;   in Loop: Header=BB6_5996 Depth=2
	s_cbranch_execnz .LBB6_6325
; %bb.6001:                             ;   in Loop: Header=BB6_5996 Depth=2
	ds_load_b64 v[15:16], v0
	s_and_not1_b32 s27, s27, exec_lo
	s_mov_b32 s26, 0
	s_mov_b32 s28, -1
	s_waitcnt lgkmcnt(0)
	flat_load_b32 v15, v[15:16] glc
	s_waitcnt vmcnt(0) lgkmcnt(0)
	buffer_gl1_inv
	buffer_gl0_inv
	v_cmp_eq_u32_e32 vcc_lo, 0, v15
	s_and_b32 s29, vcc_lo, exec_lo
	s_delay_alu instid0(SALU_CYCLE_1)
	s_or_b32 s27, s27, s29
	s_branch .LBB6_5997
.LBB6_6002:                             ;   in Loop: Header=BB6_5880 Depth=1
	s_or_b32 exec_lo, exec_lo, s23
	s_and_saveexec_b32 s23, s24
	s_delay_alu instid0(SALU_CYCLE_1)
	s_xor_b32 s23, exec_lo, s23
	s_cbranch_execz .LBB6_6004
; %bb.6003:                             ;   in Loop: Header=BB6_5880 Depth=1
	ds_store_b32 v0, v34
	s_cbranch_execnz .LBB6_6359
.LBB6_6004:                             ;   in Loop: Header=BB6_5880 Depth=1
	s_or_b32 exec_lo, exec_lo, s22
	;;#ASMSTART
	s_wakeup
	;;#ASMEND
.LBB6_6005:                             ;   in Loop: Header=BB6_5880 Depth=1
	s_or_b32 exec_lo, exec_lo, s21
.LBB6_6006:                             ;   in Loop: Header=BB6_5880 Depth=1
	s_and_not1_saveexec_b32 s20, s20
	s_cbranch_execz .LBB6_6008
; %bb.6007:                             ;   in Loop: Header=BB6_5880 Depth=1
	s_waitcnt lgkmcnt(0)
	s_waitcnt_vscnt null, 0x0
	buffer_gl1_inv
	buffer_gl0_inv
	s_barrier
.LBB6_6008:                             ;   in Loop: Header=BB6_5880 Depth=1
	s_or_b32 exec_lo, exec_lo, s20
.LBB6_6009:                             ;   in Loop: Header=BB6_5880 Depth=1
	s_delay_alu instid0(SALU_CYCLE_1) | instskip(SKIP_1) | instid1(VALU_DEP_1)
	s_or_b32 exec_lo, exec_lo, s11
	v_and_b32_e32 v15, 16, v103
	v_cmp_ne_u32_e32 vcc_lo, 0, v15
	s_and_b32 s11, vcc_lo, s10
	s_delay_alu instid0(SALU_CYCLE_1)
	s_and_saveexec_b32 s10, s11
	s_cbranch_execz .LBB6_6011
; %bb.6010:                             ;   in Loop: Header=BB6_5880 Depth=1
	s_waitcnt lgkmcnt(0)
	s_waitcnt_vscnt null, 0x0
	buffer_gl1_inv
	buffer_gl0_inv
.LBB6_6011:                             ;   in Loop: Header=BB6_5880 Depth=1
	s_or_b32 exec_lo, exec_lo, s10
	s_delay_alu instid0(SALU_CYCLE_1)
	s_mov_b32 s10, exec_lo
	v_cmpx_ne_u32_e32 0, v15
	s_cbranch_execz .LBB6_6015
; %bb.6012:                             ;   in Loop: Header=BB6_5880 Depth=1
	s_and_saveexec_b32 s11, s7
	s_cbranch_execz .LBB6_6014
; %bb.6013:                             ;   in Loop: Header=BB6_5880 Depth=1
	s_waitcnt lgkmcnt(0)
	s_waitcnt_vscnt null, 0x0
	flat_store_b32 v[82:83], v34
.LBB6_6014:                             ;   in Loop: Header=BB6_5880 Depth=1
	s_or_b32 exec_lo, exec_lo, s11
	v_add_co_u32 v8, vcc_lo, v8, 1
	v_add_co_ci_u32_e32 v9, vcc_lo, 0, v9, vcc_lo
	s_waitcnt lgkmcnt(0)
	s_waitcnt_vscnt null, 0x0
	flat_store_b64 v[64:65], v[8:9]
.LBB6_6015:                             ;   in Loop: Header=BB6_5880 Depth=1
	s_or_b32 exec_lo, exec_lo, s10
	v_mov_b32_e32 v17, v10
.LBB6_6016:                             ;   in Loop: Header=BB6_5880 Depth=1
	s_or_b32 exec_lo, exec_lo, s19
	s_and_saveexec_b32 s11, s18
	s_cbranch_execz .LBB6_6071
; %bb.6017:                             ;   in Loop: Header=BB6_5880 Depth=1
	v_and_b32_e32 v15, 8, v103
	s_mov_b32 s18, -1
	s_mov_b32 s10, exec_lo
	s_delay_alu instid0(VALU_DEP_1)
	v_cmpx_ne_u32_e32 0, v15
	s_cbranch_execz .LBB6_6031
; %bb.6018:                             ;   in Loop: Header=BB6_5880 Depth=1
	v_add_co_u32 v35, vcc_lo, v68, 8
	v_add_co_ci_u32_e32 v36, vcc_lo, 0, v69, vcc_lo
	v_add_co_u32 v15, vcc_lo, v8, 1
	v_add_co_ci_u32_e32 v16, vcc_lo, 0, v9, vcc_lo
	v_mov_b32_e32 v18, 1
	s_mov_b32 s18, exec_lo
	s_delay_alu instid0(VALU_DEP_2)
	v_cmpx_lt_u64_e64 v[35:36], v[15:16]
	s_cbranch_execz .LBB6_6030
; %bb.6019:                             ;   in Loop: Header=BB6_5880 Depth=1
	v_mov_b32_e32 v18, 0
	s_mov_b32 s19, 0
                                        ; implicit-def: $sgpr20
	s_branch .LBB6_6023
.LBB6_6020:                             ;   in Loop: Header=BB6_6023 Depth=2
	s_or_b32 exec_lo, exec_lo, s24
	v_mov_b32_e32 v35, 0
	s_or_not1_b32 s23, s23, exec_lo
.LBB6_6021:                             ;   in Loop: Header=BB6_6023 Depth=2
	s_or_b32 exec_lo, exec_lo, s22
	s_delay_alu instid0(VALU_DEP_1) | instskip(SKIP_2) | instid1(SALU_CYCLE_1)
	v_mov_b32_e32 v18, v35
	s_and_not1_b32 s20, s20, exec_lo
	s_and_b32 s22, s23, exec_lo
	s_or_b32 s20, s20, s22
.LBB6_6022:                             ;   in Loop: Header=BB6_6023 Depth=2
	s_or_b32 exec_lo, exec_lo, s21
	s_waitcnt vmcnt(0) lgkmcnt(0)
	v_add_co_u32 v35, vcc_lo, v68, 8
	v_add_co_ci_u32_e32 v36, vcc_lo, 0, v69, vcc_lo
	s_xor_b32 s21, s20, -1
	s_delay_alu instid0(VALU_DEP_1) | instskip(SKIP_1) | instid1(SALU_CYCLE_1)
	v_cmp_ge_u64_e32 vcc_lo, v[35:36], v[15:16]
	s_or_b32 s21, s21, vcc_lo
	s_and_b32 s21, exec_lo, s21
	s_delay_alu instid0(SALU_CYCLE_1) | instskip(NEXT) | instid1(SALU_CYCLE_1)
	s_or_b32 s19, s21, s19
	s_and_not1_b32 exec_lo, exec_lo, s19
	s_cbranch_execz .LBB6_6029
.LBB6_6023:                             ;   Parent Loop BB6_5880 Depth=1
                                        ; =>  This Inner Loop Header: Depth=2
	s_sleep 1
	flat_load_b64 v[68:69], v[64:65] glc
	v_and_b32_e32 v35, 64, v103
	s_and_not1_b32 s20, s20, exec_lo
	s_mov_b32 s21, exec_lo
	s_delay_alu instid0(VALU_DEP_1)
	v_cmpx_eq_u32_e32 0, v35
	s_cbranch_execz .LBB6_6022
; %bb.6024:                             ;   in Loop: Header=BB6_6023 Depth=2
	v_add_nc_u32_e32 v35, 1, v18
	s_mov_b32 s23, -1
	s_mov_b32 s22, exec_lo
	v_cmpx_lt_i32_e32 0x270e, v18
	s_cbranch_execz .LBB6_6021
; %bb.6025:                             ;   in Loop: Header=BB6_6023 Depth=2
	s_cbranch_execnz .LBB6_6160
; %bb.6026:                             ;   in Loop: Header=BB6_6023 Depth=2
	ds_load_b64 v[35:36], v0
	s_mov_b32 s24, exec_lo
	s_waitcnt vmcnt(0) lgkmcnt(0)
	s_waitcnt_vscnt null, 0x0
	flat_load_b32 v18, v[35:36] glc
	s_waitcnt vmcnt(0) lgkmcnt(0)
	buffer_gl1_inv
	buffer_gl0_inv
	v_cmpx_ne_u32_e32 0, v18
	s_cbranch_execz .LBB6_6020
; %bb.6027:                             ;   in Loop: Header=BB6_6023 Depth=2
	ds_store_b32 v0, v18
	s_cbranch_execnz .LBB6_6197
; %bb.6028:                             ;   in Loop: Header=BB6_6023 Depth=2
	v_or_b32_e32 v103, 64, v103
	s_xor_b32 s23, exec_lo, -1
	s_branch .LBB6_6020
.LBB6_6029:                             ;   in Loop: Header=BB6_5880 Depth=1
	s_or_b32 exec_lo, exec_lo, s19
	v_and_b32_e32 v18, 8, v103
.LBB6_6030:                             ;   in Loop: Header=BB6_5880 Depth=1
	s_or_b32 exec_lo, exec_lo, s18
	s_delay_alu instid0(VALU_DEP_1)
	v_cmp_eq_u32_e32 vcc_lo, 0, v18
	;;#ASMSTART
	s_wakeup
	;;#ASMEND
	s_or_not1_b32 s18, vcc_lo, exec_lo
.LBB6_6031:                             ;   in Loop: Header=BB6_5880 Depth=1
	s_or_b32 exec_lo, exec_lo, s10
	v_sub_nc_u32_e32 v14, v14, v17
	s_xor_b32 s10, s18, -1
	s_delay_alu instid0(VALU_DEP_1)
	v_min_i32_e32 v14, v10, v14
	s_and_saveexec_b32 s18, s10
	s_cbranch_execz .LBB6_6041
; %bb.6032:                             ;   in Loop: Header=BB6_5880 Depth=1
	v_and_b32_e32 v10, 0x100, v103
	s_mov_b32 s10, -1
                                        ; implicit-def: $vgpr15_vgpr16
	s_delay_alu instid0(VALU_DEP_1)
	v_cmp_ne_u32_e32 vcc_lo, 0, v10
	v_and_b32_e32 v10, 7, v8
	s_and_saveexec_b32 s19, vcc_lo
	s_cbranch_execz .LBB6_6036
; %bb.6033:                             ;   in Loop: Header=BB6_5880 Depth=1
	s_delay_alu instid0(VALU_DEP_1)
	v_mad_u64_u32 v[17:18], null, v10, 24, v[6:7]
	v_ashrrev_i32_e32 v15, 31, v14
	flat_load_b32 v16, v[17:18]
	flat_store_b64 v[17:18], v[14:15] offset:8
	s_waitcnt vmcnt(0) lgkmcnt(1)
	v_cmp_ne_u32_e32 vcc_lo, 1, v16
	v_cmp_eq_u32_e64 s10, 1, v16
                                        ; implicit-def: $vgpr15_vgpr16
	s_delay_alu instid0(VALU_DEP_1)
	s_and_saveexec_b32 s20, s10
	s_cbranch_execz .LBB6_6035
; %bb.6034:                             ;   in Loop: Header=BB6_5880 Depth=1
	flat_load_b32 v15, v[17:18] offset:4 glc
	s_waitcnt vmcnt(0) lgkmcnt(0)
	v_ashrrev_i32_e32 v16, 31, v15
.LBB6_6035:                             ;   in Loop: Header=BB6_5880 Depth=1
	s_or_b32 exec_lo, exec_lo, s20
	s_delay_alu instid0(SALU_CYCLE_1)
	s_or_not1_b32 s10, vcc_lo, exec_lo
.LBB6_6036:                             ;   in Loop: Header=BB6_5880 Depth=1
	s_or_b32 exec_lo, exec_lo, s19
	s_and_saveexec_b32 s19, s10
; %bb.6037:                             ;   in Loop: Header=BB6_5880 Depth=1
	v_mad_i64_i32 v[15:16], null, v10, v113, 0
; %bb.6038:                             ;   in Loop: Header=BB6_5880 Depth=1
	s_or_b32 exec_lo, exec_lo, s19
	s_delay_alu instid0(VALU_DEP_1) | instskip(SKIP_1) | instid1(VALU_DEP_3)
	v_add_co_u32 v15, vcc_lo, v66, v15
	v_and_b32_e32 v10, 0x2000, v103
	v_add_co_ci_u32_e32 v16, vcc_lo, v67, v16, vcc_lo
	s_mov_b32 s10, exec_lo
	ds_store_b64 v0, v[15:16] offset:784
	v_cmpx_ne_u32_e32 0, v10
	s_cbranch_execz .LBB6_6040
; %bb.6039:                             ;   in Loop: Header=BB6_5880 Depth=1
	ds_load_b64 v[15:16], v0 offset:584
	s_waitcnt lgkmcnt(0)
	v_add_co_u32 v15, vcc_lo, v15, 1
	v_add_co_ci_u32_e32 v16, vcc_lo, 0, v16, vcc_lo
	ds_store_b64 v0, v[15:16] offset:584
.LBB6_6040:                             ;   in Loop: Header=BB6_5880 Depth=1
	s_or_b32 exec_lo, exec_lo, s10
	v_add_co_u32 v8, vcc_lo, v8, 1
	v_add_co_ci_u32_e32 v9, vcc_lo, 0, v9, vcc_lo
.LBB6_6041:                             ;   in Loop: Header=BB6_5880 Depth=1
	s_or_b32 exec_lo, exec_lo, s18
	s_and_saveexec_b32 s10, s2
	s_cbranch_execz .LBB6_6063
; %bb.6042:                             ;   in Loop: Header=BB6_5880 Depth=1
	s_and_saveexec_b32 s18, s3
	s_delay_alu instid0(SALU_CYCLE_1)
	s_xor_b32 s18, exec_lo, s18
	s_cbranch_execz .LBB6_6060
; %bb.6043:                             ;   in Loop: Header=BB6_5880 Depth=1
	s_and_saveexec_b32 s19, s4
	s_cbranch_execz .LBB6_6059
; %bb.6044:                             ;   in Loop: Header=BB6_5880 Depth=1
	s_mov_b32 s21, exec_lo
	s_mov_b32 s20, exec_lo
	v_mbcnt_lo_u32_b32 v10, s21, 0
	s_waitcnt lgkmcnt(0)
	s_waitcnt_vscnt null, 0x0
	buffer_gl1_inv
	buffer_gl0_inv
	v_cmpx_eq_u32_e32 0, v10
	s_cbranch_execz .LBB6_6046
; %bb.6045:                             ;   in Loop: Header=BB6_5880 Depth=1
	s_bcnt1_i32_b32 s21, s21
	s_delay_alu instid0(SALU_CYCLE_1)
	v_mov_b32_e32 v10, s21
	ds_add_u64 v0, v[10:11]
	s_cbranch_execnz .LBB6_6213
.LBB6_6046:                             ;   in Loop: Header=BB6_5880 Depth=1
	s_or_b32 exec_lo, exec_lo, s20
	s_cbranch_execnz .LBB6_6201
; %bb.6047:                             ;   in Loop: Header=BB6_5880 Depth=1
	ds_load_b64 v[15:16], v0
	v_add_co_u32 v70, vcc_lo, v70, v19
	v_add_co_ci_u32_e32 v71, vcc_lo, 0, v71, vcc_lo
	s_mov_b32 s20, exec_lo
	s_waitcnt lgkmcnt(0)
	s_delay_alu instid0(VALU_DEP_1)
	v_cmpx_lt_u64_e64 v[15:16], v[70:71]
	s_cbranch_execz .LBB6_6058
; %bb.6048:                             ;   in Loop: Header=BB6_5880 Depth=1
	s_mov_b32 s21, 0
	s_mov_b32 s24, 0
                                        ; implicit-def: $sgpr22
                                        ; implicit-def: $sgpr23
	s_branch .LBB6_6050
.LBB6_6049:                             ;   in Loop: Header=BB6_6050 Depth=2
	s_or_b32 exec_lo, exec_lo, s27
	s_delay_alu instid0(SALU_CYCLE_1) | instskip(NEXT) | instid1(SALU_CYCLE_1)
	s_and_b32 s25, exec_lo, s26
	s_or_b32 s21, s25, s21
	s_and_not1_b32 s22, s22, exec_lo
	s_and_b32 s25, s23, exec_lo
	s_delay_alu instid0(SALU_CYCLE_1)
	s_or_b32 s22, s22, s25
	s_and_not1_b32 exec_lo, exec_lo, s21
	s_cbranch_execz .LBB6_6056
.LBB6_6050:                             ;   Parent Loop BB6_5880 Depth=1
                                        ; =>  This Inner Loop Header: Depth=2
	s_add_i32 s24, s24, 1
                                        ; implicit-def: $sgpr26
	s_delay_alu instid0(SALU_CYCLE_1) | instskip(SKIP_1) | instid1(SALU_CYCLE_1)
	s_cmpk_lg_i32 s24, 0x2710
	s_cselect_b32 s25, -1, 0
	s_and_b32 vcc_lo, exec_lo, s25
	s_cbranch_vccz .LBB6_6054
.LBB6_6051:                             ;   in Loop: Header=BB6_6050 Depth=2
	s_and_not1_b32 s23, s23, exec_lo
	s_and_b32 s27, s26, exec_lo
	s_mov_b32 s26, -1
	s_or_b32 s23, s23, s27
	s_and_saveexec_b32 s27, s25
	s_cbranch_execz .LBB6_6049
; %bb.6052:                             ;   in Loop: Header=BB6_6050 Depth=2
	s_sleep 1
	s_cbranch_execnz .LBB6_6249
; %bb.6053:                             ;   in Loop: Header=BB6_6050 Depth=2
	ds_load_b64 v[15:16], v0
	s_and_not1_b32 s23, s23, exec_lo
	s_waitcnt lgkmcnt(0)
	v_cmp_ge_u64_e32 vcc_lo, v[15:16], v[70:71]
	s_or_not1_b32 s26, vcc_lo, exec_lo
	s_branch .LBB6_6049
.LBB6_6054:                             ;   in Loop: Header=BB6_6050 Depth=2
	s_cbranch_execnz .LBB6_6253
; %bb.6055:                             ;   in Loop: Header=BB6_6050 Depth=2
	ds_load_b64 v[15:16], v0
	s_and_not1_b32 s25, s25, exec_lo
	s_mov_b32 s24, 0
	s_mov_b32 s26, -1
	s_waitcnt lgkmcnt(0)
	flat_load_b32 v10, v[15:16] glc
	s_waitcnt vmcnt(0) lgkmcnt(0)
	buffer_gl1_inv
	buffer_gl0_inv
	v_cmp_eq_u32_e32 vcc_lo, 0, v10
	s_and_b32 s27, vcc_lo, exec_lo
	s_delay_alu instid0(SALU_CYCLE_1)
	s_or_b32 s25, s25, s27
	s_branch .LBB6_6051
.LBB6_6056:                             ;   in Loop: Header=BB6_5880 Depth=1
	s_or_b32 exec_lo, exec_lo, s21
	s_and_saveexec_b32 s21, s22
	s_delay_alu instid0(SALU_CYCLE_1)
	s_xor_b32 s21, exec_lo, s21
	s_cbranch_execz .LBB6_6058
; %bb.6057:                             ;   in Loop: Header=BB6_5880 Depth=1
	ds_store_b32 v0, v34
	s_cbranch_execnz .LBB6_6343
.LBB6_6058:                             ;   in Loop: Header=BB6_5880 Depth=1
	s_or_b32 exec_lo, exec_lo, s20
	;;#ASMSTART
	s_wakeup
	;;#ASMEND
.LBB6_6059:                             ;   in Loop: Header=BB6_5880 Depth=1
	s_or_b32 exec_lo, exec_lo, s19
.LBB6_6060:                             ;   in Loop: Header=BB6_5880 Depth=1
	s_and_not1_saveexec_b32 s18, s18
	s_cbranch_execz .LBB6_6062
; %bb.6061:                             ;   in Loop: Header=BB6_5880 Depth=1
	s_waitcnt lgkmcnt(0)
	s_waitcnt_vscnt null, 0x0
	buffer_gl1_inv
	buffer_gl0_inv
	s_barrier
.LBB6_6062:                             ;   in Loop: Header=BB6_5880 Depth=1
	s_or_b32 exec_lo, exec_lo, s18
.LBB6_6063:                             ;   in Loop: Header=BB6_5880 Depth=1
	s_delay_alu instid0(SALU_CYCLE_1)
	s_or_b32 exec_lo, exec_lo, s10
	s_cbranch_execnz .LBB6_6146
; %bb.6064:                             ;   in Loop: Header=BB6_5880 Depth=1
	ds_load_b32 v10, v0
	v_cmp_lt_i32_e32 vcc_lo, 0, v14
	s_waitcnt lgkmcnt(0)
	v_readfirstlane_b32 s10, v10
	v_and_b32_e32 v10, 16, v103
	s_delay_alu instid0(VALU_DEP_2) | instskip(NEXT) | instid1(VALU_DEP_1)
	s_cmp_eq_u32 s10, 0
	v_cmp_ne_u32_e64 s10, 0, v10
	s_cselect_b32 s18, -1, 0
	s_delay_alu instid0(SALU_CYCLE_1)
	s_and_b32 s18, vcc_lo, s18
	s_delay_alu instid0(VALU_DEP_1) | instid1(SALU_CYCLE_1)
	s_and_b32 s18, s10, s18
	s_delay_alu instid0(SALU_CYCLE_1)
	s_and_saveexec_b32 s10, s18
	s_cbranch_execz .LBB6_6066
; %bb.6065:                             ;   in Loop: Header=BB6_5880 Depth=1
	s_waitcnt_vscnt null, 0x0
	buffer_gl1_inv
	buffer_gl0_inv
.LBB6_6066:                             ;   in Loop: Header=BB6_5880 Depth=1
	s_or_b32 exec_lo, exec_lo, s10
	s_delay_alu instid0(SALU_CYCLE_1)
	s_mov_b32 s10, exec_lo
	v_cmpx_ne_u32_e32 0, v10
	s_cbranch_execz .LBB6_6070
; %bb.6067:                             ;   in Loop: Header=BB6_5880 Depth=1
	s_and_saveexec_b32 s18, s7
	s_cbranch_execz .LBB6_6069
; %bb.6068:                             ;   in Loop: Header=BB6_5880 Depth=1
	s_waitcnt_vscnt null, 0x0
	flat_store_b32 v[82:83], v34
.LBB6_6069:                             ;   in Loop: Header=BB6_5880 Depth=1
	s_or_b32 exec_lo, exec_lo, s18
	v_add_co_u32 v8, vcc_lo, v8, 1
	v_add_co_ci_u32_e32 v9, vcc_lo, 0, v9, vcc_lo
	s_waitcnt lgkmcnt(0)
	s_waitcnt_vscnt null, 0x0
	flat_store_b64 v[64:65], v[8:9]
.LBB6_6070:                             ;   in Loop: Header=BB6_5880 Depth=1
	s_or_b32 exec_lo, exec_lo, s10
.LBB6_6071:                             ;   in Loop: Header=BB6_5880 Depth=1
	s_delay_alu instid0(SALU_CYCLE_1) | instskip(SKIP_2) | instid1(VALU_DEP_1)
	s_or_b32 exec_lo, exec_lo, s11
	v_add_co_u32 v12, vcc_lo, v12, v80
	v_add_co_ci_u32_e32 v13, vcc_lo, 0, v13, vcc_lo
	v_cmp_ge_u64_e32 vcc_lo, v[12:13], v[4:5]
	s_or_b32 s14, vcc_lo, s14
	s_delay_alu instid0(SALU_CYCLE_1)
	s_and_not1_b32 exec_lo, exec_lo, s14
	s_cbranch_execnz .LBB6_5880
; %bb.6072:
	s_or_b32 exec_lo, exec_lo, s14
.LBB6_6073:
	s_delay_alu instid0(SALU_CYCLE_1)
	s_or_b32 exec_lo, exec_lo, s15
.LBB6_6074:
	s_delay_alu instid0(SALU_CYCLE_1) | instskip(SKIP_2) | instid1(VALU_DEP_1)
	s_or_b32 exec_lo, exec_lo, s12
	v_and_b32_e32 v0, 0x800, v103
	s_mov_b32 s0, exec_lo
	v_cmpx_eq_u32_e32 0, v0
	s_cbranch_execz .LBB6_6297
; %bb.6075:
	v_and_b32_e32 v0, 48, v103
	s_mov_b32 s1, exec_lo
	s_delay_alu instid0(VALU_DEP_1)
	v_cmpx_ne_u32_e32 0, v0
	s_cbranch_execz .LBB6_6077
; %bb.6076:
	s_waitcnt lgkmcnt(0)
	flat_store_b64 v[54:55], v[8:9] offset:104
.LBB6_6077:
	s_or_b32 exec_lo, exec_lo, s1
	v_and_b32_e32 v0, 0x88, v103
	s_mov_b32 s1, exec_lo
	s_delay_alu instid0(VALU_DEP_1)
	v_cmpx_eq_u32_e32 0x88, v0
	s_cbranch_execz .LBB6_6127
; %bb.6078:
	s_waitcnt lgkmcnt(0)
	v_add_nc_u32_e32 v0, -1, v8
	s_mov_b32 s2, 0
                                        ; implicit-def: $sgpr3
	s_delay_alu instid0(VALU_DEP_1) | instskip(NEXT) | instid1(VALU_DEP_1)
	v_and_b32_e32 v0, 7, v0
	v_mad_u64_u32 v[4:5], null, v0, 24, v[6:7]
	v_mov_b32_e32 v0, 0
	s_delay_alu instid0(VALU_DEP_2) | instskip(NEXT) | instid1(VALU_DEP_3)
	v_add_co_u32 v4, vcc_lo, v4, 8
	v_add_co_ci_u32_e32 v5, vcc_lo, 0, v5, vcc_lo
	s_branch .LBB6_6111
.LBB6_6079:
	s_trap 2
	s_sendmsg_rtn_b32 s0, sendmsg(MSG_RTN_GET_DOORBELL)
	s_mov_b32 ttmp2, m0
	s_waitcnt lgkmcnt(0)
	s_and_b32 s0, s0, 0x3ff
	s_delay_alu instid0(SALU_CYCLE_1) | instskip(NEXT) | instid1(SALU_CYCLE_1)
	s_bitset1_b32 s0, 10
	s_mov_b32 m0, s0
	s_sendmsg sendmsg(MSG_INTERRUPT)
	s_mov_b32 m0, ttmp2
.LBB6_6080:                             ; =>This Inner Loop Header: Depth=1
	s_sethalt 5
	s_branch .LBB6_6080
.LBB6_6081:
	v_bfe_u32 v10, v6, 8, 8
	v_not_b32_e32 v8, v8
	s_mov_b32 s1, exec_lo
                                        ; implicit-def: $vgpr17_vgpr18
                                        ; implicit-def: $vgpr4_vgpr5
                                        ; implicit-def: $vgpr52_vgpr53
	s_delay_alu instid0(VALU_DEP_2)
	v_cmpx_ne_u32_e64 v10, v9
	s_xor_b32 s1, exec_lo, s1
	s_cbranch_execz .LBB6_6083
; %bb.6082:
	s_clause 0x1
	flat_load_b128 v[4:7], v[2:3] offset:72
	flat_load_b64 v[10:11], v[2:3] offset:96
	v_add_nc_u32_e32 v8, v9, v8
	s_delay_alu instid0(VALU_DEP_1) | instskip(SKIP_1) | instid1(VALU_DEP_1)
	v_ashrrev_i32_e32 v9, 31, v8
	s_waitcnt vmcnt(1) lgkmcnt(1)
	v_mul_lo_u32 v9, v6, v9
	v_mad_u64_u32 v[52:53], null, v6, v8, v[4:5]
	v_mul_lo_u32 v4, v7, v8
	s_waitcnt vmcnt(0) lgkmcnt(0)
	v_lshrrev_b64 v[17:18], 12, v[10:11]
                                        ; implicit-def: $vgpr10
                                        ; implicit-def: $vgpr8
	s_delay_alu instid0(VALU_DEP_2)
	v_add3_u32 v53, v4, v53, v9
	v_dual_mov_b32 v4, v6 :: v_dual_mov_b32 v5, v7
.LBB6_6083:
	s_and_not1_saveexec_b32 s1, s1
	s_cbranch_execz .LBB6_6085
; %bb.6084:
	s_clause 0x1
	flat_load_b128 v[17:20], v[2:3] offset:72
	flat_load_b128 v[4:7], v[2:3] offset:88
	s_waitcnt vmcnt(0) lgkmcnt(0)
	v_add_nc_u32_e32 v6, v10, v8
	s_delay_alu instid0(VALU_DEP_1) | instskip(NEXT) | instid1(VALU_DEP_1)
	v_ashrrev_i32_e32 v8, 31, v6
	v_mul_lo_u32 v8, v19, v8
	v_mad_u64_u32 v[52:53], null, v19, v6, v[17:18]
	v_mul_lo_u32 v6, v20, v6
	v_lshrrev_b32_e32 v17, 1, v7
	s_delay_alu instid0(VALU_DEP_2)
	v_add3_u32 v53, v6, v53, v8
.LBB6_6085:
	s_or_b32 exec_lo, exec_lo, s1
	s_and_not1_saveexec_b32 s0, s0
	s_cbranch_execnz .LBB6_6086
; %bb.6459:
	s_getpc_b64 s[34:35]
.Lpost_getpc83:
	s_add_u32 s34, s34, (.LBB6_3-.Lpost_getpc83)&4294967295
	s_addc_u32 s35, s35, (.LBB6_3-.Lpost_getpc83)>>32
	s_setpc_b64 s[34:35]
.LBB6_6086:
	s_clause 0x1
	flat_load_b64 v[6:7], v[2:3] offset:96
	flat_load_b64 v[4:5], v[2:3] offset:72
	v_mov_b32_e32 v52, 0
	v_mov_b32_e32 v53, 0
	s_waitcnt vmcnt(1) lgkmcnt(1)
	v_lshlrev_b64 v[17:18], 9, v[6:7]
	s_or_b32 exec_lo, exec_lo, s0
	s_cbranch_execnz .LBB6_6087
; %bb.6461:
	s_getpc_b64 s[34:35]
.Lpost_getpc84:
	s_add_u32 s34, s34, (.LBB6_4-.Lpost_getpc84)&4294967295
	s_addc_u32 s35, s35, (.LBB6_4-.Lpost_getpc84)>>32
	s_setpc_b64 s[34:35]
.LBB6_6087:
	s_trap 2
	s_sendmsg_rtn_b32 s0, sendmsg(MSG_RTN_GET_DOORBELL)
	s_mov_b32 ttmp2, m0
	s_waitcnt lgkmcnt(0)
	s_and_b32 s0, s0, 0x3ff
	s_delay_alu instid0(SALU_CYCLE_1) | instskip(NEXT) | instid1(SALU_CYCLE_1)
	s_bitset1_b32 s0, 10
	s_mov_b32 m0, s0
	s_sendmsg sendmsg(MSG_INTERRUPT)
	s_mov_b32 m0, ttmp2
.LBB6_6088:                             ; =>This Inner Loop Header: Depth=1
	s_sethalt 5
	s_branch .LBB6_6088
.LBB6_6089:
	s_trap 2
	s_sendmsg_rtn_b32 s0, sendmsg(MSG_RTN_GET_DOORBELL)
	s_mov_b32 ttmp2, m0
	s_waitcnt lgkmcnt(0)
	s_and_b32 s0, s0, 0x3ff
	s_delay_alu instid0(SALU_CYCLE_1) | instskip(NEXT) | instid1(SALU_CYCLE_1)
	s_bitset1_b32 s0, 10
	s_mov_b32 m0, s0
	s_sendmsg sendmsg(MSG_INTERRUPT)
	s_mov_b32 m0, ttmp2
.LBB6_6090:                             ; =>This Inner Loop Header: Depth=1
	s_sethalt 5
	s_branch .LBB6_6090
.LBB6_6091:
	s_trap 2
	s_sendmsg_rtn_b32 s0, sendmsg(MSG_RTN_GET_DOORBELL)
	s_mov_b32 ttmp2, m0
	s_waitcnt lgkmcnt(0)
	s_and_b32 s0, s0, 0x3ff
	s_delay_alu instid0(SALU_CYCLE_1) | instskip(NEXT) | instid1(SALU_CYCLE_1)
	s_bitset1_b32 s0, 10
	s_mov_b32 m0, s0
	s_sendmsg sendmsg(MSG_INTERRUPT)
	s_mov_b32 m0, ttmp2
.LBB6_6092:                             ; =>This Inner Loop Header: Depth=1
	s_sethalt 5
	s_branch .LBB6_6092
.LBB6_6093:
	s_trap 2
	s_sendmsg_rtn_b32 s0, sendmsg(MSG_RTN_GET_DOORBELL)
	s_mov_b32 ttmp2, m0
	s_waitcnt lgkmcnt(0)
	s_and_b32 s0, s0, 0x3ff
	s_delay_alu instid0(SALU_CYCLE_1) | instskip(NEXT) | instid1(SALU_CYCLE_1)
	s_bitset1_b32 s0, 10
	s_mov_b32 m0, s0
	s_sendmsg sendmsg(MSG_INTERRUPT)
	s_mov_b32 m0, ttmp2
.LBB6_6094:                             ; =>This Inner Loop Header: Depth=1
	s_sethalt 5
	s_branch .LBB6_6094
.LBB6_6095:
	s_trap 2
	s_sendmsg_rtn_b32 s0, sendmsg(MSG_RTN_GET_DOORBELL)
	s_mov_b32 ttmp2, m0
	s_waitcnt lgkmcnt(0)
	s_and_b32 s0, s0, 0x3ff
	s_delay_alu instid0(SALU_CYCLE_1) | instskip(NEXT) | instid1(SALU_CYCLE_1)
	s_bitset1_b32 s0, 10
	s_mov_b32 m0, s0
	s_sendmsg sendmsg(MSG_INTERRUPT)
	s_mov_b32 m0, ttmp2
.LBB6_6096:                             ; =>This Inner Loop Header: Depth=1
	s_sethalt 5
	s_branch .LBB6_6096
.LBB6_6097:
	s_trap 2
	s_sendmsg_rtn_b32 s0, sendmsg(MSG_RTN_GET_DOORBELL)
	s_mov_b32 ttmp2, m0
	s_waitcnt lgkmcnt(0)
	s_and_b32 s0, s0, 0x3ff
	s_delay_alu instid0(SALU_CYCLE_1) | instskip(NEXT) | instid1(SALU_CYCLE_1)
	s_bitset1_b32 s0, 10
	s_mov_b32 m0, s0
	s_sendmsg sendmsg(MSG_INTERRUPT)
	s_mov_b32 m0, ttmp2
.LBB6_6098:                             ; =>This Inner Loop Header: Depth=1
	s_sethalt 5
	s_branch .LBB6_6098
.LBB6_6099:
	s_trap 2
	s_sendmsg_rtn_b32 s0, sendmsg(MSG_RTN_GET_DOORBELL)
	s_mov_b32 ttmp2, m0
	s_waitcnt lgkmcnt(0)
	s_and_b32 s0, s0, 0x3ff
	s_delay_alu instid0(SALU_CYCLE_1) | instskip(NEXT) | instid1(SALU_CYCLE_1)
	s_bitset1_b32 s0, 10
	s_mov_b32 m0, s0
	s_sendmsg sendmsg(MSG_INTERRUPT)
	s_mov_b32 m0, ttmp2
.LBB6_6100:                             ; =>This Inner Loop Header: Depth=1
	s_sethalt 5
	s_branch .LBB6_6100
.LBB6_6101:
	s_trap 2
	s_sendmsg_rtn_b32 s0, sendmsg(MSG_RTN_GET_DOORBELL)
	s_mov_b32 ttmp2, m0
	s_waitcnt lgkmcnt(0)
	s_and_b32 s0, s0, 0x3ff
	s_delay_alu instid0(SALU_CYCLE_1) | instskip(NEXT) | instid1(SALU_CYCLE_1)
	s_bitset1_b32 s0, 10
	s_mov_b32 m0, s0
	s_sendmsg sendmsg(MSG_INTERRUPT)
	s_mov_b32 m0, ttmp2
.LBB6_6102:                             ; =>This Inner Loop Header: Depth=1
	s_sethalt 5
	s_branch .LBB6_6102
.LBB6_6103:
	s_trap 2
	s_sendmsg_rtn_b32 s0, sendmsg(MSG_RTN_GET_DOORBELL)
	s_mov_b32 ttmp2, m0
	s_waitcnt lgkmcnt(0)
	s_and_b32 s0, s0, 0x3ff
	s_delay_alu instid0(SALU_CYCLE_1) | instskip(NEXT) | instid1(SALU_CYCLE_1)
	s_bitset1_b32 s0, 10
	s_mov_b32 m0, s0
	s_sendmsg sendmsg(MSG_INTERRUPT)
	s_mov_b32 m0, ttmp2
.LBB6_6104:                             ; =>This Inner Loop Header: Depth=1
	s_sethalt 5
	s_branch .LBB6_6104
.LBB6_6105:
	s_trap 2
	s_sendmsg_rtn_b32 s0, sendmsg(MSG_RTN_GET_DOORBELL)
	s_mov_b32 ttmp2, m0
	s_waitcnt lgkmcnt(0)
	s_and_b32 s0, s0, 0x3ff
	s_delay_alu instid0(SALU_CYCLE_1) | instskip(NEXT) | instid1(SALU_CYCLE_1)
	s_bitset1_b32 s0, 10
	s_mov_b32 m0, s0
	s_sendmsg sendmsg(MSG_INTERRUPT)
	s_mov_b32 m0, ttmp2
.LBB6_6106:                             ; =>This Inner Loop Header: Depth=1
	s_sethalt 5
	s_branch .LBB6_6106
.LBB6_6107:                             ;   in Loop: Header=BB6_6111 Depth=1
	s_or_b32 exec_lo, exec_lo, s10
	v_mov_b32_e32 v6, 0
	s_or_not1_b32 s7, s7, exec_lo
.LBB6_6108:                             ;   in Loop: Header=BB6_6111 Depth=1
	s_or_b32 exec_lo, exec_lo, s6
	s_delay_alu instid0(VALU_DEP_1)
	v_mov_b32_e32 v0, v6
	s_and_b32 s6, s7, exec_lo
.LBB6_6109:                             ;   in Loop: Header=BB6_6111 Depth=1
	s_or_b32 exec_lo, exec_lo, s5
	s_xor_b32 s5, s6, -1
	s_and_not1_b32 s3, s3, exec_lo
	s_and_b32 s5, s5, exec_lo
	s_delay_alu instid0(SALU_CYCLE_1)
	s_or_b32 s3, s3, s5
.LBB6_6110:                             ;   in Loop: Header=BB6_6111 Depth=1
	s_or_b32 exec_lo, exec_lo, s4
	s_delay_alu instid0(SALU_CYCLE_1) | instskip(NEXT) | instid1(SALU_CYCLE_1)
	s_and_b32 s4, exec_lo, s3
	s_or_b32 s2, s4, s2
	s_delay_alu instid0(SALU_CYCLE_1)
	s_and_not1_b32 exec_lo, exec_lo, s2
	s_cbranch_execz .LBB6_6126
.LBB6_6111:                             ; =>This Inner Loop Header: Depth=1
	flat_load_b64 v[6:7], v[4:5] glc dlc
	s_waitcnt vmcnt(0)
	s_or_b32 s3, s3, exec_lo
	s_mov_b32 s4, exec_lo
	s_waitcnt lgkmcnt(0)
	v_cmpx_ne_u64_e32 -1, v[6:7]
	s_cbranch_execz .LBB6_6110
; %bb.6112:                             ;   in Loop: Header=BB6_6111 Depth=1
	v_and_b32_e32 v6, 64, v103
	s_mov_b32 s6, 0
	s_mov_b32 s5, exec_lo
	s_delay_alu instid0(VALU_DEP_1)
	v_cmpx_eq_u32_e32 0, v6
	s_cbranch_execz .LBB6_6109
; %bb.6113:                             ;   in Loop: Header=BB6_6111 Depth=1
	v_add_nc_u32_e32 v6, 1, v0
	s_mov_b32 s7, -1
	s_mov_b32 s6, exec_lo
	v_cmpx_lt_i32_e32 0x270e, v0
	s_cbranch_execz .LBB6_6108
; %bb.6114:                             ;   in Loop: Header=BB6_6111 Depth=1
	s_cbranch_execnz .LBB6_6118
; %bb.6115:                             ;   in Loop: Header=BB6_6111 Depth=1
	ds_load_b64 v[6:7], v0
	s_mov_b32 s10, exec_lo
	s_waitcnt lgkmcnt(0)
	s_waitcnt_vscnt null, 0x0
	flat_load_b32 v0, v[6:7] glc
	s_waitcnt vmcnt(0) lgkmcnt(0)
	buffer_gl1_inv
	buffer_gl0_inv
	v_cmpx_ne_u32_e32 0, v0
	s_cbranch_execz .LBB6_6107
; %bb.6116:                             ;   in Loop: Header=BB6_6111 Depth=1
	ds_store_b32 v0, v0
	s_cbranch_execnz .LBB6_6140
; %bb.6117:                             ;   in Loop: Header=BB6_6111 Depth=1
	v_or_b32_e32 v103, 64, v103
	s_xor_b32 s7, exec_lo, -1
	s_branch .LBB6_6107
.LBB6_6118:
	s_trap 2
	s_sendmsg_rtn_b32 s0, sendmsg(MSG_RTN_GET_DOORBELL)
	s_mov_b32 ttmp2, m0
	s_waitcnt lgkmcnt(0)
	s_and_b32 s0, s0, 0x3ff
	s_delay_alu instid0(SALU_CYCLE_1) | instskip(NEXT) | instid1(SALU_CYCLE_1)
	s_bitset1_b32 s0, 10
	s_mov_b32 m0, s0
	s_sendmsg sendmsg(MSG_INTERRUPT)
	s_mov_b32 m0, ttmp2
.LBB6_6119:                             ; =>This Inner Loop Header: Depth=1
	s_sethalt 5
	s_branch .LBB6_6119
.LBB6_6120:
	s_trap 2
	s_sendmsg_rtn_b32 s0, sendmsg(MSG_RTN_GET_DOORBELL)
	s_mov_b32 ttmp2, m0
	s_waitcnt lgkmcnt(0)
	s_and_b32 s0, s0, 0x3ff
	s_delay_alu instid0(SALU_CYCLE_1) | instskip(NEXT) | instid1(SALU_CYCLE_1)
	s_bitset1_b32 s0, 10
	s_mov_b32 m0, s0
	s_sendmsg sendmsg(MSG_INTERRUPT)
	s_mov_b32 m0, ttmp2
.LBB6_6121:                             ; =>This Inner Loop Header: Depth=1
	s_sethalt 5
	s_branch .LBB6_6121
.LBB6_6122:
	s_trap 2
	s_sendmsg_rtn_b32 s0, sendmsg(MSG_RTN_GET_DOORBELL)
	s_mov_b32 ttmp2, m0
	s_waitcnt lgkmcnt(0)
	s_and_b32 s0, s0, 0x3ff
	s_delay_alu instid0(SALU_CYCLE_1) | instskip(NEXT) | instid1(SALU_CYCLE_1)
	s_bitset1_b32 s0, 10
	s_mov_b32 m0, s0
	s_sendmsg sendmsg(MSG_INTERRUPT)
	s_mov_b32 m0, ttmp2
.LBB6_6123:                             ; =>This Inner Loop Header: Depth=1
	s_sethalt 5
	s_branch .LBB6_6123
.LBB6_6124:
	s_trap 2
	s_sendmsg_rtn_b32 s0, sendmsg(MSG_RTN_GET_DOORBELL)
	s_mov_b32 ttmp2, m0
	s_waitcnt lgkmcnt(0)
	s_and_b32 s0, s0, 0x3ff
	s_delay_alu instid0(SALU_CYCLE_1) | instskip(NEXT) | instid1(SALU_CYCLE_1)
	s_bitset1_b32 s0, 10
	s_mov_b32 m0, s0
	s_sendmsg sendmsg(MSG_INTERRUPT)
	s_mov_b32 m0, ttmp2
.LBB6_6125:                             ; =>This Inner Loop Header: Depth=1
	s_sethalt 5
	s_branch .LBB6_6125
.LBB6_6126:
	s_or_b32 exec_lo, exec_lo, s2
.LBB6_6127:
	s_delay_alu instid0(SALU_CYCLE_1) | instskip(SKIP_2) | instid1(VALU_DEP_1)
	s_or_b32 exec_lo, exec_lo, s1
	v_and_b32_e32 v0, 0x2000, v103
	s_mov_b32 s1, exec_lo
	v_cmpx_ne_u32_e32 0, v0
	s_cbranch_execz .LBB6_6130
; %bb.6128:
	s_cbranch_execnz .LBB6_6138
; %bb.6129:
	ds_load_b64 v[4:5], v0
	s_waitcnt lgkmcnt(0)
	flat_store_b64 v[2:3], v[4:5] offset:16
.LBB6_6130:
	s_or_b32 exec_lo, exec_lo, s1
	v_cmp_ne_u32_e32 vcc_lo, 32, v1
	s_and_b32 exec_lo, exec_lo, vcc_lo
	s_cbranch_execz .LBB6_6297
; %bb.6131:
	s_mov_b32 s1, exec_lo
	v_cmpx_ne_u32_e64 v112, v1
	s_xor_b32 s1, exec_lo, s1
	s_cbranch_execz .LBB6_6295
; %bb.6132:
	v_and_b32_e32 v0, 31, v31
	s_mov_b32 s2, exec_lo
	s_delay_alu instid0(VALU_DEP_1)
	v_cmpx_eq_u32_e32 0, v0
	s_cbranch_execz .LBB6_6294
; %bb.6133:
	s_mov_b32 s4, exec_lo
	s_mov_b32 s3, exec_lo
	v_mbcnt_lo_u32_b32 v0, s4, 0
	s_waitcnt lgkmcnt(0)
	s_waitcnt_vscnt null, 0x0
	buffer_gl1_inv
	buffer_gl0_inv
	v_cmpx_eq_u32_e32 0, v0
	s_cbranch_execz .LBB6_6135
; %bb.6134:
	s_bcnt1_i32_b32 s4, s4
	s_delay_alu instid0(SALU_CYCLE_1)
	v_dual_mov_b32 v3, 0 :: v_dual_mov_b32 v2, s4
	ds_add_u64 v0, v[2:3]
	s_cbranch_execnz .LBB6_6183
.LBB6_6135:
	s_or_b32 exec_lo, exec_lo, s3
	s_cbranch_execnz .LBB6_6168
; %bb.6136:
	v_ashrrev_i32_e32 v0, 31, v1
	s_mov_b32 s3, exec_lo
	s_delay_alu instid0(VALU_DEP_1) | instskip(NEXT) | instid1(VALU_DEP_1)
	v_lshrrev_b32_e32 v0, 27, v0
	v_add_nc_u32_e32 v0, v1, v0
	ds_load_b64 v[2:3], v0
	v_ashrrev_i32_e32 v0, 5, v0
	s_delay_alu instid0(VALU_DEP_1) | instskip(SKIP_1) | instid1(VALU_DEP_2)
	v_ashrrev_i32_e32 v1, 31, v0
	v_add_co_u32 v0, vcc_lo, v70, v0
	v_add_co_ci_u32_e32 v1, vcc_lo, v71, v1, vcc_lo
	s_waitcnt lgkmcnt(0)
	s_delay_alu instid0(VALU_DEP_1)
	v_cmpx_lt_u64_e64 v[2:3], v[0:1]
	s_cbranch_execz .LBB6_6293
; %bb.6137:
	s_mov_b32 s4, 0
	s_mov_b32 s7, 0
                                        ; implicit-def: $sgpr5
                                        ; implicit-def: $sgpr6
	s_branch .LBB6_6173
.LBB6_6138:
	s_trap 2
	s_sendmsg_rtn_b32 s0, sendmsg(MSG_RTN_GET_DOORBELL)
	s_mov_b32 ttmp2, m0
	s_waitcnt lgkmcnt(0)
	s_and_b32 s0, s0, 0x3ff
	s_delay_alu instid0(SALU_CYCLE_1) | instskip(NEXT) | instid1(SALU_CYCLE_1)
	s_bitset1_b32 s0, 10
	s_mov_b32 m0, s0
	s_sendmsg sendmsg(MSG_INTERRUPT)
	s_mov_b32 m0, ttmp2
.LBB6_6139:                             ; =>This Inner Loop Header: Depth=1
	s_sethalt 5
	s_branch .LBB6_6139
.LBB6_6140:
	s_trap 2
	s_sendmsg_rtn_b32 s0, sendmsg(MSG_RTN_GET_DOORBELL)
	s_mov_b32 ttmp2, m0
	s_waitcnt lgkmcnt(0)
	s_and_b32 s0, s0, 0x3ff
	s_delay_alu instid0(SALU_CYCLE_1) | instskip(NEXT) | instid1(SALU_CYCLE_1)
	s_bitset1_b32 s0, 10
	s_mov_b32 m0, s0
	s_sendmsg sendmsg(MSG_INTERRUPT)
	s_mov_b32 m0, ttmp2
.LBB6_6141:                             ; =>This Inner Loop Header: Depth=1
	s_sethalt 5
	s_branch .LBB6_6141
.LBB6_6142:
	s_trap 2
	s_sendmsg_rtn_b32 s0, sendmsg(MSG_RTN_GET_DOORBELL)
	s_mov_b32 ttmp2, m0
	s_waitcnt lgkmcnt(0)
	s_and_b32 s0, s0, 0x3ff
	s_delay_alu instid0(SALU_CYCLE_1) | instskip(NEXT) | instid1(SALU_CYCLE_1)
	s_bitset1_b32 s0, 10
	s_mov_b32 m0, s0
	s_sendmsg sendmsg(MSG_INTERRUPT)
	s_mov_b32 m0, ttmp2
.LBB6_6143:                             ; =>This Inner Loop Header: Depth=1
	s_sethalt 5
	s_branch .LBB6_6143
.LBB6_6144:
	s_trap 2
	s_sendmsg_rtn_b32 s0, sendmsg(MSG_RTN_GET_DOORBELL)
	s_mov_b32 ttmp2, m0
	s_waitcnt lgkmcnt(0)
	s_and_b32 s0, s0, 0x3ff
	s_delay_alu instid0(SALU_CYCLE_1) | instskip(NEXT) | instid1(SALU_CYCLE_1)
	s_bitset1_b32 s0, 10
	s_mov_b32 m0, s0
	s_sendmsg sendmsg(MSG_INTERRUPT)
	s_mov_b32 m0, ttmp2
.LBB6_6145:                             ; =>This Inner Loop Header: Depth=1
	s_sethalt 5
	s_branch .LBB6_6145
.LBB6_6146:
	s_trap 2
	s_sendmsg_rtn_b32 s0, sendmsg(MSG_RTN_GET_DOORBELL)
	s_mov_b32 ttmp2, m0
	s_waitcnt lgkmcnt(0)
	s_and_b32 s0, s0, 0x3ff
	s_delay_alu instid0(SALU_CYCLE_1) | instskip(NEXT) | instid1(SALU_CYCLE_1)
	s_bitset1_b32 s0, 10
	s_mov_b32 m0, s0
	s_sendmsg sendmsg(MSG_INTERRUPT)
	s_mov_b32 m0, ttmp2
.LBB6_6147:                             ; =>This Inner Loop Header: Depth=1
	s_sethalt 5
	s_branch .LBB6_6147
.LBB6_6148:
	s_trap 2
	s_sendmsg_rtn_b32 s0, sendmsg(MSG_RTN_GET_DOORBELL)
	s_mov_b32 ttmp2, m0
	s_waitcnt lgkmcnt(0)
	s_and_b32 s0, s0, 0x3ff
	s_delay_alu instid0(SALU_CYCLE_1) | instskip(NEXT) | instid1(SALU_CYCLE_1)
	s_bitset1_b32 s0, 10
	s_mov_b32 m0, s0
	s_sendmsg sendmsg(MSG_INTERRUPT)
	s_mov_b32 m0, ttmp2
.LBB6_6149:                             ; =>This Inner Loop Header: Depth=1
	s_sethalt 5
	s_branch .LBB6_6149
.LBB6_6150:
	s_trap 2
	s_sendmsg_rtn_b32 s0, sendmsg(MSG_RTN_GET_DOORBELL)
	s_mov_b32 ttmp2, m0
	s_waitcnt lgkmcnt(0)
	s_and_b32 s0, s0, 0x3ff
	s_delay_alu instid0(SALU_CYCLE_1) | instskip(NEXT) | instid1(SALU_CYCLE_1)
	s_bitset1_b32 s0, 10
	s_mov_b32 m0, s0
	s_sendmsg sendmsg(MSG_INTERRUPT)
	s_mov_b32 m0, ttmp2
.LBB6_6151:                             ; =>This Inner Loop Header: Depth=1
	s_sethalt 5
	s_branch .LBB6_6151
.LBB6_6152:
	s_trap 2
	s_sendmsg_rtn_b32 s0, sendmsg(MSG_RTN_GET_DOORBELL)
	s_mov_b32 ttmp2, m0
	s_waitcnt lgkmcnt(0)
	s_and_b32 s0, s0, 0x3ff
	s_delay_alu instid0(SALU_CYCLE_1) | instskip(NEXT) | instid1(SALU_CYCLE_1)
	s_bitset1_b32 s0, 10
	s_mov_b32 m0, s0
	s_sendmsg sendmsg(MSG_INTERRUPT)
	s_mov_b32 m0, ttmp2
.LBB6_6153:                             ; =>This Inner Loop Header: Depth=1
	s_sethalt 5
	s_branch .LBB6_6153
.LBB6_6154:
	s_trap 2
	s_sendmsg_rtn_b32 s0, sendmsg(MSG_RTN_GET_DOORBELL)
	s_mov_b32 ttmp2, m0
	s_waitcnt lgkmcnt(0)
	s_and_b32 s0, s0, 0x3ff
	s_delay_alu instid0(SALU_CYCLE_1) | instskip(NEXT) | instid1(SALU_CYCLE_1)
	s_bitset1_b32 s0, 10
	s_mov_b32 m0, s0
	s_sendmsg sendmsg(MSG_INTERRUPT)
	s_mov_b32 m0, ttmp2
.LBB6_6155:                             ; =>This Inner Loop Header: Depth=1
	s_sethalt 5
	s_branch .LBB6_6155
.LBB6_6156:
	s_trap 2
	s_sendmsg_rtn_b32 s0, sendmsg(MSG_RTN_GET_DOORBELL)
	s_mov_b32 ttmp2, m0
	s_waitcnt lgkmcnt(0)
	s_and_b32 s0, s0, 0x3ff
	s_delay_alu instid0(SALU_CYCLE_1) | instskip(NEXT) | instid1(SALU_CYCLE_1)
	s_bitset1_b32 s0, 10
	s_mov_b32 m0, s0
	s_sendmsg sendmsg(MSG_INTERRUPT)
	s_mov_b32 m0, ttmp2
.LBB6_6157:                             ; =>This Inner Loop Header: Depth=1
	s_sethalt 5
	s_branch .LBB6_6157
.LBB6_6158:
	s_trap 2
	s_sendmsg_rtn_b32 s0, sendmsg(MSG_RTN_GET_DOORBELL)
	s_mov_b32 ttmp2, m0
	s_waitcnt lgkmcnt(0)
	s_and_b32 s0, s0, 0x3ff
	s_delay_alu instid0(SALU_CYCLE_1) | instskip(NEXT) | instid1(SALU_CYCLE_1)
	s_bitset1_b32 s0, 10
	s_mov_b32 m0, s0
	s_sendmsg sendmsg(MSG_INTERRUPT)
	s_mov_b32 m0, ttmp2
.LBB6_6159:                             ; =>This Inner Loop Header: Depth=1
	s_sethalt 5
	s_branch .LBB6_6159
.LBB6_6160:
	s_trap 2
	s_sendmsg_rtn_b32 s0, sendmsg(MSG_RTN_GET_DOORBELL)
	s_mov_b32 ttmp2, m0
	s_waitcnt lgkmcnt(0)
	s_and_b32 s0, s0, 0x3ff
	s_delay_alu instid0(SALU_CYCLE_1) | instskip(NEXT) | instid1(SALU_CYCLE_1)
	s_bitset1_b32 s0, 10
	s_mov_b32 m0, s0
	s_sendmsg sendmsg(MSG_INTERRUPT)
	s_mov_b32 m0, ttmp2
.LBB6_6161:                             ; =>This Inner Loop Header: Depth=1
	s_sethalt 5
	s_branch .LBB6_6161
.LBB6_6162:
	s_trap 2
	s_sendmsg_rtn_b32 s0, sendmsg(MSG_RTN_GET_DOORBELL)
	s_mov_b32 ttmp2, m0
	s_waitcnt lgkmcnt(0)
	s_and_b32 s0, s0, 0x3ff
	s_delay_alu instid0(SALU_CYCLE_1) | instskip(NEXT) | instid1(SALU_CYCLE_1)
	s_bitset1_b32 s0, 10
	s_mov_b32 m0, s0
	s_sendmsg sendmsg(MSG_INTERRUPT)
	s_mov_b32 m0, ttmp2
.LBB6_6163:                             ; =>This Inner Loop Header: Depth=1
	s_sethalt 5
	s_branch .LBB6_6163
.LBB6_6164:
	s_trap 2
	s_sendmsg_rtn_b32 s0, sendmsg(MSG_RTN_GET_DOORBELL)
	s_mov_b32 ttmp2, m0
	s_waitcnt lgkmcnt(0)
	s_and_b32 s0, s0, 0x3ff
	s_delay_alu instid0(SALU_CYCLE_1) | instskip(NEXT) | instid1(SALU_CYCLE_1)
	s_bitset1_b32 s0, 10
	s_mov_b32 m0, s0
	s_sendmsg sendmsg(MSG_INTERRUPT)
	s_mov_b32 m0, ttmp2
.LBB6_6165:                             ; =>This Inner Loop Header: Depth=1
	s_sethalt 5
	s_branch .LBB6_6165
.LBB6_6166:
	s_trap 2
	s_sendmsg_rtn_b32 s0, sendmsg(MSG_RTN_GET_DOORBELL)
	s_mov_b32 ttmp2, m0
	s_waitcnt lgkmcnt(0)
	s_and_b32 s0, s0, 0x3ff
	s_delay_alu instid0(SALU_CYCLE_1) | instskip(NEXT) | instid1(SALU_CYCLE_1)
	s_bitset1_b32 s0, 10
	s_mov_b32 m0, s0
	s_sendmsg sendmsg(MSG_INTERRUPT)
	s_mov_b32 m0, ttmp2
.LBB6_6167:                             ; =>This Inner Loop Header: Depth=1
	s_sethalt 5
	s_branch .LBB6_6167
.LBB6_6168:
	s_trap 2
	s_sendmsg_rtn_b32 s0, sendmsg(MSG_RTN_GET_DOORBELL)
	s_mov_b32 ttmp2, m0
	s_waitcnt lgkmcnt(0)
	s_and_b32 s0, s0, 0x3ff
	s_delay_alu instid0(SALU_CYCLE_1) | instskip(NEXT) | instid1(SALU_CYCLE_1)
	s_bitset1_b32 s0, 10
	s_mov_b32 m0, s0
	s_sendmsg sendmsg(MSG_INTERRUPT)
	s_mov_b32 m0, ttmp2
.LBB6_6169:                             ; =>This Inner Loop Header: Depth=1
	s_sethalt 5
	s_branch .LBB6_6169
.LBB6_6170:
	s_trap 2
	s_sendmsg_rtn_b32 s0, sendmsg(MSG_RTN_GET_DOORBELL)
	s_mov_b32 ttmp2, m0
	s_waitcnt lgkmcnt(0)
	s_and_b32 s0, s0, 0x3ff
	s_delay_alu instid0(SALU_CYCLE_1) | instskip(NEXT) | instid1(SALU_CYCLE_1)
	s_bitset1_b32 s0, 10
	s_mov_b32 m0, s0
	s_sendmsg sendmsg(MSG_INTERRUPT)
	s_mov_b32 m0, ttmp2
.LBB6_6171:                             ; =>This Inner Loop Header: Depth=1
	s_sethalt 5
	s_branch .LBB6_6171
.LBB6_6172:                             ;   in Loop: Header=BB6_6173 Depth=1
	s_or_b32 exec_lo, exec_lo, s12
	s_delay_alu instid0(SALU_CYCLE_1) | instskip(NEXT) | instid1(SALU_CYCLE_1)
	s_and_b32 s10, exec_lo, s11
	s_or_b32 s4, s10, s4
	s_and_not1_b32 s5, s5, exec_lo
	s_and_b32 s10, s6, exec_lo
	s_delay_alu instid0(SALU_CYCLE_1)
	s_or_b32 s5, s5, s10
	s_and_not1_b32 exec_lo, exec_lo, s4
	s_cbranch_execz .LBB6_6291
.LBB6_6173:                             ; =>This Inner Loop Header: Depth=1
	s_add_i32 s7, s7, 1
                                        ; implicit-def: $sgpr11
	s_delay_alu instid0(SALU_CYCLE_1) | instskip(SKIP_1) | instid1(SALU_CYCLE_1)
	s_cmpk_lg_i32 s7, 0x2710
	s_cselect_b32 s10, -1, 0
	s_and_b32 vcc_lo, exec_lo, s10
	s_cbranch_vccz .LBB6_6177
.LBB6_6174:                             ;   in Loop: Header=BB6_6173 Depth=1
	s_and_not1_b32 s6, s6, exec_lo
	s_and_b32 s12, s11, exec_lo
	s_mov_b32 s11, -1
	s_or_b32 s6, s6, s12
	s_and_saveexec_b32 s12, s10
	s_cbranch_execz .LBB6_6172
; %bb.6175:                             ;   in Loop: Header=BB6_6173 Depth=1
	s_sleep 1
	s_cbranch_execnz .LBB6_6199
; %bb.6176:                             ;   in Loop: Header=BB6_6173 Depth=1
	ds_load_b64 v[2:3], v0
	s_and_not1_b32 s6, s6, exec_lo
	s_waitcnt lgkmcnt(0)
	v_cmp_ge_u64_e32 vcc_lo, v[2:3], v[0:1]
	s_or_not1_b32 s11, vcc_lo, exec_lo
	s_branch .LBB6_6172
.LBB6_6177:                             ;   in Loop: Header=BB6_6173 Depth=1
	s_cbranch_execnz .LBB6_6207
; %bb.6178:                             ;   in Loop: Header=BB6_6173 Depth=1
	ds_load_b64 v[2:3], v0
	s_and_not1_b32 s10, s10, exec_lo
	s_mov_b32 s7, 0
	s_mov_b32 s11, -1
	s_waitcnt lgkmcnt(0)
	flat_load_b32 v2, v[2:3] glc
	s_waitcnt vmcnt(0) lgkmcnt(0)
	buffer_gl1_inv
	buffer_gl0_inv
	v_cmp_eq_u32_e32 vcc_lo, 0, v2
	s_and_b32 s12, vcc_lo, exec_lo
	s_delay_alu instid0(SALU_CYCLE_1)
	s_or_b32 s10, s10, s12
	s_branch .LBB6_6174
.LBB6_6179:
	s_trap 2
	s_sendmsg_rtn_b32 s0, sendmsg(MSG_RTN_GET_DOORBELL)
	s_mov_b32 ttmp2, m0
	s_waitcnt lgkmcnt(0)
	s_and_b32 s0, s0, 0x3ff
	s_delay_alu instid0(SALU_CYCLE_1) | instskip(NEXT) | instid1(SALU_CYCLE_1)
	s_bitset1_b32 s0, 10
	s_mov_b32 m0, s0
	s_sendmsg sendmsg(MSG_INTERRUPT)
	s_mov_b32 m0, ttmp2
.LBB6_6180:                             ; =>This Inner Loop Header: Depth=1
	s_sethalt 5
	s_branch .LBB6_6180
.LBB6_6181:
	s_trap 2
	s_sendmsg_rtn_b32 s0, sendmsg(MSG_RTN_GET_DOORBELL)
	s_mov_b32 ttmp2, m0
	s_waitcnt lgkmcnt(0)
	s_and_b32 s0, s0, 0x3ff
	s_delay_alu instid0(SALU_CYCLE_1) | instskip(NEXT) | instid1(SALU_CYCLE_1)
	s_bitset1_b32 s0, 10
	s_mov_b32 m0, s0
	s_sendmsg sendmsg(MSG_INTERRUPT)
	s_mov_b32 m0, ttmp2
.LBB6_6182:                             ; =>This Inner Loop Header: Depth=1
	s_sethalt 5
	s_branch .LBB6_6182
.LBB6_6183:
	s_trap 2
	s_sendmsg_rtn_b32 s0, sendmsg(MSG_RTN_GET_DOORBELL)
	s_mov_b32 ttmp2, m0
	s_waitcnt lgkmcnt(0)
	s_and_b32 s0, s0, 0x3ff
	s_delay_alu instid0(SALU_CYCLE_1) | instskip(NEXT) | instid1(SALU_CYCLE_1)
	s_bitset1_b32 s0, 10
	s_mov_b32 m0, s0
	s_sendmsg sendmsg(MSG_INTERRUPT)
	s_mov_b32 m0, ttmp2
.LBB6_6184:                             ; =>This Inner Loop Header: Depth=1
	s_sethalt 5
	s_branch .LBB6_6184
.LBB6_6185:
	s_trap 2
	s_sendmsg_rtn_b32 s0, sendmsg(MSG_RTN_GET_DOORBELL)
	s_mov_b32 ttmp2, m0
	s_waitcnt lgkmcnt(0)
	s_and_b32 s0, s0, 0x3ff
	s_delay_alu instid0(SALU_CYCLE_1) | instskip(NEXT) | instid1(SALU_CYCLE_1)
	s_bitset1_b32 s0, 10
	s_mov_b32 m0, s0
	s_sendmsg sendmsg(MSG_INTERRUPT)
	s_mov_b32 m0, ttmp2
.LBB6_6186:                             ; =>This Inner Loop Header: Depth=1
	s_sethalt 5
	s_branch .LBB6_6186
.LBB6_6187:
	s_trap 2
	s_sendmsg_rtn_b32 s0, sendmsg(MSG_RTN_GET_DOORBELL)
	s_mov_b32 ttmp2, m0
	s_waitcnt lgkmcnt(0)
	s_and_b32 s0, s0, 0x3ff
	s_delay_alu instid0(SALU_CYCLE_1) | instskip(NEXT) | instid1(SALU_CYCLE_1)
	s_bitset1_b32 s0, 10
	s_mov_b32 m0, s0
	s_sendmsg sendmsg(MSG_INTERRUPT)
	s_mov_b32 m0, ttmp2
.LBB6_6188:                             ; =>This Inner Loop Header: Depth=1
	s_sethalt 5
	s_branch .LBB6_6188
.LBB6_6189:
	s_trap 2
	s_sendmsg_rtn_b32 s0, sendmsg(MSG_RTN_GET_DOORBELL)
	s_mov_b32 ttmp2, m0
	s_waitcnt lgkmcnt(0)
	s_and_b32 s0, s0, 0x3ff
	s_delay_alu instid0(SALU_CYCLE_1) | instskip(NEXT) | instid1(SALU_CYCLE_1)
	s_bitset1_b32 s0, 10
	s_mov_b32 m0, s0
	s_sendmsg sendmsg(MSG_INTERRUPT)
	s_mov_b32 m0, ttmp2
.LBB6_6190:                             ; =>This Inner Loop Header: Depth=1
	s_sethalt 5
	s_branch .LBB6_6190
.LBB6_6191:
	s_trap 2
	s_sendmsg_rtn_b32 s0, sendmsg(MSG_RTN_GET_DOORBELL)
	s_mov_b32 ttmp2, m0
	s_waitcnt lgkmcnt(0)
	s_and_b32 s0, s0, 0x3ff
	s_delay_alu instid0(SALU_CYCLE_1) | instskip(NEXT) | instid1(SALU_CYCLE_1)
	s_bitset1_b32 s0, 10
	s_mov_b32 m0, s0
	s_sendmsg sendmsg(MSG_INTERRUPT)
	s_mov_b32 m0, ttmp2
.LBB6_6192:                             ; =>This Inner Loop Header: Depth=1
	s_sethalt 5
	s_branch .LBB6_6192
.LBB6_6193:
	s_trap 2
	s_sendmsg_rtn_b32 s0, sendmsg(MSG_RTN_GET_DOORBELL)
	s_mov_b32 ttmp2, m0
	s_waitcnt lgkmcnt(0)
	s_and_b32 s0, s0, 0x3ff
	s_delay_alu instid0(SALU_CYCLE_1) | instskip(NEXT) | instid1(SALU_CYCLE_1)
	s_bitset1_b32 s0, 10
	s_mov_b32 m0, s0
	s_sendmsg sendmsg(MSG_INTERRUPT)
	s_mov_b32 m0, ttmp2
.LBB6_6194:                             ; =>This Inner Loop Header: Depth=1
	s_sethalt 5
	s_branch .LBB6_6194
.LBB6_6195:
	s_trap 2
	s_sendmsg_rtn_b32 s0, sendmsg(MSG_RTN_GET_DOORBELL)
	s_mov_b32 ttmp2, m0
	s_waitcnt lgkmcnt(0)
	s_and_b32 s0, s0, 0x3ff
	s_delay_alu instid0(SALU_CYCLE_1) | instskip(NEXT) | instid1(SALU_CYCLE_1)
	s_bitset1_b32 s0, 10
	s_mov_b32 m0, s0
	s_sendmsg sendmsg(MSG_INTERRUPT)
	s_mov_b32 m0, ttmp2
.LBB6_6196:                             ; =>This Inner Loop Header: Depth=1
	s_sethalt 5
	s_branch .LBB6_6196
.LBB6_6197:
	s_trap 2
	s_sendmsg_rtn_b32 s0, sendmsg(MSG_RTN_GET_DOORBELL)
	s_mov_b32 ttmp2, m0
	s_waitcnt lgkmcnt(0)
	s_and_b32 s0, s0, 0x3ff
	s_delay_alu instid0(SALU_CYCLE_1) | instskip(NEXT) | instid1(SALU_CYCLE_1)
	s_bitset1_b32 s0, 10
	s_mov_b32 m0, s0
	s_sendmsg sendmsg(MSG_INTERRUPT)
	s_mov_b32 m0, ttmp2
.LBB6_6198:                             ; =>This Inner Loop Header: Depth=1
	s_sethalt 5
	s_branch .LBB6_6198
.LBB6_6199:
	s_trap 2
	s_sendmsg_rtn_b32 s0, sendmsg(MSG_RTN_GET_DOORBELL)
	s_mov_b32 ttmp2, m0
	s_waitcnt lgkmcnt(0)
	s_and_b32 s0, s0, 0x3ff
	s_delay_alu instid0(SALU_CYCLE_1) | instskip(NEXT) | instid1(SALU_CYCLE_1)
	s_bitset1_b32 s0, 10
	s_mov_b32 m0, s0
	s_sendmsg sendmsg(MSG_INTERRUPT)
	s_mov_b32 m0, ttmp2
.LBB6_6200:                             ; =>This Inner Loop Header: Depth=1
	s_sethalt 5
	s_branch .LBB6_6200
.LBB6_6201:
	s_trap 2
	s_sendmsg_rtn_b32 s0, sendmsg(MSG_RTN_GET_DOORBELL)
	s_mov_b32 ttmp2, m0
	s_waitcnt lgkmcnt(0)
	s_and_b32 s0, s0, 0x3ff
	s_delay_alu instid0(SALU_CYCLE_1) | instskip(NEXT) | instid1(SALU_CYCLE_1)
	s_bitset1_b32 s0, 10
	s_mov_b32 m0, s0
	s_sendmsg sendmsg(MSG_INTERRUPT)
	s_mov_b32 m0, ttmp2
.LBB6_6202:                             ; =>This Inner Loop Header: Depth=1
	s_sethalt 5
	s_branch .LBB6_6202
.LBB6_6203:
	s_trap 2
	s_sendmsg_rtn_b32 s0, sendmsg(MSG_RTN_GET_DOORBELL)
	s_mov_b32 ttmp2, m0
	s_waitcnt lgkmcnt(0)
	s_and_b32 s0, s0, 0x3ff
	s_delay_alu instid0(SALU_CYCLE_1) | instskip(NEXT) | instid1(SALU_CYCLE_1)
	s_bitset1_b32 s0, 10
	s_mov_b32 m0, s0
	s_sendmsg sendmsg(MSG_INTERRUPT)
	s_mov_b32 m0, ttmp2
.LBB6_6204:                             ; =>This Inner Loop Header: Depth=1
	s_sethalt 5
	s_branch .LBB6_6204
.LBB6_6205:
	s_trap 2
	s_sendmsg_rtn_b32 s0, sendmsg(MSG_RTN_GET_DOORBELL)
	s_mov_b32 ttmp2, m0
	s_waitcnt lgkmcnt(0)
	s_and_b32 s0, s0, 0x3ff
	s_delay_alu instid0(SALU_CYCLE_1) | instskip(NEXT) | instid1(SALU_CYCLE_1)
	s_bitset1_b32 s0, 10
	s_mov_b32 m0, s0
	s_sendmsg sendmsg(MSG_INTERRUPT)
	s_mov_b32 m0, ttmp2
.LBB6_6206:                             ; =>This Inner Loop Header: Depth=1
	s_sethalt 5
	s_branch .LBB6_6206
.LBB6_6207:
	s_trap 2
	s_sendmsg_rtn_b32 s0, sendmsg(MSG_RTN_GET_DOORBELL)
	s_mov_b32 ttmp2, m0
	s_waitcnt lgkmcnt(0)
	s_and_b32 s0, s0, 0x3ff
	s_delay_alu instid0(SALU_CYCLE_1) | instskip(NEXT) | instid1(SALU_CYCLE_1)
	s_bitset1_b32 s0, 10
	s_mov_b32 m0, s0
	s_sendmsg sendmsg(MSG_INTERRUPT)
	s_mov_b32 m0, ttmp2
.LBB6_6208:                             ; =>This Inner Loop Header: Depth=1
	s_sethalt 5
	s_branch .LBB6_6208
.LBB6_6209:
	s_trap 2
	s_sendmsg_rtn_b32 s0, sendmsg(MSG_RTN_GET_DOORBELL)
	s_mov_b32 ttmp2, m0
	s_waitcnt lgkmcnt(0)
	s_and_b32 s0, s0, 0x3ff
	s_delay_alu instid0(SALU_CYCLE_1) | instskip(NEXT) | instid1(SALU_CYCLE_1)
	s_bitset1_b32 s0, 10
	s_mov_b32 m0, s0
	s_sendmsg sendmsg(MSG_INTERRUPT)
	s_mov_b32 m0, ttmp2
.LBB6_6210:                             ; =>This Inner Loop Header: Depth=1
	s_sethalt 5
	s_branch .LBB6_6210
.LBB6_6211:
	s_trap 2
	s_sendmsg_rtn_b32 s0, sendmsg(MSG_RTN_GET_DOORBELL)
	s_mov_b32 ttmp2, m0
	s_waitcnt lgkmcnt(0)
	s_and_b32 s0, s0, 0x3ff
	s_delay_alu instid0(SALU_CYCLE_1) | instskip(NEXT) | instid1(SALU_CYCLE_1)
	s_bitset1_b32 s0, 10
	s_mov_b32 m0, s0
	s_sendmsg sendmsg(MSG_INTERRUPT)
	s_mov_b32 m0, ttmp2
.LBB6_6212:                             ; =>This Inner Loop Header: Depth=1
	s_sethalt 5
	s_branch .LBB6_6212
.LBB6_6213:
	s_trap 2
	s_sendmsg_rtn_b32 s0, sendmsg(MSG_RTN_GET_DOORBELL)
	s_mov_b32 ttmp2, m0
	s_waitcnt lgkmcnt(0)
	s_and_b32 s0, s0, 0x3ff
	s_delay_alu instid0(SALU_CYCLE_1) | instskip(NEXT) | instid1(SALU_CYCLE_1)
	s_bitset1_b32 s0, 10
	s_mov_b32 m0, s0
	s_sendmsg sendmsg(MSG_INTERRUPT)
	s_mov_b32 m0, ttmp2
.LBB6_6214:                             ; =>This Inner Loop Header: Depth=1
	s_sethalt 5
	s_branch .LBB6_6214
.LBB6_6215:
	s_trap 2
	s_sendmsg_rtn_b32 s0, sendmsg(MSG_RTN_GET_DOORBELL)
	s_mov_b32 ttmp2, m0
	s_waitcnt lgkmcnt(0)
	s_and_b32 s0, s0, 0x3ff
	s_delay_alu instid0(SALU_CYCLE_1) | instskip(NEXT) | instid1(SALU_CYCLE_1)
	s_bitset1_b32 s0, 10
	s_mov_b32 m0, s0
	s_sendmsg sendmsg(MSG_INTERRUPT)
	s_mov_b32 m0, ttmp2
.LBB6_6216:                             ; =>This Inner Loop Header: Depth=1
	s_sethalt 5
	s_branch .LBB6_6216
.LBB6_6217:
	s_trap 2
	s_sendmsg_rtn_b32 s0, sendmsg(MSG_RTN_GET_DOORBELL)
	s_mov_b32 ttmp2, m0
	s_waitcnt lgkmcnt(0)
	s_and_b32 s0, s0, 0x3ff
	s_delay_alu instid0(SALU_CYCLE_1) | instskip(NEXT) | instid1(SALU_CYCLE_1)
	s_bitset1_b32 s0, 10
	s_mov_b32 m0, s0
	s_sendmsg sendmsg(MSG_INTERRUPT)
	s_mov_b32 m0, ttmp2
.LBB6_6218:                             ; =>This Inner Loop Header: Depth=1
	s_sethalt 5
	s_branch .LBB6_6218
.LBB6_6219:
	s_trap 2
	s_sendmsg_rtn_b32 s0, sendmsg(MSG_RTN_GET_DOORBELL)
	s_mov_b32 ttmp2, m0
	s_waitcnt lgkmcnt(0)
	s_and_b32 s0, s0, 0x3ff
	s_delay_alu instid0(SALU_CYCLE_1) | instskip(NEXT) | instid1(SALU_CYCLE_1)
	s_bitset1_b32 s0, 10
	s_mov_b32 m0, s0
	s_sendmsg sendmsg(MSG_INTERRUPT)
	s_mov_b32 m0, ttmp2
.LBB6_6220:                             ; =>This Inner Loop Header: Depth=1
	s_sethalt 5
	s_branch .LBB6_6220
.LBB6_6221:
	s_trap 2
	s_sendmsg_rtn_b32 s0, sendmsg(MSG_RTN_GET_DOORBELL)
	s_mov_b32 ttmp2, m0
	s_waitcnt lgkmcnt(0)
	s_and_b32 s0, s0, 0x3ff
	s_delay_alu instid0(SALU_CYCLE_1) | instskip(NEXT) | instid1(SALU_CYCLE_1)
	s_bitset1_b32 s0, 10
	s_mov_b32 m0, s0
	s_sendmsg sendmsg(MSG_INTERRUPT)
	s_mov_b32 m0, ttmp2
.LBB6_6222:                             ; =>This Inner Loop Header: Depth=1
	s_sethalt 5
	s_branch .LBB6_6222
.LBB6_6223:
	s_trap 2
	s_sendmsg_rtn_b32 s0, sendmsg(MSG_RTN_GET_DOORBELL)
	s_mov_b32 ttmp2, m0
	s_waitcnt lgkmcnt(0)
	s_and_b32 s0, s0, 0x3ff
	s_delay_alu instid0(SALU_CYCLE_1) | instskip(NEXT) | instid1(SALU_CYCLE_1)
	s_bitset1_b32 s0, 10
	s_mov_b32 m0, s0
	s_sendmsg sendmsg(MSG_INTERRUPT)
	s_mov_b32 m0, ttmp2
.LBB6_6224:                             ; =>This Inner Loop Header: Depth=1
	s_sethalt 5
	s_branch .LBB6_6224
.LBB6_6225:
	s_trap 2
	s_sendmsg_rtn_b32 s0, sendmsg(MSG_RTN_GET_DOORBELL)
	s_mov_b32 ttmp2, m0
	s_waitcnt lgkmcnt(0)
	s_and_b32 s0, s0, 0x3ff
	s_delay_alu instid0(SALU_CYCLE_1) | instskip(NEXT) | instid1(SALU_CYCLE_1)
	s_bitset1_b32 s0, 10
	s_mov_b32 m0, s0
	s_sendmsg sendmsg(MSG_INTERRUPT)
	s_mov_b32 m0, ttmp2
.LBB6_6226:                             ; =>This Inner Loop Header: Depth=1
	s_sethalt 5
	s_branch .LBB6_6226
.LBB6_6227:
	s_trap 2
	s_sendmsg_rtn_b32 s0, sendmsg(MSG_RTN_GET_DOORBELL)
	s_mov_b32 ttmp2, m0
	s_waitcnt lgkmcnt(0)
	s_and_b32 s0, s0, 0x3ff
	s_delay_alu instid0(SALU_CYCLE_1) | instskip(NEXT) | instid1(SALU_CYCLE_1)
	s_bitset1_b32 s0, 10
	s_mov_b32 m0, s0
	s_sendmsg sendmsg(MSG_INTERRUPT)
	s_mov_b32 m0, ttmp2
.LBB6_6228:                             ; =>This Inner Loop Header: Depth=1
	s_sethalt 5
	s_branch .LBB6_6228
.LBB6_6229:
	s_trap 2
	s_sendmsg_rtn_b32 s0, sendmsg(MSG_RTN_GET_DOORBELL)
	s_mov_b32 ttmp2, m0
	s_waitcnt lgkmcnt(0)
	s_and_b32 s0, s0, 0x3ff
	s_delay_alu instid0(SALU_CYCLE_1) | instskip(NEXT) | instid1(SALU_CYCLE_1)
	s_bitset1_b32 s0, 10
	s_mov_b32 m0, s0
	s_sendmsg sendmsg(MSG_INTERRUPT)
	s_mov_b32 m0, ttmp2
.LBB6_6230:                             ; =>This Inner Loop Header: Depth=1
	s_sethalt 5
	s_branch .LBB6_6230
.LBB6_6231:
	s_trap 2
	s_sendmsg_rtn_b32 s0, sendmsg(MSG_RTN_GET_DOORBELL)
	s_mov_b32 ttmp2, m0
	s_waitcnt lgkmcnt(0)
	s_and_b32 s0, s0, 0x3ff
	s_delay_alu instid0(SALU_CYCLE_1) | instskip(NEXT) | instid1(SALU_CYCLE_1)
	s_bitset1_b32 s0, 10
	s_mov_b32 m0, s0
	s_sendmsg sendmsg(MSG_INTERRUPT)
	s_mov_b32 m0, ttmp2
.LBB6_6232:                             ; =>This Inner Loop Header: Depth=1
	s_sethalt 5
	s_branch .LBB6_6232
.LBB6_6233:
	s_trap 2
	s_sendmsg_rtn_b32 s0, sendmsg(MSG_RTN_GET_DOORBELL)
	s_mov_b32 ttmp2, m0
	s_waitcnt lgkmcnt(0)
	s_and_b32 s0, s0, 0x3ff
	s_delay_alu instid0(SALU_CYCLE_1) | instskip(NEXT) | instid1(SALU_CYCLE_1)
	s_bitset1_b32 s0, 10
	s_mov_b32 m0, s0
	s_sendmsg sendmsg(MSG_INTERRUPT)
	s_mov_b32 m0, ttmp2
.LBB6_6234:                             ; =>This Inner Loop Header: Depth=1
	s_sethalt 5
	s_branch .LBB6_6234
.LBB6_6235:
	s_trap 2
	s_sendmsg_rtn_b32 s0, sendmsg(MSG_RTN_GET_DOORBELL)
	s_mov_b32 ttmp2, m0
	s_waitcnt lgkmcnt(0)
	s_and_b32 s0, s0, 0x3ff
	s_delay_alu instid0(SALU_CYCLE_1) | instskip(NEXT) | instid1(SALU_CYCLE_1)
	s_bitset1_b32 s0, 10
	s_mov_b32 m0, s0
	s_sendmsg sendmsg(MSG_INTERRUPT)
	s_mov_b32 m0, ttmp2
.LBB6_6236:                             ; =>This Inner Loop Header: Depth=1
	s_sethalt 5
	s_branch .LBB6_6236
.LBB6_6237:
	s_trap 2
	s_sendmsg_rtn_b32 s0, sendmsg(MSG_RTN_GET_DOORBELL)
	s_mov_b32 ttmp2, m0
	s_waitcnt lgkmcnt(0)
	s_and_b32 s0, s0, 0x3ff
	s_delay_alu instid0(SALU_CYCLE_1) | instskip(NEXT) | instid1(SALU_CYCLE_1)
	s_bitset1_b32 s0, 10
	s_mov_b32 m0, s0
	s_sendmsg sendmsg(MSG_INTERRUPT)
	s_mov_b32 m0, ttmp2
.LBB6_6238:                             ; =>This Inner Loop Header: Depth=1
	s_sethalt 5
	s_branch .LBB6_6238
.LBB6_6239:
	s_trap 2
	s_sendmsg_rtn_b32 s0, sendmsg(MSG_RTN_GET_DOORBELL)
	s_mov_b32 ttmp2, m0
	s_waitcnt lgkmcnt(0)
	s_and_b32 s0, s0, 0x3ff
	s_delay_alu instid0(SALU_CYCLE_1) | instskip(NEXT) | instid1(SALU_CYCLE_1)
	s_bitset1_b32 s0, 10
	s_mov_b32 m0, s0
	s_sendmsg sendmsg(MSG_INTERRUPT)
	s_mov_b32 m0, ttmp2
.LBB6_6240:                             ; =>This Inner Loop Header: Depth=1
	s_sethalt 5
	s_branch .LBB6_6240
.LBB6_6241:
	s_trap 2
	s_sendmsg_rtn_b32 s0, sendmsg(MSG_RTN_GET_DOORBELL)
	s_mov_b32 ttmp2, m0
	s_waitcnt lgkmcnt(0)
	s_and_b32 s0, s0, 0x3ff
	s_delay_alu instid0(SALU_CYCLE_1) | instskip(NEXT) | instid1(SALU_CYCLE_1)
	s_bitset1_b32 s0, 10
	s_mov_b32 m0, s0
	s_sendmsg sendmsg(MSG_INTERRUPT)
	s_mov_b32 m0, ttmp2
.LBB6_6242:                             ; =>This Inner Loop Header: Depth=1
	s_sethalt 5
	s_branch .LBB6_6242
.LBB6_6243:
	s_trap 2
	s_sendmsg_rtn_b32 s0, sendmsg(MSG_RTN_GET_DOORBELL)
	s_mov_b32 ttmp2, m0
	s_waitcnt lgkmcnt(0)
	s_and_b32 s0, s0, 0x3ff
	s_delay_alu instid0(SALU_CYCLE_1) | instskip(NEXT) | instid1(SALU_CYCLE_1)
	s_bitset1_b32 s0, 10
	s_mov_b32 m0, s0
	s_sendmsg sendmsg(MSG_INTERRUPT)
	s_mov_b32 m0, ttmp2
.LBB6_6244:                             ; =>This Inner Loop Header: Depth=1
	s_sethalt 5
	s_branch .LBB6_6244
.LBB6_6245:
	s_trap 2
	s_sendmsg_rtn_b32 s0, sendmsg(MSG_RTN_GET_DOORBELL)
	s_mov_b32 ttmp2, m0
	s_waitcnt lgkmcnt(0)
	s_and_b32 s0, s0, 0x3ff
	s_delay_alu instid0(SALU_CYCLE_1) | instskip(NEXT) | instid1(SALU_CYCLE_1)
	s_bitset1_b32 s0, 10
	s_mov_b32 m0, s0
	s_sendmsg sendmsg(MSG_INTERRUPT)
	s_mov_b32 m0, ttmp2
.LBB6_6246:                             ; =>This Inner Loop Header: Depth=1
	s_sethalt 5
	s_branch .LBB6_6246
.LBB6_6247:
	s_trap 2
	s_sendmsg_rtn_b32 s0, sendmsg(MSG_RTN_GET_DOORBELL)
	s_mov_b32 ttmp2, m0
	s_waitcnt lgkmcnt(0)
	s_and_b32 s0, s0, 0x3ff
	s_delay_alu instid0(SALU_CYCLE_1) | instskip(NEXT) | instid1(SALU_CYCLE_1)
	s_bitset1_b32 s0, 10
	s_mov_b32 m0, s0
	s_sendmsg sendmsg(MSG_INTERRUPT)
	s_mov_b32 m0, ttmp2
.LBB6_6248:                             ; =>This Inner Loop Header: Depth=1
	s_sethalt 5
	s_branch .LBB6_6248
.LBB6_6249:
	s_trap 2
	s_sendmsg_rtn_b32 s0, sendmsg(MSG_RTN_GET_DOORBELL)
	s_mov_b32 ttmp2, m0
	s_waitcnt lgkmcnt(0)
	s_and_b32 s0, s0, 0x3ff
	s_delay_alu instid0(SALU_CYCLE_1) | instskip(NEXT) | instid1(SALU_CYCLE_1)
	s_bitset1_b32 s0, 10
	s_mov_b32 m0, s0
	s_sendmsg sendmsg(MSG_INTERRUPT)
	s_mov_b32 m0, ttmp2
.LBB6_6250:                             ; =>This Inner Loop Header: Depth=1
	s_sethalt 5
	s_branch .LBB6_6250
.LBB6_6251:
	s_trap 2
	s_sendmsg_rtn_b32 s0, sendmsg(MSG_RTN_GET_DOORBELL)
	s_mov_b32 ttmp2, m0
	s_waitcnt lgkmcnt(0)
	s_and_b32 s0, s0, 0x3ff
	s_delay_alu instid0(SALU_CYCLE_1) | instskip(NEXT) | instid1(SALU_CYCLE_1)
	s_bitset1_b32 s0, 10
	s_mov_b32 m0, s0
	s_sendmsg sendmsg(MSG_INTERRUPT)
	s_mov_b32 m0, ttmp2
.LBB6_6252:                             ; =>This Inner Loop Header: Depth=1
	s_sethalt 5
	s_branch .LBB6_6252
.LBB6_6253:
	s_trap 2
	s_sendmsg_rtn_b32 s0, sendmsg(MSG_RTN_GET_DOORBELL)
	s_mov_b32 ttmp2, m0
	s_waitcnt lgkmcnt(0)
	s_and_b32 s0, s0, 0x3ff
	s_delay_alu instid0(SALU_CYCLE_1) | instskip(NEXT) | instid1(SALU_CYCLE_1)
	s_bitset1_b32 s0, 10
	s_mov_b32 m0, s0
	s_sendmsg sendmsg(MSG_INTERRUPT)
	s_mov_b32 m0, ttmp2
.LBB6_6254:                             ; =>This Inner Loop Header: Depth=1
	s_sethalt 5
	s_branch .LBB6_6254
.LBB6_6255:
	s_trap 2
	s_sendmsg_rtn_b32 s0, sendmsg(MSG_RTN_GET_DOORBELL)
	s_mov_b32 ttmp2, m0
	s_waitcnt lgkmcnt(0)
	s_and_b32 s0, s0, 0x3ff
	s_delay_alu instid0(SALU_CYCLE_1) | instskip(NEXT) | instid1(SALU_CYCLE_1)
	s_bitset1_b32 s0, 10
	s_mov_b32 m0, s0
	s_sendmsg sendmsg(MSG_INTERRUPT)
	s_mov_b32 m0, ttmp2
.LBB6_6256:                             ; =>This Inner Loop Header: Depth=1
	s_sethalt 5
	s_branch .LBB6_6256
.LBB6_6257:
	s_trap 2
	s_sendmsg_rtn_b32 s0, sendmsg(MSG_RTN_GET_DOORBELL)
	s_mov_b32 ttmp2, m0
	s_waitcnt lgkmcnt(0)
	s_and_b32 s0, s0, 0x3ff
	s_delay_alu instid0(SALU_CYCLE_1) | instskip(NEXT) | instid1(SALU_CYCLE_1)
	s_bitset1_b32 s0, 10
	s_mov_b32 m0, s0
	s_sendmsg sendmsg(MSG_INTERRUPT)
	s_mov_b32 m0, ttmp2
.LBB6_6258:                             ; =>This Inner Loop Header: Depth=1
	s_sethalt 5
	s_branch .LBB6_6258
.LBB6_6259:
	s_trap 2
	s_sendmsg_rtn_b32 s0, sendmsg(MSG_RTN_GET_DOORBELL)
	s_mov_b32 ttmp2, m0
	s_waitcnt lgkmcnt(0)
	s_and_b32 s0, s0, 0x3ff
	s_delay_alu instid0(SALU_CYCLE_1) | instskip(NEXT) | instid1(SALU_CYCLE_1)
	s_bitset1_b32 s0, 10
	s_mov_b32 m0, s0
	s_sendmsg sendmsg(MSG_INTERRUPT)
	s_mov_b32 m0, ttmp2
.LBB6_6260:                             ; =>This Inner Loop Header: Depth=1
	s_sethalt 5
	s_branch .LBB6_6260
.LBB6_6261:
	s_trap 2
	s_sendmsg_rtn_b32 s0, sendmsg(MSG_RTN_GET_DOORBELL)
	s_mov_b32 ttmp2, m0
	s_waitcnt lgkmcnt(0)
	s_and_b32 s0, s0, 0x3ff
	s_delay_alu instid0(SALU_CYCLE_1) | instskip(NEXT) | instid1(SALU_CYCLE_1)
	s_bitset1_b32 s0, 10
	s_mov_b32 m0, s0
	s_sendmsg sendmsg(MSG_INTERRUPT)
	s_mov_b32 m0, ttmp2
.LBB6_6262:                             ; =>This Inner Loop Header: Depth=1
	s_sethalt 5
	s_branch .LBB6_6262
.LBB6_6263:
	s_trap 2
	s_sendmsg_rtn_b32 s0, sendmsg(MSG_RTN_GET_DOORBELL)
	s_mov_b32 ttmp2, m0
	s_waitcnt lgkmcnt(0)
	s_and_b32 s0, s0, 0x3ff
	s_delay_alu instid0(SALU_CYCLE_1) | instskip(NEXT) | instid1(SALU_CYCLE_1)
	s_bitset1_b32 s0, 10
	s_mov_b32 m0, s0
	s_sendmsg sendmsg(MSG_INTERRUPT)
	s_mov_b32 m0, ttmp2
.LBB6_6264:                             ; =>This Inner Loop Header: Depth=1
	s_sethalt 5
	s_branch .LBB6_6264
.LBB6_6265:
	s_trap 2
	s_sendmsg_rtn_b32 s0, sendmsg(MSG_RTN_GET_DOORBELL)
	s_mov_b32 ttmp2, m0
	s_waitcnt lgkmcnt(0)
	s_and_b32 s0, s0, 0x3ff
	s_delay_alu instid0(SALU_CYCLE_1) | instskip(NEXT) | instid1(SALU_CYCLE_1)
	s_bitset1_b32 s0, 10
	s_mov_b32 m0, s0
	s_sendmsg sendmsg(MSG_INTERRUPT)
	s_mov_b32 m0, ttmp2
.LBB6_6266:                             ; =>This Inner Loop Header: Depth=1
	s_sethalt 5
	s_branch .LBB6_6266
.LBB6_6267:
	s_trap 2
	s_sendmsg_rtn_b32 s0, sendmsg(MSG_RTN_GET_DOORBELL)
	s_mov_b32 ttmp2, m0
	s_waitcnt lgkmcnt(0)
	s_and_b32 s0, s0, 0x3ff
	s_delay_alu instid0(SALU_CYCLE_1) | instskip(NEXT) | instid1(SALU_CYCLE_1)
	s_bitset1_b32 s0, 10
	s_mov_b32 m0, s0
	s_sendmsg sendmsg(MSG_INTERRUPT)
	s_mov_b32 m0, ttmp2
.LBB6_6268:                             ; =>This Inner Loop Header: Depth=1
	s_sethalt 5
	s_branch .LBB6_6268
.LBB6_6269:
	s_trap 2
	s_sendmsg_rtn_b32 s0, sendmsg(MSG_RTN_GET_DOORBELL)
	s_mov_b32 ttmp2, m0
	s_waitcnt lgkmcnt(0)
	s_and_b32 s0, s0, 0x3ff
	s_delay_alu instid0(SALU_CYCLE_1) | instskip(NEXT) | instid1(SALU_CYCLE_1)
	s_bitset1_b32 s0, 10
	s_mov_b32 m0, s0
	s_sendmsg sendmsg(MSG_INTERRUPT)
	s_mov_b32 m0, ttmp2
.LBB6_6270:                             ; =>This Inner Loop Header: Depth=1
	s_sethalt 5
	s_branch .LBB6_6270
.LBB6_6271:
	s_trap 2
	s_sendmsg_rtn_b32 s0, sendmsg(MSG_RTN_GET_DOORBELL)
	s_mov_b32 ttmp2, m0
	s_waitcnt lgkmcnt(0)
	s_and_b32 s0, s0, 0x3ff
	s_delay_alu instid0(SALU_CYCLE_1) | instskip(NEXT) | instid1(SALU_CYCLE_1)
	s_bitset1_b32 s0, 10
	s_mov_b32 m0, s0
	s_sendmsg sendmsg(MSG_INTERRUPT)
	s_mov_b32 m0, ttmp2
.LBB6_6272:                             ; =>This Inner Loop Header: Depth=1
	s_sethalt 5
	s_branch .LBB6_6272
.LBB6_6273:
	s_trap 2
	s_sendmsg_rtn_b32 s0, sendmsg(MSG_RTN_GET_DOORBELL)
	s_mov_b32 ttmp2, m0
	s_waitcnt lgkmcnt(0)
	s_and_b32 s0, s0, 0x3ff
	s_delay_alu instid0(SALU_CYCLE_1) | instskip(NEXT) | instid1(SALU_CYCLE_1)
	s_bitset1_b32 s0, 10
	s_mov_b32 m0, s0
	s_sendmsg sendmsg(MSG_INTERRUPT)
	s_mov_b32 m0, ttmp2
.LBB6_6274:                             ; =>This Inner Loop Header: Depth=1
	s_sethalt 5
	s_branch .LBB6_6274
.LBB6_6275:
	s_trap 2
	s_sendmsg_rtn_b32 s0, sendmsg(MSG_RTN_GET_DOORBELL)
	s_mov_b32 ttmp2, m0
	s_waitcnt lgkmcnt(0)
	s_and_b32 s0, s0, 0x3ff
	s_delay_alu instid0(SALU_CYCLE_1) | instskip(NEXT) | instid1(SALU_CYCLE_1)
	s_bitset1_b32 s0, 10
	s_mov_b32 m0, s0
	s_sendmsg sendmsg(MSG_INTERRUPT)
	s_mov_b32 m0, ttmp2
.LBB6_6276:                             ; =>This Inner Loop Header: Depth=1
	s_sethalt 5
	s_branch .LBB6_6276
.LBB6_6277:
	s_trap 2
	s_sendmsg_rtn_b32 s0, sendmsg(MSG_RTN_GET_DOORBELL)
	s_mov_b32 ttmp2, m0
	s_waitcnt lgkmcnt(0)
	s_and_b32 s0, s0, 0x3ff
	s_delay_alu instid0(SALU_CYCLE_1) | instskip(NEXT) | instid1(SALU_CYCLE_1)
	s_bitset1_b32 s0, 10
	s_mov_b32 m0, s0
	s_sendmsg sendmsg(MSG_INTERRUPT)
	s_mov_b32 m0, ttmp2
.LBB6_6278:                             ; =>This Inner Loop Header: Depth=1
	s_sethalt 5
	s_branch .LBB6_6278
.LBB6_6279:
	s_trap 2
	s_sendmsg_rtn_b32 s0, sendmsg(MSG_RTN_GET_DOORBELL)
	s_mov_b32 ttmp2, m0
	s_waitcnt lgkmcnt(0)
	s_and_b32 s0, s0, 0x3ff
	s_delay_alu instid0(SALU_CYCLE_1) | instskip(NEXT) | instid1(SALU_CYCLE_1)
	s_bitset1_b32 s0, 10
	s_mov_b32 m0, s0
	s_sendmsg sendmsg(MSG_INTERRUPT)
	s_mov_b32 m0, ttmp2
.LBB6_6280:                             ; =>This Inner Loop Header: Depth=1
	s_sethalt 5
	s_branch .LBB6_6280
.LBB6_6281:
	s_trap 2
	s_sendmsg_rtn_b32 s0, sendmsg(MSG_RTN_GET_DOORBELL)
	s_mov_b32 ttmp2, m0
	s_waitcnt lgkmcnt(0)
	s_and_b32 s0, s0, 0x3ff
	s_delay_alu instid0(SALU_CYCLE_1) | instskip(NEXT) | instid1(SALU_CYCLE_1)
	s_bitset1_b32 s0, 10
	s_mov_b32 m0, s0
	s_sendmsg sendmsg(MSG_INTERRUPT)
	s_mov_b32 m0, ttmp2
.LBB6_6282:                             ; =>This Inner Loop Header: Depth=1
	s_sethalt 5
	s_branch .LBB6_6282
.LBB6_6283:
	s_trap 2
	s_sendmsg_rtn_b32 s0, sendmsg(MSG_RTN_GET_DOORBELL)
	s_mov_b32 ttmp2, m0
	s_waitcnt lgkmcnt(0)
	s_and_b32 s0, s0, 0x3ff
	s_delay_alu instid0(SALU_CYCLE_1) | instskip(NEXT) | instid1(SALU_CYCLE_1)
	s_bitset1_b32 s0, 10
	s_mov_b32 m0, s0
	s_sendmsg sendmsg(MSG_INTERRUPT)
	s_mov_b32 m0, ttmp2
.LBB6_6284:                             ; =>This Inner Loop Header: Depth=1
	s_sethalt 5
	s_branch .LBB6_6284
.LBB6_6285:
	s_trap 2
	s_sendmsg_rtn_b32 s0, sendmsg(MSG_RTN_GET_DOORBELL)
	s_mov_b32 ttmp2, m0
	s_waitcnt lgkmcnt(0)
	s_and_b32 s0, s0, 0x3ff
	s_delay_alu instid0(SALU_CYCLE_1) | instskip(NEXT) | instid1(SALU_CYCLE_1)
	s_bitset1_b32 s0, 10
	s_mov_b32 m0, s0
	s_sendmsg sendmsg(MSG_INTERRUPT)
	s_mov_b32 m0, ttmp2
.LBB6_6286:                             ; =>This Inner Loop Header: Depth=1
	s_sethalt 5
	s_branch .LBB6_6286
.LBB6_6287:
	s_trap 2
	s_sendmsg_rtn_b32 s0, sendmsg(MSG_RTN_GET_DOORBELL)
	s_mov_b32 ttmp2, m0
	s_waitcnt lgkmcnt(0)
	s_and_b32 s0, s0, 0x3ff
	s_delay_alu instid0(SALU_CYCLE_1) | instskip(NEXT) | instid1(SALU_CYCLE_1)
	s_bitset1_b32 s0, 10
	s_mov_b32 m0, s0
	s_sendmsg sendmsg(MSG_INTERRUPT)
	s_mov_b32 m0, ttmp2
.LBB6_6288:                             ; =>This Inner Loop Header: Depth=1
	s_sethalt 5
	s_branch .LBB6_6288
.LBB6_6289:
	s_trap 2
	s_sendmsg_rtn_b32 s0, sendmsg(MSG_RTN_GET_DOORBELL)
	s_mov_b32 ttmp2, m0
	s_waitcnt lgkmcnt(0)
	s_and_b32 s0, s0, 0x3ff
	s_delay_alu instid0(SALU_CYCLE_1) | instskip(NEXT) | instid1(SALU_CYCLE_1)
	s_bitset1_b32 s0, 10
	s_mov_b32 m0, s0
	s_sendmsg sendmsg(MSG_INTERRUPT)
	s_mov_b32 m0, ttmp2
.LBB6_6290:                             ; =>This Inner Loop Header: Depth=1
	s_sethalt 5
	s_branch .LBB6_6290
.LBB6_6291:
	s_or_b32 exec_lo, exec_lo, s4
	s_and_saveexec_b32 s4, s5
	s_delay_alu instid0(SALU_CYCLE_1)
	s_xor_b32 s4, exec_lo, s4
	s_cbranch_execz .LBB6_6293
; %bb.6292:
	v_mov_b32_e32 v0, 1
	ds_store_b32 v0, v0
	s_cbranch_execnz .LBB6_6335
.LBB6_6293:
	s_or_b32 exec_lo, exec_lo, s3
	;;#ASMSTART
	s_wakeup
	;;#ASMEND
.LBB6_6294:
	s_or_b32 exec_lo, exec_lo, s2
.LBB6_6295:
	s_and_not1_saveexec_b32 s1, s1
	s_cbranch_execz .LBB6_6297
; %bb.6296:
	s_waitcnt lgkmcnt(0)
	s_waitcnt_vscnt null, 0x0
	buffer_gl1_inv
	buffer_gl0_inv
	s_barrier
.LBB6_6297:
	s_or_b32 exec_lo, exec_lo, s0
.LBB6_6298:
	s_and_not1_saveexec_b32 s21, s13
	s_cbranch_execz .LBB6_6300
; %bb.6299:
	s_getpc_b64 s[0:1]
	s_add_u32 s0, s0, __PRETTY_FUNCTION__._ZN10PrimitivesI12rccl_bfloat88FuncProdIS0_E12FanSymmetricILi1EELi0E11ProtoSimpleILi1ELi1ELi0ELi4ELi0ELi0EELi0ELb0ELi0ELi0ELi0EEC2EiiPKiS9_PKvPvmhhhP15ncclDevWorkCollP14ncclDevWorkP2pii@rel32@lo+4
	s_addc_u32 s1, s1, __PRETTY_FUNCTION__._ZN10PrimitivesI12rccl_bfloat88FuncProdIS0_E12FanSymmetricILi1EELi0E11ProtoSimpleILi1ELi1ELi0ELi4ELi0ELi0EELi0ELb0ELi0ELi0ELi0EEC2EiiPKiS9_PKvPvmhhhP15ncclDevWorkCollP14ncclDevWorkP2pii@rel32@hi+12
	s_delay_alu instid0(SALU_CYCLE_1) | instskip(SKIP_3) | instid1(SALU_CYCLE_1)
	v_dual_mov_b32 v0, s0 :: v_dual_mov_b32 v1, s1
	s_getpc_b64 s[2:3]
	s_add_u32 s2, s2, __assert_fail@rel32@lo+4
	s_addc_u32 s3, s3, __assert_fail@rel32@hi+12
	s_swappc_b64 s[30:31], s[2:3]
	; divergent unreachable
.LBB6_6300:
	s_or_b32 exec_lo, exec_lo, s21
	s_clause 0x14
	scratch_load_b32 v76, off, s33
	scratch_load_b32 v75, off, s33 offset:4
	scratch_load_b32 v74, off, s33 offset:8
	;; [unrolled: 1-line block ×20, first 2 shown]
	v_readlane_b32 s30, v77, 0
	v_readlane_b32 s31, v77, 1
	;; [unrolled: 1-line block ×3, first 2 shown]
	s_or_saveexec_b32 s1, -1
	scratch_load_b32 v77, off, s33 offset:84 ; 4-byte Folded Reload
	s_mov_b32 exec_lo, s1
	s_addk_i32 s32, 0xffa0
	s_mov_b32 s33, s0
	s_waitcnt vmcnt(0) lgkmcnt(0)
	s_setpc_b64 s[30:31]
.LBB6_6301:
	s_trap 2
	s_sendmsg_rtn_b32 s0, sendmsg(MSG_RTN_GET_DOORBELL)
	s_mov_b32 ttmp2, m0
	s_waitcnt lgkmcnt(0)
	s_and_b32 s0, s0, 0x3ff
	s_delay_alu instid0(SALU_CYCLE_1) | instskip(NEXT) | instid1(SALU_CYCLE_1)
	s_bitset1_b32 s0, 10
	s_mov_b32 m0, s0
	s_sendmsg sendmsg(MSG_INTERRUPT)
	s_mov_b32 m0, ttmp2
.LBB6_6302:                             ; =>This Inner Loop Header: Depth=1
	s_sethalt 5
	s_branch .LBB6_6302
.LBB6_6303:
	s_trap 2
	s_sendmsg_rtn_b32 s0, sendmsg(MSG_RTN_GET_DOORBELL)
	s_mov_b32 ttmp2, m0
	s_waitcnt lgkmcnt(0)
	s_and_b32 s0, s0, 0x3ff
	s_delay_alu instid0(SALU_CYCLE_1) | instskip(NEXT) | instid1(SALU_CYCLE_1)
	s_bitset1_b32 s0, 10
	s_mov_b32 m0, s0
	s_sendmsg sendmsg(MSG_INTERRUPT)
	s_mov_b32 m0, ttmp2
.LBB6_6304:                             ; =>This Inner Loop Header: Depth=1
	s_sethalt 5
	s_branch .LBB6_6304
.LBB6_6305:
	s_trap 2
	s_sendmsg_rtn_b32 s0, sendmsg(MSG_RTN_GET_DOORBELL)
	s_mov_b32 ttmp2, m0
	s_waitcnt lgkmcnt(0)
	s_and_b32 s0, s0, 0x3ff
	s_delay_alu instid0(SALU_CYCLE_1) | instskip(NEXT) | instid1(SALU_CYCLE_1)
	s_bitset1_b32 s0, 10
	s_mov_b32 m0, s0
	s_sendmsg sendmsg(MSG_INTERRUPT)
	s_mov_b32 m0, ttmp2
.LBB6_6306:                             ; =>This Inner Loop Header: Depth=1
	s_sethalt 5
	s_branch .LBB6_6306
.LBB6_6307:
	s_trap 2
	s_sendmsg_rtn_b32 s0, sendmsg(MSG_RTN_GET_DOORBELL)
	s_mov_b32 ttmp2, m0
	s_waitcnt lgkmcnt(0)
	s_and_b32 s0, s0, 0x3ff
	s_delay_alu instid0(SALU_CYCLE_1) | instskip(NEXT) | instid1(SALU_CYCLE_1)
	s_bitset1_b32 s0, 10
	s_mov_b32 m0, s0
	s_sendmsg sendmsg(MSG_INTERRUPT)
	s_mov_b32 m0, ttmp2
.LBB6_6308:                             ; =>This Inner Loop Header: Depth=1
	s_sethalt 5
	s_branch .LBB6_6308
.LBB6_6309:
	s_trap 2
	s_sendmsg_rtn_b32 s0, sendmsg(MSG_RTN_GET_DOORBELL)
	s_mov_b32 ttmp2, m0
	s_waitcnt lgkmcnt(0)
	s_and_b32 s0, s0, 0x3ff
	s_delay_alu instid0(SALU_CYCLE_1) | instskip(NEXT) | instid1(SALU_CYCLE_1)
	s_bitset1_b32 s0, 10
	s_mov_b32 m0, s0
	s_sendmsg sendmsg(MSG_INTERRUPT)
	s_mov_b32 m0, ttmp2
.LBB6_6310:                             ; =>This Inner Loop Header: Depth=1
	s_sethalt 5
	s_branch .LBB6_6310
.LBB6_6311:
	s_trap 2
	s_sendmsg_rtn_b32 s0, sendmsg(MSG_RTN_GET_DOORBELL)
	s_mov_b32 ttmp2, m0
	s_waitcnt lgkmcnt(0)
	s_and_b32 s0, s0, 0x3ff
	s_delay_alu instid0(SALU_CYCLE_1) | instskip(NEXT) | instid1(SALU_CYCLE_1)
	s_bitset1_b32 s0, 10
	s_mov_b32 m0, s0
	s_sendmsg sendmsg(MSG_INTERRUPT)
	s_mov_b32 m0, ttmp2
.LBB6_6312:                             ; =>This Inner Loop Header: Depth=1
	s_sethalt 5
	s_branch .LBB6_6312
.LBB6_6313:
	s_trap 2
	s_sendmsg_rtn_b32 s0, sendmsg(MSG_RTN_GET_DOORBELL)
	s_mov_b32 ttmp2, m0
	s_waitcnt lgkmcnt(0)
	s_and_b32 s0, s0, 0x3ff
	s_delay_alu instid0(SALU_CYCLE_1) | instskip(NEXT) | instid1(SALU_CYCLE_1)
	s_bitset1_b32 s0, 10
	s_mov_b32 m0, s0
	s_sendmsg sendmsg(MSG_INTERRUPT)
	s_mov_b32 m0, ttmp2
.LBB6_6314:                             ; =>This Inner Loop Header: Depth=1
	s_sethalt 5
	s_branch .LBB6_6314
.LBB6_6315:
	s_trap 2
	s_sendmsg_rtn_b32 s0, sendmsg(MSG_RTN_GET_DOORBELL)
	s_mov_b32 ttmp2, m0
	s_waitcnt lgkmcnt(0)
	s_and_b32 s0, s0, 0x3ff
	s_delay_alu instid0(SALU_CYCLE_1) | instskip(NEXT) | instid1(SALU_CYCLE_1)
	s_bitset1_b32 s0, 10
	s_mov_b32 m0, s0
	s_sendmsg sendmsg(MSG_INTERRUPT)
	s_mov_b32 m0, ttmp2
.LBB6_6316:                             ; =>This Inner Loop Header: Depth=1
	s_sethalt 5
	s_branch .LBB6_6316
.LBB6_6317:
	s_trap 2
	s_sendmsg_rtn_b32 s0, sendmsg(MSG_RTN_GET_DOORBELL)
	s_mov_b32 ttmp2, m0
	s_waitcnt lgkmcnt(0)
	s_and_b32 s0, s0, 0x3ff
	s_delay_alu instid0(SALU_CYCLE_1) | instskip(NEXT) | instid1(SALU_CYCLE_1)
	s_bitset1_b32 s0, 10
	s_mov_b32 m0, s0
	s_sendmsg sendmsg(MSG_INTERRUPT)
	s_mov_b32 m0, ttmp2
.LBB6_6318:                             ; =>This Inner Loop Header: Depth=1
	s_sethalt 5
	s_branch .LBB6_6318
.LBB6_6319:
	s_trap 2
	s_sendmsg_rtn_b32 s0, sendmsg(MSG_RTN_GET_DOORBELL)
	s_mov_b32 ttmp2, m0
	s_waitcnt lgkmcnt(0)
	s_and_b32 s0, s0, 0x3ff
	s_delay_alu instid0(SALU_CYCLE_1) | instskip(NEXT) | instid1(SALU_CYCLE_1)
	s_bitset1_b32 s0, 10
	s_mov_b32 m0, s0
	s_sendmsg sendmsg(MSG_INTERRUPT)
	s_mov_b32 m0, ttmp2
.LBB6_6320:                             ; =>This Inner Loop Header: Depth=1
	s_sethalt 5
	s_branch .LBB6_6320
.LBB6_6321:
	s_trap 2
	s_sendmsg_rtn_b32 s0, sendmsg(MSG_RTN_GET_DOORBELL)
	s_mov_b32 ttmp2, m0
	s_waitcnt lgkmcnt(0)
	s_and_b32 s0, s0, 0x3ff
	s_delay_alu instid0(SALU_CYCLE_1) | instskip(NEXT) | instid1(SALU_CYCLE_1)
	s_bitset1_b32 s0, 10
	s_mov_b32 m0, s0
	s_sendmsg sendmsg(MSG_INTERRUPT)
	s_mov_b32 m0, ttmp2
.LBB6_6322:                             ; =>This Inner Loop Header: Depth=1
	s_sethalt 5
	s_branch .LBB6_6322
.LBB6_6323:
	s_trap 2
	s_sendmsg_rtn_b32 s0, sendmsg(MSG_RTN_GET_DOORBELL)
	s_mov_b32 ttmp2, m0
	s_waitcnt lgkmcnt(0)
	s_and_b32 s0, s0, 0x3ff
	s_delay_alu instid0(SALU_CYCLE_1) | instskip(NEXT) | instid1(SALU_CYCLE_1)
	s_bitset1_b32 s0, 10
	s_mov_b32 m0, s0
	s_sendmsg sendmsg(MSG_INTERRUPT)
	s_mov_b32 m0, ttmp2
.LBB6_6324:                             ; =>This Inner Loop Header: Depth=1
	s_sethalt 5
	s_branch .LBB6_6324
.LBB6_6325:
	s_trap 2
	s_sendmsg_rtn_b32 s0, sendmsg(MSG_RTN_GET_DOORBELL)
	s_mov_b32 ttmp2, m0
	s_waitcnt lgkmcnt(0)
	s_and_b32 s0, s0, 0x3ff
	s_delay_alu instid0(SALU_CYCLE_1) | instskip(NEXT) | instid1(SALU_CYCLE_1)
	s_bitset1_b32 s0, 10
	s_mov_b32 m0, s0
	s_sendmsg sendmsg(MSG_INTERRUPT)
	s_mov_b32 m0, ttmp2
.LBB6_6326:                             ; =>This Inner Loop Header: Depth=1
	s_sethalt 5
	s_branch .LBB6_6326
.LBB6_6327:
	s_trap 2
	s_sendmsg_rtn_b32 s0, sendmsg(MSG_RTN_GET_DOORBELL)
	s_mov_b32 ttmp2, m0
	s_waitcnt lgkmcnt(0)
	s_and_b32 s0, s0, 0x3ff
	s_delay_alu instid0(SALU_CYCLE_1) | instskip(NEXT) | instid1(SALU_CYCLE_1)
	s_bitset1_b32 s0, 10
	s_mov_b32 m0, s0
	s_sendmsg sendmsg(MSG_INTERRUPT)
	s_mov_b32 m0, ttmp2
.LBB6_6328:                             ; =>This Inner Loop Header: Depth=1
	s_sethalt 5
	s_branch .LBB6_6328
.LBB6_6329:
	s_trap 2
	s_sendmsg_rtn_b32 s0, sendmsg(MSG_RTN_GET_DOORBELL)
	s_mov_b32 ttmp2, m0
	s_waitcnt lgkmcnt(0)
	s_and_b32 s0, s0, 0x3ff
	s_delay_alu instid0(SALU_CYCLE_1) | instskip(NEXT) | instid1(SALU_CYCLE_1)
	s_bitset1_b32 s0, 10
	s_mov_b32 m0, s0
	s_sendmsg sendmsg(MSG_INTERRUPT)
	s_mov_b32 m0, ttmp2
.LBB6_6330:                             ; =>This Inner Loop Header: Depth=1
	s_sethalt 5
	s_branch .LBB6_6330
.LBB6_6331:
	s_trap 2
	s_sendmsg_rtn_b32 s0, sendmsg(MSG_RTN_GET_DOORBELL)
	s_mov_b32 ttmp2, m0
	s_waitcnt lgkmcnt(0)
	s_and_b32 s0, s0, 0x3ff
	s_delay_alu instid0(SALU_CYCLE_1) | instskip(NEXT) | instid1(SALU_CYCLE_1)
	s_bitset1_b32 s0, 10
	s_mov_b32 m0, s0
	s_sendmsg sendmsg(MSG_INTERRUPT)
	s_mov_b32 m0, ttmp2
.LBB6_6332:                             ; =>This Inner Loop Header: Depth=1
	s_sethalt 5
	s_branch .LBB6_6332
.LBB6_6333:
	s_trap 2
	s_sendmsg_rtn_b32 s0, sendmsg(MSG_RTN_GET_DOORBELL)
	s_mov_b32 ttmp2, m0
	s_waitcnt lgkmcnt(0)
	s_and_b32 s0, s0, 0x3ff
	s_delay_alu instid0(SALU_CYCLE_1) | instskip(NEXT) | instid1(SALU_CYCLE_1)
	s_bitset1_b32 s0, 10
	s_mov_b32 m0, s0
	s_sendmsg sendmsg(MSG_INTERRUPT)
	s_mov_b32 m0, ttmp2
.LBB6_6334:                             ; =>This Inner Loop Header: Depth=1
	s_sethalt 5
	s_branch .LBB6_6334
.LBB6_6335:
	s_trap 2
	s_sendmsg_rtn_b32 s0, sendmsg(MSG_RTN_GET_DOORBELL)
	s_mov_b32 ttmp2, m0
	s_waitcnt lgkmcnt(0)
	s_and_b32 s0, s0, 0x3ff
	s_delay_alu instid0(SALU_CYCLE_1) | instskip(NEXT) | instid1(SALU_CYCLE_1)
	s_bitset1_b32 s0, 10
	s_mov_b32 m0, s0
	s_sendmsg sendmsg(MSG_INTERRUPT)
	s_mov_b32 m0, ttmp2
.LBB6_6336:                             ; =>This Inner Loop Header: Depth=1
	s_sethalt 5
	s_branch .LBB6_6336
.LBB6_6337:
	s_trap 2
	s_sendmsg_rtn_b32 s0, sendmsg(MSG_RTN_GET_DOORBELL)
	s_mov_b32 ttmp2, m0
	s_waitcnt lgkmcnt(0)
	s_and_b32 s0, s0, 0x3ff
	s_delay_alu instid0(SALU_CYCLE_1) | instskip(NEXT) | instid1(SALU_CYCLE_1)
	s_bitset1_b32 s0, 10
	s_mov_b32 m0, s0
	s_sendmsg sendmsg(MSG_INTERRUPT)
	s_mov_b32 m0, ttmp2
.LBB6_6338:                             ; =>This Inner Loop Header: Depth=1
	s_sethalt 5
	s_branch .LBB6_6338
.LBB6_6339:
	s_trap 2
	s_sendmsg_rtn_b32 s0, sendmsg(MSG_RTN_GET_DOORBELL)
	s_mov_b32 ttmp2, m0
	s_waitcnt lgkmcnt(0)
	s_and_b32 s0, s0, 0x3ff
	s_delay_alu instid0(SALU_CYCLE_1) | instskip(NEXT) | instid1(SALU_CYCLE_1)
	s_bitset1_b32 s0, 10
	s_mov_b32 m0, s0
	s_sendmsg sendmsg(MSG_INTERRUPT)
	s_mov_b32 m0, ttmp2
.LBB6_6340:                             ; =>This Inner Loop Header: Depth=1
	s_sethalt 5
	s_branch .LBB6_6340
.LBB6_6341:
	s_trap 2
	s_sendmsg_rtn_b32 s0, sendmsg(MSG_RTN_GET_DOORBELL)
	s_mov_b32 ttmp2, m0
	s_waitcnt lgkmcnt(0)
	s_and_b32 s0, s0, 0x3ff
	s_delay_alu instid0(SALU_CYCLE_1) | instskip(NEXT) | instid1(SALU_CYCLE_1)
	s_bitset1_b32 s0, 10
	s_mov_b32 m0, s0
	s_sendmsg sendmsg(MSG_INTERRUPT)
	s_mov_b32 m0, ttmp2
.LBB6_6342:                             ; =>This Inner Loop Header: Depth=1
	s_sethalt 5
	s_branch .LBB6_6342
.LBB6_6343:
	s_trap 2
	s_sendmsg_rtn_b32 s0, sendmsg(MSG_RTN_GET_DOORBELL)
	s_mov_b32 ttmp2, m0
	s_waitcnt lgkmcnt(0)
	s_and_b32 s0, s0, 0x3ff
	s_delay_alu instid0(SALU_CYCLE_1) | instskip(NEXT) | instid1(SALU_CYCLE_1)
	s_bitset1_b32 s0, 10
	s_mov_b32 m0, s0
	s_sendmsg sendmsg(MSG_INTERRUPT)
	s_mov_b32 m0, ttmp2
.LBB6_6344:                             ; =>This Inner Loop Header: Depth=1
	s_sethalt 5
	s_branch .LBB6_6344
.LBB6_6345:
	s_trap 2
	s_sendmsg_rtn_b32 s0, sendmsg(MSG_RTN_GET_DOORBELL)
	s_mov_b32 ttmp2, m0
	s_waitcnt lgkmcnt(0)
	s_and_b32 s0, s0, 0x3ff
	s_delay_alu instid0(SALU_CYCLE_1) | instskip(NEXT) | instid1(SALU_CYCLE_1)
	s_bitset1_b32 s0, 10
	s_mov_b32 m0, s0
	s_sendmsg sendmsg(MSG_INTERRUPT)
	s_mov_b32 m0, ttmp2
.LBB6_6346:                             ; =>This Inner Loop Header: Depth=1
	s_sethalt 5
	s_branch .LBB6_6346
.LBB6_6347:
	s_trap 2
	s_sendmsg_rtn_b32 s0, sendmsg(MSG_RTN_GET_DOORBELL)
	s_mov_b32 ttmp2, m0
	s_waitcnt lgkmcnt(0)
	s_and_b32 s0, s0, 0x3ff
	s_delay_alu instid0(SALU_CYCLE_1) | instskip(NEXT) | instid1(SALU_CYCLE_1)
	s_bitset1_b32 s0, 10
	s_mov_b32 m0, s0
	s_sendmsg sendmsg(MSG_INTERRUPT)
	s_mov_b32 m0, ttmp2
.LBB6_6348:                             ; =>This Inner Loop Header: Depth=1
	s_sethalt 5
	s_branch .LBB6_6348
.LBB6_6349:
	s_trap 2
	s_sendmsg_rtn_b32 s0, sendmsg(MSG_RTN_GET_DOORBELL)
	s_mov_b32 ttmp2, m0
	s_waitcnt lgkmcnt(0)
	s_and_b32 s0, s0, 0x3ff
	s_delay_alu instid0(SALU_CYCLE_1) | instskip(NEXT) | instid1(SALU_CYCLE_1)
	s_bitset1_b32 s0, 10
	s_mov_b32 m0, s0
	s_sendmsg sendmsg(MSG_INTERRUPT)
	s_mov_b32 m0, ttmp2
.LBB6_6350:                             ; =>This Inner Loop Header: Depth=1
	s_sethalt 5
	s_branch .LBB6_6350
.LBB6_6351:
	s_trap 2
	s_sendmsg_rtn_b32 s0, sendmsg(MSG_RTN_GET_DOORBELL)
	s_mov_b32 ttmp2, m0
	s_waitcnt lgkmcnt(0)
	s_and_b32 s0, s0, 0x3ff
	s_delay_alu instid0(SALU_CYCLE_1) | instskip(NEXT) | instid1(SALU_CYCLE_1)
	s_bitset1_b32 s0, 10
	s_mov_b32 m0, s0
	s_sendmsg sendmsg(MSG_INTERRUPT)
	s_mov_b32 m0, ttmp2
.LBB6_6352:                             ; =>This Inner Loop Header: Depth=1
	s_sethalt 5
	s_branch .LBB6_6352
.LBB6_6353:
	s_trap 2
	s_sendmsg_rtn_b32 s0, sendmsg(MSG_RTN_GET_DOORBELL)
	s_mov_b32 ttmp2, m0
	s_waitcnt lgkmcnt(0)
	s_and_b32 s0, s0, 0x3ff
	s_delay_alu instid0(SALU_CYCLE_1) | instskip(NEXT) | instid1(SALU_CYCLE_1)
	s_bitset1_b32 s0, 10
	s_mov_b32 m0, s0
	s_sendmsg sendmsg(MSG_INTERRUPT)
	s_mov_b32 m0, ttmp2
.LBB6_6354:                             ; =>This Inner Loop Header: Depth=1
	s_sethalt 5
	s_branch .LBB6_6354
.LBB6_6355:
	s_trap 2
	s_sendmsg_rtn_b32 s0, sendmsg(MSG_RTN_GET_DOORBELL)
	s_mov_b32 ttmp2, m0
	s_waitcnt lgkmcnt(0)
	s_and_b32 s0, s0, 0x3ff
	s_delay_alu instid0(SALU_CYCLE_1) | instskip(NEXT) | instid1(SALU_CYCLE_1)
	s_bitset1_b32 s0, 10
	s_mov_b32 m0, s0
	s_sendmsg sendmsg(MSG_INTERRUPT)
	s_mov_b32 m0, ttmp2
.LBB6_6356:                             ; =>This Inner Loop Header: Depth=1
	s_sethalt 5
	s_branch .LBB6_6356
.LBB6_6357:
	s_trap 2
	s_sendmsg_rtn_b32 s0, sendmsg(MSG_RTN_GET_DOORBELL)
	s_mov_b32 ttmp2, m0
	s_waitcnt lgkmcnt(0)
	s_and_b32 s0, s0, 0x3ff
	s_delay_alu instid0(SALU_CYCLE_1) | instskip(NEXT) | instid1(SALU_CYCLE_1)
	s_bitset1_b32 s0, 10
	s_mov_b32 m0, s0
	s_sendmsg sendmsg(MSG_INTERRUPT)
	s_mov_b32 m0, ttmp2
.LBB6_6358:                             ; =>This Inner Loop Header: Depth=1
	s_sethalt 5
	s_branch .LBB6_6358
.LBB6_6359:
	s_trap 2
	s_sendmsg_rtn_b32 s0, sendmsg(MSG_RTN_GET_DOORBELL)
	s_mov_b32 ttmp2, m0
	s_waitcnt lgkmcnt(0)
	s_and_b32 s0, s0, 0x3ff
	s_delay_alu instid0(SALU_CYCLE_1) | instskip(NEXT) | instid1(SALU_CYCLE_1)
	s_bitset1_b32 s0, 10
	s_mov_b32 m0, s0
	s_sendmsg sendmsg(MSG_INTERRUPT)
	s_mov_b32 m0, ttmp2
.LBB6_6360:                             ; =>This Inner Loop Header: Depth=1
	s_sethalt 5
	s_branch .LBB6_6360
.LBB6_6361:
	s_trap 2
	s_sendmsg_rtn_b32 s0, sendmsg(MSG_RTN_GET_DOORBELL)
	s_mov_b32 ttmp2, m0
	s_waitcnt lgkmcnt(0)
	s_and_b32 s0, s0, 0x3ff
	s_delay_alu instid0(SALU_CYCLE_1) | instskip(NEXT) | instid1(SALU_CYCLE_1)
	s_bitset1_b32 s0, 10
	s_mov_b32 m0, s0
	s_sendmsg sendmsg(MSG_INTERRUPT)
	s_mov_b32 m0, ttmp2
.LBB6_6362:                             ; =>This Inner Loop Header: Depth=1
	s_sethalt 5
	s_branch .LBB6_6362
.LBB6_6363:
	s_trap 2
	s_sendmsg_rtn_b32 s0, sendmsg(MSG_RTN_GET_DOORBELL)
	s_mov_b32 ttmp2, m0
	s_waitcnt lgkmcnt(0)
	s_and_b32 s0, s0, 0x3ff
	s_delay_alu instid0(SALU_CYCLE_1) | instskip(NEXT) | instid1(SALU_CYCLE_1)
	s_bitset1_b32 s0, 10
	s_mov_b32 m0, s0
	s_sendmsg sendmsg(MSG_INTERRUPT)
	s_mov_b32 m0, ttmp2
.LBB6_6364:                             ; =>This Inner Loop Header: Depth=1
	s_sethalt 5
	s_branch .LBB6_6364
.Lfunc_end6:
	.size	_ZN12_GLOBAL__N_17runRingI12rccl_bfloat88FuncProdIS1_E11ProtoSimpleILi1ELi1ELi0ELi4ELi0ELi0EELi0ELi4ELi0EEEviiP15ncclDevWorkColl, .Lfunc_end6-_ZN12_GLOBAL__N_17runRingI12rccl_bfloat88FuncProdIS1_E11ProtoSimpleILi1ELi1ELi0ELi4ELi0ELi0EELi0ELi4ELi0EEEviiP15ncclDevWorkColl
                                        ; -- End function
	.section	.AMDGPU.csdata,"",@progbits
; Function info:
; codeLenInByte = 256416
; NumSgprs: 38
; NumVgprs: 184
; ScratchSize: 160
; MemoryBound: 1
	.text
	.p2align	2                               ; -- Begin function _Z48ncclDevFunc_Reduce_RING_SIMPLE_Prod_f8e5m2_0_0_4v
	.type	_Z48ncclDevFunc_Reduce_RING_SIMPLE_Prod_f8e5m2_0_0_4v,@function
_Z48ncclDevFunc_Reduce_RING_SIMPLE_Prod_f8e5m2_0_0_4v: ; @_Z48ncclDevFunc_Reduce_RING_SIMPLE_Prod_f8e5m2_0_0_4v
; %bb.0:
	s_waitcnt vmcnt(0) expcnt(0) lgkmcnt(0)
	s_mov_b32 s0, s33
	s_mov_b32 s33, s32
	s_or_saveexec_b32 s1, -1
	scratch_store_b32 off, v42, s33 offset:12 ; 4-byte Folded Spill
	s_mov_b32 exec_lo, s1
	v_writelane_b32 v42, s0, 10
	s_add_i32 s32, s32, 32
	s_clause 0x2
	scratch_store_b32 off, v40, s33 offset:8
	; meta instruction
	scratch_store_b32 off, v41, s33 offset:4
	; meta instruction
	scratch_store_b32 off, v77, s33
	v_writelane_b32 v42, s34, 0
	v_writelane_b32 v42, s35, 1
	;; [unrolled: 1-line block ×10, first 2 shown]
	s_cbranch_execnz .LBB7_13
; %bb.1:
	ds_load_b32 v0, v0
	s_waitcnt lgkmcnt(0)
	v_cmp_gt_i32_e32 vcc_lo, 1, v0
	s_cbranch_vccnz .LBB7_12
; %bb.2:
	v_and_b32_e32 v40, 0x3ff, v31
	s_mov_b32 s40, 0
	s_mov_b64 s[38:39], src_shared_base
.LBB7_3:                                ; =>This Inner Loop Header: Depth=1
	s_cbranch_execnz .LBB7_15
; %bb.4:                                ;   in Loop: Header=BB7_3 Depth=1
	ds_load_b32 v0, v0
	s_cmp_eq_u32 s40, 0
	s_cbranch_scc1 .LBB7_8
; %bb.5:                                ;   in Loop: Header=BB7_3 Depth=1
	s_cbranch_execnz .LBB7_19
; %bb.6:                                ;   in Loop: Header=BB7_3 Depth=1
	s_waitcnt lgkmcnt(0)
	ds_load_b32 v1, v0
	s_waitcnt lgkmcnt(0)
	v_xor_b32_e32 v1, v1, v0
	s_delay_alu instid0(VALU_DEP_1) | instskip(NEXT) | instid1(VALU_DEP_1)
	v_and_b32_e32 v1, 0xff0000, v1
	v_cmp_eq_u32_e32 vcc_lo, 0, v1
	s_cbranch_vccnz .LBB7_8
; %bb.7:                                ;   in Loop: Header=BB7_3 Depth=1
	s_waitcnt_vscnt null, 0x0
	s_barrier
	buffer_gl0_inv
	ds_load_b32 v0, v0
.LBB7_8:                                ;   in Loop: Header=BB7_3 Depth=1
	s_waitcnt lgkmcnt(0)
	v_lshrrev_b32_e32 v0, 11, v0
	s_mov_b32 s41, exec_lo
	s_delay_alu instid0(VALU_DEP_1) | instskip(NEXT) | instid1(VALU_DEP_1)
	v_and_b32_e32 v1, 0x1fe0, v0
	v_cmpx_lt_u32_e64 v40, v1
	s_cbranch_execz .LBB7_10
; %bb.9:                                ;   in Loop: Header=BB7_3 Depth=1
	v_dual_mov_b32 v41, v31 :: v_dual_mov_b32 v0, v40
	v_mov_b32_e32 v3, s39
	s_getpc_b64 s[0:1]
	s_add_u32 s0, s0, _ZN12_GLOBAL__N_17runRingI12rccl_bfloat88FuncProdIS1_E11ProtoSimpleILi1ELi1ELi0ELi4ELi0ELi0EELi0ELi4ELi0EEEviiP15ncclDevWorkColl@rel32@lo+4
	s_addc_u32 s1, s1, _ZN12_GLOBAL__N_17runRingI12rccl_bfloat88FuncProdIS1_E11ProtoSimpleILi1ELi1ELi0ELi4ELi0ELi0EELi0ELi4ELi0EEEviiP15ncclDevWorkColl@rel32@hi+12
	s_mov_b64 s[36:37], s[8:9]
	s_mov_b32 s38, s12
	s_swappc_b64 s[30:31], s[0:1]
	v_mov_b32_e32 v31, v41
	s_mov_b32 s12, s38
	s_mov_b64 s[8:9], s[36:37]
.LBB7_10:                               ;   in Loop: Header=BB7_3 Depth=1
	s_or_b32 exec_lo, exec_lo, s41
	s_cbranch_execnz .LBB7_17
; %bb.11:                               ;   in Loop: Header=BB7_3 Depth=1
	ds_load_b32 v0, v0
	s_add_i32 s40, s40, 1
	s_waitcnt lgkmcnt(0)
	v_cmp_lt_i32_e32 vcc_lo, s40, v0
	s_cbranch_vccnz .LBB7_3
.LBB7_12:
	s_clause 0x2
	scratch_load_b32 v77, off, s33
	scratch_load_b32 v41, off, s33 offset:4
	scratch_load_b32 v40, off, s33 offset:8
	v_readlane_b32 s30, v42, 8
	v_readlane_b32 s31, v42, 9
	;; [unrolled: 1-line block ×11, first 2 shown]
	s_or_saveexec_b32 s1, -1
	scratch_load_b32 v42, off, s33 offset:12 ; 4-byte Folded Reload
	s_mov_b32 exec_lo, s1
	s_addk_i32 s32, 0xffe0
	s_mov_b32 s33, s0
	s_waitcnt vmcnt(0)
	s_setpc_b64 s[30:31]
.LBB7_13:
	s_trap 2
	s_sendmsg_rtn_b32 s0, sendmsg(MSG_RTN_GET_DOORBELL)
	s_mov_b32 ttmp2, m0
	s_waitcnt lgkmcnt(0)
	s_and_b32 s0, s0, 0x3ff
	s_delay_alu instid0(SALU_CYCLE_1) | instskip(NEXT) | instid1(SALU_CYCLE_1)
	s_bitset1_b32 s0, 10
	s_mov_b32 m0, s0
	s_sendmsg sendmsg(MSG_INTERRUPT)
	s_mov_b32 m0, ttmp2
.LBB7_14:                               ; =>This Inner Loop Header: Depth=1
	s_sethalt 5
	s_branch .LBB7_14
.LBB7_15:
	s_trap 2
	s_sendmsg_rtn_b32 s0, sendmsg(MSG_RTN_GET_DOORBELL)
	s_mov_b32 ttmp2, m0
	s_waitcnt lgkmcnt(0)
	s_and_b32 s0, s0, 0x3ff
	s_delay_alu instid0(SALU_CYCLE_1) | instskip(NEXT) | instid1(SALU_CYCLE_1)
	s_bitset1_b32 s0, 10
	s_mov_b32 m0, s0
	s_sendmsg sendmsg(MSG_INTERRUPT)
	s_mov_b32 m0, ttmp2
.LBB7_16:                               ; =>This Inner Loop Header: Depth=1
	s_sethalt 5
	s_branch .LBB7_16
.LBB7_17:
	s_trap 2
	s_sendmsg_rtn_b32 s0, sendmsg(MSG_RTN_GET_DOORBELL)
	s_mov_b32 ttmp2, m0
	s_waitcnt lgkmcnt(0)
	s_and_b32 s0, s0, 0x3ff
	s_delay_alu instid0(SALU_CYCLE_1) | instskip(NEXT) | instid1(SALU_CYCLE_1)
	s_bitset1_b32 s0, 10
	s_mov_b32 m0, s0
	s_sendmsg sendmsg(MSG_INTERRUPT)
	s_mov_b32 m0, ttmp2
.LBB7_18:                               ; =>This Inner Loop Header: Depth=1
	s_sethalt 5
	s_branch .LBB7_18
.LBB7_19:
	s_trap 2
	s_sendmsg_rtn_b32 s0, sendmsg(MSG_RTN_GET_DOORBELL)
	s_mov_b32 ttmp2, m0
	s_waitcnt lgkmcnt(0)
	s_and_b32 s0, s0, 0x3ff
	s_delay_alu instid0(SALU_CYCLE_1) | instskip(NEXT) | instid1(SALU_CYCLE_1)
	s_bitset1_b32 s0, 10
	s_mov_b32 m0, s0
	s_sendmsg sendmsg(MSG_INTERRUPT)
	s_mov_b32 m0, ttmp2
.LBB7_20:                               ; =>This Inner Loop Header: Depth=1
	s_sethalt 5
	s_branch .LBB7_20
.Lfunc_end7:
	.size	_Z48ncclDevFunc_Reduce_RING_SIMPLE_Prod_f8e5m2_0_0_4v, .Lfunc_end7-_Z48ncclDevFunc_Reduce_RING_SIMPLE_Prod_f8e5m2_0_0_4v
                                        ; -- End function
	.section	.AMDGPU.csdata,"",@progbits
; Function info:
; codeLenInByte = 756
; NumSgprs: 44
; NumVgprs: 184
; ScratchSize: 192
; MemoryBound: 0
	.text
	.p2alignl 7, 3214868480
	.fill 96, 4, 3214868480
	.type	__const.__assert_fail.fmt,@object ; @__const.__assert_fail.fmt
	.section	.rodata.str1.16,"aMS",@progbits,1
	.p2align	4, 0x0
__const.__assert_fail.fmt:
	.asciz	"%s:%u: %s: Device-side assertion `%s' failed.\n"
	.size	__const.__assert_fail.fmt, 47

	.type	.str.1,@object                  ; @.str.1
	.section	.rodata.str1.1,"aMS",@progbits,1
.str.1:
	.asciz	"2*(nrecv+nsend) <= nthreads"
	.size	.str.1, 28

	.type	.str.2,@object                  ; @.str.2
.str.2:
	.asciz	"/root/src/amdgpu-assembly/repos/ROCm__rccl/hipify/src/device/prims_simple.h"
	.size	.str.2, 76

	.type	__PRETTY_FUNCTION__._ZN10PrimitivesI12rccl_bfloat88FuncProdIS0_E12FanSymmetricILi1EELi0E11ProtoSimpleILi1ELi1ELi0ELi1ELi0ELi0EELi0ELb0ELi0ELi0ELi0EEC2EiiPKiS9_PKvPvmhhhP15ncclDevWorkCollP14ncclDevWorkP2pii,@object ; @__PRETTY_FUNCTION__._ZN10PrimitivesI12rccl_bfloat88FuncProdIS0_E12FanSymmetricILi1EELi0E11ProtoSimpleILi1ELi1ELi0ELi1ELi0ELi0EELi0ELb0ELi0ELi0ELi0EEC2EiiPKiS9_PKvPvmhhhP15ncclDevWorkCollP14ncclDevWorkP2pii
__PRETTY_FUNCTION__._ZN10PrimitivesI12rccl_bfloat88FuncProdIS0_E12FanSymmetricILi1EELi0E11ProtoSimpleILi1ELi1ELi0ELi1ELi0ELi0EELi0ELb0ELi0ELi0ELi0EEC2EiiPKiS9_PKvPvmhhhP15ncclDevWorkCollP14ncclDevWorkP2pii:
	.asciz	"Primitives<rccl_bfloat8, FuncProd<rccl_bfloat8>, FanSymmetric<1>, 0, ProtoSimple<1, 1, 0, 1>, 0>::Primitives(int, int, const int *, const int *, const void *, void *, uint64_t, uint8_t, uint8_t, uint8_t, struct ncclDevWorkColl *, struct ncclDevWorkP2p *, int, int) [T = rccl_bfloat8, RedOp = FuncProd<rccl_bfloat8>, Fan = FanSymmetric<1>, Direct = 0, Proto = ProtoSimple<1, 1, 0, 1>, P2p = 0, isNetOffload = false, Metadata = 0, Pipeline = 0, useAcc = 0]"
	.size	__PRETTY_FUNCTION__._ZN10PrimitivesI12rccl_bfloat88FuncProdIS0_E12FanSymmetricILi1EELi0E11ProtoSimpleILi1ELi1ELi0ELi1ELi0ELi0EELi0ELb0ELi0ELi0ELi0EEC2EiiPKiS9_PKvPvmhhhP15ncclDevWorkCollP14ncclDevWorkP2pii, 455

	.type	__PRETTY_FUNCTION__._ZN10PrimitivesI12rccl_bfloat88FuncProdIS0_E12FanSymmetricILi1EELi0E11ProtoSimpleILi1ELi1ELi0ELi2ELi0ELi0EELi0ELb0ELi0ELi0ELi0EEC2EiiPKiS9_PKvPvmhhhP15ncclDevWorkCollP14ncclDevWorkP2pii,@object ; @__PRETTY_FUNCTION__._ZN10PrimitivesI12rccl_bfloat88FuncProdIS0_E12FanSymmetricILi1EELi0E11ProtoSimpleILi1ELi1ELi0ELi2ELi0ELi0EELi0ELb0ELi0ELi0ELi0EEC2EiiPKiS9_PKvPvmhhhP15ncclDevWorkCollP14ncclDevWorkP2pii
__PRETTY_FUNCTION__._ZN10PrimitivesI12rccl_bfloat88FuncProdIS0_E12FanSymmetricILi1EELi0E11ProtoSimpleILi1ELi1ELi0ELi2ELi0ELi0EELi0ELb0ELi0ELi0ELi0EEC2EiiPKiS9_PKvPvmhhhP15ncclDevWorkCollP14ncclDevWorkP2pii:
	.asciz	"Primitives<rccl_bfloat8, FuncProd<rccl_bfloat8>, FanSymmetric<1>, 0, ProtoSimple<1, 1, 0, 2>, 0>::Primitives(int, int, const int *, const int *, const void *, void *, uint64_t, uint8_t, uint8_t, uint8_t, struct ncclDevWorkColl *, struct ncclDevWorkP2p *, int, int) [T = rccl_bfloat8, RedOp = FuncProd<rccl_bfloat8>, Fan = FanSymmetric<1>, Direct = 0, Proto = ProtoSimple<1, 1, 0, 2>, P2p = 0, isNetOffload = false, Metadata = 0, Pipeline = 0, useAcc = 0]"
	.size	__PRETTY_FUNCTION__._ZN10PrimitivesI12rccl_bfloat88FuncProdIS0_E12FanSymmetricILi1EELi0E11ProtoSimpleILi1ELi1ELi0ELi2ELi0ELi0EELi0ELb0ELi0ELi0ELi0EEC2EiiPKiS9_PKvPvmhhhP15ncclDevWorkCollP14ncclDevWorkP2pii, 455

	.type	__PRETTY_FUNCTION__._ZN10PrimitivesI12rccl_bfloat88FuncProdIS0_E12FanSymmetricILi1EELi0E11ProtoSimpleILi1ELi1ELi0ELi4ELi0ELi0EELi0ELb0ELi0ELi0ELi0EEC2EiiPKiS9_PKvPvmhhhP15ncclDevWorkCollP14ncclDevWorkP2pii,@object ; @__PRETTY_FUNCTION__._ZN10PrimitivesI12rccl_bfloat88FuncProdIS0_E12FanSymmetricILi1EELi0E11ProtoSimpleILi1ELi1ELi0ELi4ELi0ELi0EELi0ELb0ELi0ELi0ELi0EEC2EiiPKiS9_PKvPvmhhhP15ncclDevWorkCollP14ncclDevWorkP2pii
__PRETTY_FUNCTION__._ZN10PrimitivesI12rccl_bfloat88FuncProdIS0_E12FanSymmetricILi1EELi0E11ProtoSimpleILi1ELi1ELi0ELi4ELi0ELi0EELi0ELb0ELi0ELi0ELi0EEC2EiiPKiS9_PKvPvmhhhP15ncclDevWorkCollP14ncclDevWorkP2pii:
	.asciz	"Primitives<rccl_bfloat8, FuncProd<rccl_bfloat8>, FanSymmetric<1>, 0, ProtoSimple<1, 1, 0, 4>, 0>::Primitives(int, int, const int *, const int *, const void *, void *, uint64_t, uint8_t, uint8_t, uint8_t, struct ncclDevWorkColl *, struct ncclDevWorkP2p *, int, int) [T = rccl_bfloat8, RedOp = FuncProd<rccl_bfloat8>, Fan = FanSymmetric<1>, Direct = 0, Proto = ProtoSimple<1, 1, 0, 4>, P2p = 0, isNetOffload = false, Metadata = 0, Pipeline = 0, useAcc = 0]"
	.size	__PRETTY_FUNCTION__._ZN10PrimitivesI12rccl_bfloat88FuncProdIS0_E12FanSymmetricILi1EELi0E11ProtoSimpleILi1ELi1ELi0ELi4ELi0ELi0EELi0ELb0ELi0ELi0ELi0EEC2EiiPKiS9_PKvPvmhhhP15ncclDevWorkCollP14ncclDevWorkP2pii, 455

	.type	__hip_cuid_e6b50dbeac54b00c,@object ; @__hip_cuid_e6b50dbeac54b00c
	.section	.bss,"aw",@nobits
	.globl	__hip_cuid_e6b50dbeac54b00c
__hip_cuid_e6b50dbeac54b00c:
	.byte	0                               ; 0x0
	.size	__hip_cuid_e6b50dbeac54b00c, 1

	.ident	"AMD clang version 19.0.0git (https://github.com/RadeonOpenCompute/llvm-project roc-6.4.0 25133 c7fe45cf4b819c5991fe208aaa96edf142730f1d)"
	.section	".note.GNU-stack","",@progbits
	.addrsig
	.addrsig_sym _Z48ncclDevFunc_Reduce_RING_SIMPLE_Prod_f8e5m2_0_0_1v
	.addrsig_sym _Z48ncclDevFunc_Reduce_RING_SIMPLE_Prod_f8e5m2_0_0_2v
	.addrsig_sym _Z48ncclDevFunc_Reduce_RING_SIMPLE_Prod_f8e5m2_0_0_4v
	.addrsig_sym ncclShmem
	.addrsig_sym __hip_cuid_e6b50dbeac54b00c
	.amdgpu_metadata
---
amdhsa.kernels:  []
amdhsa.target:   amdgcn-amd-amdhsa--gfx1100
amdhsa.version:
  - 1
  - 2
...

	.end_amdgpu_metadata
